;; amdgpu-corpus repo=ROCm/aiter kind=compiled arch=gfx1100 opt=O3
	.text
	.amdgcn_target "amdgcn-amd-amdhsa--gfx1100"
	.amdhsa_code_object_version 6
	.section	.text._ZN7ck_tileL11flush_cacheEv,"axG",@progbits,_ZN7ck_tileL11flush_cacheEv,comdat
	.globl	_ZN7ck_tileL11flush_cacheEv     ; -- Begin function _ZN7ck_tileL11flush_cacheEv
	.p2align	8
	.type	_ZN7ck_tileL11flush_cacheEv,@function
_ZN7ck_tileL11flush_cacheEv:            ; @_ZN7ck_tileL11flush_cacheEv
; %bb.0:
	;;#ASMSTART
	s_icache_inv 
	s_nop 0 
	s_nop 0 
	;; [unrolled: 1-line block ×16, first 2 shown]
	
	;;#ASMEND
	s_endpgm
	.section	.rodata,"a",@progbits
	.p2align	6, 0x0
	.amdhsa_kernel _ZN7ck_tileL11flush_cacheEv
		.amdhsa_group_segment_fixed_size 0
		.amdhsa_private_segment_fixed_size 0
		.amdhsa_kernarg_size 0
		.amdhsa_user_sgpr_count 15
		.amdhsa_user_sgpr_dispatch_ptr 0
		.amdhsa_user_sgpr_queue_ptr 0
		.amdhsa_user_sgpr_kernarg_segment_ptr 0
		.amdhsa_user_sgpr_dispatch_id 0
		.amdhsa_user_sgpr_private_segment_size 0
		.amdhsa_wavefront_size32 1
		.amdhsa_uses_dynamic_stack 0
		.amdhsa_enable_private_segment 0
		.amdhsa_system_sgpr_workgroup_id_x 1
		.amdhsa_system_sgpr_workgroup_id_y 0
		.amdhsa_system_sgpr_workgroup_id_z 0
		.amdhsa_system_sgpr_workgroup_info 0
		.amdhsa_system_vgpr_workitem_id 0
		.amdhsa_next_free_vgpr 1
		.amdhsa_next_free_sgpr 1
		.amdhsa_reserve_vcc 0
		.amdhsa_float_round_mode_32 0
		.amdhsa_float_round_mode_16_64 0
		.amdhsa_float_denorm_mode_32 3
		.amdhsa_float_denorm_mode_16_64 3
		.amdhsa_dx10_clamp 1
		.amdhsa_ieee_mode 1
		.amdhsa_fp16_overflow 0
		.amdhsa_workgroup_processor_mode 1
		.amdhsa_memory_ordered 1
		.amdhsa_forward_progress 0
		.amdhsa_shared_vgpr_count 0
		.amdhsa_exception_fp_ieee_invalid_op 0
		.amdhsa_exception_fp_denorm_src 0
		.amdhsa_exception_fp_ieee_div_zero 0
		.amdhsa_exception_fp_ieee_overflow 0
		.amdhsa_exception_fp_ieee_underflow 0
		.amdhsa_exception_fp_ieee_inexact 0
		.amdhsa_exception_int_div_zero 0
	.end_amdhsa_kernel
	.section	.text._ZN7ck_tileL11flush_cacheEv,"axG",@progbits,_ZN7ck_tileL11flush_cacheEv,comdat
.Lfunc_end0:
	.size	_ZN7ck_tileL11flush_cacheEv, .Lfunc_end0-_ZN7ck_tileL11flush_cacheEv
                                        ; -- End function
	.section	.AMDGPU.csdata,"",@progbits
; Kernel info:
; codeLenInByte = 344
; NumSgprs: 0
; NumVgprs: 0
; ScratchSize: 0
; MemoryBound: 0
; FloatMode: 240
; IeeeMode: 1
; LDSByteSize: 0 bytes/workgroup (compile time only)
; SGPRBlocks: 0
; VGPRBlocks: 0
; NumSGPRsForWavesPerEU: 1
; NumVGPRsForWavesPerEU: 1
; Occupancy: 16
; WaveLimiterHint : 0
; COMPUTE_PGM_RSRC2:SCRATCH_EN: 0
; COMPUTE_PGM_RSRC2:USER_SGPR: 15
; COMPUTE_PGM_RSRC2:TRAP_HANDLER: 0
; COMPUTE_PGM_RSRC2:TGID_X_EN: 1
; COMPUTE_PGM_RSRC2:TGID_Y_EN: 0
; COMPUTE_PGM_RSRC2:TGID_Z_EN: 0
; COMPUTE_PGM_RSRC2:TIDIG_COMP_CNT: 0
	.section	.text._ZN5aiter24add_rmsnorm_quant_kernelIDF16_DB8_Li64ELi8ELb1ELb1ELb1ELi1EEEvPT0_PT_PfS5_S5_S5_diiiiiiib,"axG",@progbits,_ZN5aiter24add_rmsnorm_quant_kernelIDF16_DB8_Li64ELi8ELb1ELb1ELb1ELi1EEEvPT0_PT_PfS5_S5_S5_diiiiiiib,comdat
	.protected	_ZN5aiter24add_rmsnorm_quant_kernelIDF16_DB8_Li64ELi8ELb1ELb1ELb1ELi1EEEvPT0_PT_PfS5_S5_S5_diiiiiiib ; -- Begin function _ZN5aiter24add_rmsnorm_quant_kernelIDF16_DB8_Li64ELi8ELb1ELb1ELb1ELi1EEEvPT0_PT_PfS5_S5_S5_diiiiiiib
	.globl	_ZN5aiter24add_rmsnorm_quant_kernelIDF16_DB8_Li64ELi8ELb1ELb1ELb1ELi1EEEvPT0_PT_PfS5_S5_S5_diiiiiiib
	.p2align	8
	.type	_ZN5aiter24add_rmsnorm_quant_kernelIDF16_DB8_Li64ELi8ELb1ELb1ELb1ELi1EEEvPT0_PT_PfS5_S5_S5_diiiiiiib,@function
_ZN5aiter24add_rmsnorm_quant_kernelIDF16_DB8_Li64ELi8ELb1ELb1ELb1ELi1EEEvPT0_PT_PfS5_S5_S5_diiiiiiib: ; @_ZN5aiter24add_rmsnorm_quant_kernelIDF16_DB8_Li64ELi8ELb1ELb1ELb1ELi1EEEvPT0_PT_PfS5_S5_S5_diiiiiiib
; %bb.0:
	s_mov_b32 s2, s15
	s_load_b256 s[12:19], s[0:1], 0x38
	s_mov_b32 s3, 0
	s_waitcnt lgkmcnt(0)
	s_ashr_i32 s5, s12, 31
	s_mov_b32 s4, s12
	s_delay_alu instid0(SALU_CYCLE_1) | instskip(NEXT) | instid1(VALU_DEP_1)
	v_cmp_ge_i64_e64 s4, s[2:3], s[4:5]
	s_and_b32 vcc_lo, exec_lo, s4
	s_cbranch_vccnz .LBB1_44
; %bb.1:
	s_clause 0x1
	s_load_b256 s[4:11], s[0:1], 0x0
	s_load_b256 s[20:27], s[0:1], 0x20
	s_ashr_i32 s1, s14, 31
	s_waitcnt lgkmcnt(0)
	s_mul_hi_u32 s26, s14, s2
	s_mul_i32 s1, s1, s2
	s_mul_i32 s0, s14, s2
	s_add_i32 s1, s26, s1
	s_mul_hi_u32 s26, s15, s2
	s_lshl_b64 s[0:1], s[0:1], 1
	v_lshlrev_b32_e32 v19, 4, v0
	s_mul_i32 s14, s15, s2
	s_mov_b32 s31, -1
	v_and_b32_e32 v20, 31, v0
	s_mov_b32 s39, s31
	s_add_u32 s28, s10, s0
	s_addc_u32 s0, s11, s1
	s_add_i32 s1, s13, 1
	s_ashr_i32 s10, s15, 31
	s_lshr_b32 s11, s1, 31
	s_mul_i32 s10, s10, s2
	s_add_i32 s1, s1, s11
	s_and_b32 s29, s0, 0xffff
	s_lshl_b32 s0, s1, 1
	s_add_i32 s15, s26, s10
	s_and_b32 s30, s0, -4
	s_lshl_b64 s[0:1], s[14:15], 1
	s_and_b32 s37, s23, 0xffff
	buffer_load_b128 v[9:12], v19, s[28:31], 0 offen glc slc
	s_add_u32 s28, s20, s0
	s_addc_u32 s0, s21, s1
	s_mov_b32 s36, s22
	s_and_b32 s29, s0, 0xffff
	s_mov_b32 s38, s30
	buffer_load_b128 v[13:16], v19, s[28:31], 0 offen glc slc
	s_ashr_i32 s0, s16, 31
	s_mul_hi_u32 s1, s16, s2
	s_mul_i32 s10, s0, s2
	s_mul_i32 s0, s16, s2
	s_add_i32 s1, s1, s10
	s_delay_alu instid0(SALU_CYCLE_1) | instskip(NEXT) | instid1(SALU_CYCLE_1)
	s_lshl_b64 s[0:1], s[0:1], 1
	s_add_u32 s28, s6, s0
	s_addc_u32 s1, s7, s1
	v_cmp_eq_u32_e64 s0, 31, v20
	s_and_b32 s29, s1, 0xffff
	s_waitcnt vmcnt(1)
	v_cvt_f32_f16_e32 v8, v9
	v_lshrrev_b32_e32 v5, 16, v9
	v_cvt_f32_f16_e32 v9, v10
	s_waitcnt vmcnt(0)
	v_lshrrev_b32_e32 v6, 16, v13
	v_cvt_f32_f16_e32 v13, v13
	v_cvt_f32_f16_e32 v5, v5
	s_delay_alu instid0(VALU_DEP_3) | instskip(NEXT) | instid1(VALU_DEP_3)
	v_cvt_f32_f16_e32 v6, v6
	v_add_f32_e32 v8, v8, v13
	buffer_load_b128 v[1:4], v19, s[36:39], 0 offen
	v_cvt_f32_f16_e32 v13, v11
	v_add_f32_e32 v7, v5, v6
	v_lshrrev_b32_e32 v5, 16, v10
	v_cvt_f32_f16_e32 v6, v14
	v_lshrrev_b32_e32 v10, 16, v14
	v_lshrrev_b32_e32 v14, 16, v15
	v_cvt_f16_f32_e32 v24, v7
	v_cvt_f32_f16_e32 v5, v5
	v_add_f32_e32 v9, v9, v6
	v_cvt_f32_f16_e32 v10, v10
	v_mul_f32_e32 v17, v7, v7
	v_lshrrev_b32_e32 v6, 16, v11
	v_cvt_f32_f16_e32 v11, v15
	v_cvt_f32_f16_e32 v14, v14
	v_add_f32_e32 v10, v5, v10
	v_cvt_f32_f16_e32 v15, v16
	v_cvt_f32_f16_e32 v6, v6
	v_fmac_f32_e32 v17, v8, v8
	v_add_f32_e32 v11, v13, v11
	v_lshrrev_b32_e32 v13, 16, v12
	v_lshrrev_b32_e32 v16, 16, v16
	v_cvt_f32_f16_e32 v5, v12
	v_add_f32_e32 v12, v6, v14
	v_cvt_f16_f32_e32 v23, v10
	v_cvt_f32_f16_e32 v6, v13
	v_cvt_f32_f16_e32 v14, v16
	v_fmac_f32_e32 v17, v9, v9
	v_add_f32_e32 v13, v5, v15
	v_cvt_f16_f32_e32 v15, v9
	v_cvt_f16_f32_e32 v16, v11
	v_add_f32_e32 v14, v6, v14
	v_fmac_f32_e32 v17, v10, v10
	v_cvt_f16_f32_e32 v22, v12
	s_delay_alu instid0(VALU_DEP_3) | instskip(NEXT) | instid1(VALU_DEP_3)
	v_cvt_f16_f32_e32 v21, v14
	v_fmac_f32_e32 v17, v11, v11
	s_delay_alu instid0(VALU_DEP_1) | instskip(NEXT) | instid1(VALU_DEP_1)
	v_fmac_f32_e32 v17, v12, v12
	v_fmac_f32_e32 v17, v13, v13
	s_delay_alu instid0(VALU_DEP_1) | instskip(NEXT) | instid1(VALU_DEP_1)
	v_fmac_f32_e32 v17, v14, v14
	v_mov_b32_dpp v5, v17 quad_perm:[1,0,3,2] row_mask:0xf bank_mask:0xf
	s_delay_alu instid0(VALU_DEP_1) | instskip(SKIP_1) | instid1(VALU_DEP_2)
	v_add_f32_e32 v5, v17, v5
	v_cvt_f16_f32_e32 v17, v13
	v_mov_b32_dpp v6, v5 quad_perm:[2,3,0,1] row_mask:0xf bank_mask:0xf
	s_delay_alu instid0(VALU_DEP_1) | instskip(SKIP_1) | instid1(VALU_DEP_2)
	v_add_f32_e32 v5, v5, v6
	v_cvt_f16_f32_e32 v6, v8
	v_mov_b32_dpp v18, v5 row_xmask:7 row_mask:0xf bank_mask:0xf
	s_delay_alu instid0(VALU_DEP_1)
	v_add_f32_e32 v5, v5, v18
	v_pack_b32_f16 v18, v17, v21
	v_pack_b32_f16 v17, v16, v22
	;; [unrolled: 1-line block ×4, first 2 shown]
	v_mov_b32_dpp v6, v5 row_xmask:15 row_mask:0xf bank_mask:0xf
	buffer_store_b128 v[15:18], v19, s[28:31], 0 offen glc slc
	;;#ASMSTART
	s_nop 0
	;;#ASMEND
	s_and_saveexec_b32 s1, s0
	s_cbranch_execz .LBB1_3
; %bb.2:
	v_add_f32_e32 v5, v5, v6
	s_mov_b32 s6, 0x76543210
	v_lshrrev_b32_e32 v6, 3, v0
	s_delay_alu instid0(VALU_DEP_2) | instskip(NEXT) | instid1(VALU_DEP_1)
	v_permlanex16_b32 v15, v5, s6, 0xfedcba98 op_sel:[1,1]
	v_dual_add_f32 v5, v5, v15 :: v_dual_and_b32 v6, 0x7c, v6
	ds_store_b32 v6, v5 offset:8
.LBB1_3:
	s_or_b32 exec_lo, exec_lo, s1
	v_and_b32_e32 v5, 1, v0
	s_waitcnt vmcnt(0) lgkmcnt(0)
	s_waitcnt_vscnt null, 0x0
	s_barrier
	buffer_gl0_inv
	v_cvt_f32_i32_e32 v16, s13
	v_lshlrev_b32_e32 v6, 2, v5
	s_cmp_lg_u32 s18, 0
	ds_load_b32 v5, v6 offset:8
	s_waitcnt lgkmcnt(0)
	v_mov_b32_dpp v15, v5 quad_perm:[1,0,3,2] row_mask:0xf bank_mask:0xf
	s_delay_alu instid0(VALU_DEP_1) | instskip(NEXT) | instid1(VALU_DEP_1)
	v_add_f32_e32 v5, v5, v15
	v_div_scale_f32 v15, null, v16, v16, v5
	v_div_scale_f32 v19, vcc_lo, v5, v16, v5
	s_delay_alu instid0(VALU_DEP_2) | instskip(SKIP_2) | instid1(VALU_DEP_1)
	v_rcp_f32_e32 v17, v15
	s_waitcnt_depctr 0xfff
	v_fma_f32 v18, -v15, v17, 1.0
	v_fmac_f32_e32 v17, v18, v17
	s_delay_alu instid0(VALU_DEP_1) | instskip(NEXT) | instid1(VALU_DEP_1)
	v_mul_f32_e32 v18, v19, v17
	v_fma_f32 v20, -v15, v18, v19
	s_delay_alu instid0(VALU_DEP_1) | instskip(SKIP_2) | instid1(VALU_DEP_3)
	v_fmac_f32_e32 v18, v20, v17
	v_cvt_f32_f16_e32 v20, v4
	v_lshrrev_b32_e32 v4, 16, v4
	v_fma_f32 v15, -v15, v18, v19
	s_delay_alu instid0(VALU_DEP_1)
	v_div_fmas_f32 v15, v15, v17, v18
	v_cvt_f32_f16_e32 v17, v2
	v_lshrrev_b32_e32 v2, 16, v2
	v_cvt_f32_f16_e32 v18, v3
	v_lshrrev_b32_e32 v3, 16, v3
	v_div_fixup_f32 v5, v15, v16, v5
	s_delay_alu instid0(VALU_DEP_4) | instskip(NEXT) | instid1(VALU_DEP_3)
	v_cvt_f32_f16_e32 v2, v2
	v_cvt_f32_f16_e32 v3, v3
	s_delay_alu instid0(VALU_DEP_3) | instskip(NEXT) | instid1(VALU_DEP_1)
	v_cvt_f64_f32_e32 v[15:16], v5
	v_add_f64 v[15:16], v[15:16], s[24:25]
	s_delay_alu instid0(VALU_DEP_1) | instskip(SKIP_2) | instid1(VALU_DEP_1)
	v_cvt_f32_f64_e32 v5, v[15:16]
	v_cvt_f32_f16_e32 v16, v1
	v_lshrrev_b32_e32 v1, 16, v1
	v_cvt_f32_f16_e32 v1, v1
	s_delay_alu instid0(VALU_DEP_4) | instskip(SKIP_1) | instid1(VALU_DEP_2)
	v_mul_f32_e32 v15, 0x4b800000, v5
	v_cmp_gt_f32_e32 vcc_lo, 0x800000, v5
	v_cndmask_b32_e32 v5, v5, v15, vcc_lo
	s_delay_alu instid0(VALU_DEP_1) | instskip(SKIP_2) | instid1(VALU_DEP_1)
	v_rsq_f32_e32 v15, v5
	s_waitcnt_depctr 0xfff
	v_mul_f32_e32 v19, 0x45800000, v15
	v_cndmask_b32_e32 v15, v15, v19, vcc_lo
	v_lshlrev_b32_e32 v5, 3, v0
	v_cvt_f32_f16_e32 v19, v4
	s_delay_alu instid0(VALU_DEP_3) | instskip(SKIP_1) | instid1(VALU_DEP_2)
	v_mul_f32_e32 v4, v8, v15
	v_mul_f32_e32 v8, v9, v15
	v_dual_mul_f32 v22, v11, v15 :: v_dual_mul_f32 v11, v4, v16
	s_delay_alu instid0(VALU_DEP_1) | instskip(SKIP_1) | instid1(VALU_DEP_1)
	v_dual_mul_f32 v9, v8, v17 :: v_dual_mul_f32 v8, v22, v18
	v_dual_mov_b32 v21, 0x2edbe6ff :: v_dual_mul_f32 v10, v10, v15
	v_dual_mul_f32 v23, v12, v15 :: v_dual_mul_f32 v10, v10, v2
	v_mul_f32_e32 v13, v13, v15
	s_delay_alu instid0(VALU_DEP_1) | instskip(NEXT) | instid1(VALU_DEP_1)
	v_dual_mul_f32 v7, v7, v15 :: v_dual_mul_f32 v4, v13, v20
	v_dual_mul_f32 v12, v7, v1 :: v_dual_and_b32 v1, 0x7fffffff, v11
	s_delay_alu instid0(VALU_DEP_2) | instskip(NEXT) | instid1(VALU_DEP_2)
	v_and_b32_e32 v17, 0x7fffffff, v4
	v_dual_mul_f32 v7, v23, v3 :: v_dual_and_b32 v2, 0x7fffffff, v12
	;;#ASMSTART
	v_max3_f32 v1, v21, v1, v2

	;;#ASMEND
	s_delay_alu instid0(VALU_DEP_1) | instskip(SKIP_2) | instid1(VALU_DEP_2)
	v_and_b32_e32 v16, 0x7fffffff, v7
	v_dual_mul_f32 v14, v14, v15 :: v_dual_and_b32 v13, 0x7fffffff, v9
	v_and_b32_e32 v15, 0x7fffffff, v8
	v_dual_mul_f32 v3, v14, v19 :: v_dual_and_b32 v14, 0x7fffffff, v10
	;;#ASMSTART
	v_max3_f32 v1, v1, v13, v14

	;;#ASMEND
	;;#ASMSTART
	v_max3_f32 v1, v1, v15, v16

	;;#ASMEND
	s_delay_alu instid0(VALU_DEP_1)
	v_and_b32_e32 v18, 0x7fffffff, v3
	;;#ASMSTART
	v_max3_f32 v13, v1, v17, v18

	;;#ASMEND
	s_cbranch_scc0 .LBB1_10
; %bb.4:
	s_ashr_i32 s11, s18, 31
	s_delay_alu instid0(SALU_CYCLE_1) | instskip(NEXT) | instid1(SALU_CYCLE_1)
	s_lshr_b32 s1, s11, 29
	s_add_i32 s1, s18, s1
	s_delay_alu instid0(SALU_CYCLE_1) | instskip(NEXT) | instid1(SALU_CYCLE_1)
	s_ashr_i32 s1, s1, 3
	s_cmp_lt_i32 s1, 8
	s_cbranch_scc1 .LBB1_11
; %bb.5:
	s_cmp_lt_i32 s1, 16
	s_cbranch_scc1 .LBB1_12
; %bb.6:
	;; [unrolled: 3-line block ×3, first 2 shown]
	v_mov_b32_e32 v1, v13
	s_cmp_eq_u32 s1, 32
	s_cbranch_scc0 .LBB1_9
; %bb.8:
	s_delay_alu instid0(VALU_DEP_1) | instskip(SKIP_1) | instid1(VALU_DEP_1)
	v_mov_b32_dpp v1, v13 quad_perm:[1,0,3,2] row_mask:0xf bank_mask:0xf
	s_mov_b32 s6, 0x76543210
	v_cmp_gt_f32_e32 vcc_lo, v13, v1
	v_cndmask_b32_e32 v1, v1, v13, vcc_lo
	s_delay_alu instid0(VALU_DEP_1) | instskip(NEXT) | instid1(VALU_DEP_1)
	v_mov_b32_dpp v2, v1 quad_perm:[2,3,0,1] row_mask:0xf bank_mask:0xf
	v_cmp_gt_f32_e32 vcc_lo, v1, v2
	v_cndmask_b32_e32 v1, v2, v1, vcc_lo
	s_delay_alu instid0(VALU_DEP_1) | instskip(NEXT) | instid1(VALU_DEP_1)
	v_mov_b32_dpp v2, v1 row_xmask:7 row_mask:0xf bank_mask:0xf
	v_cmp_gt_f32_e32 vcc_lo, v1, v2
	v_cndmask_b32_e32 v1, v2, v1, vcc_lo
	s_delay_alu instid0(VALU_DEP_1) | instskip(NEXT) | instid1(VALU_DEP_1)
	v_mov_b32_dpp v2, v1 row_xmask:15 row_mask:0xf bank_mask:0xf
	v_cmp_gt_f32_e32 vcc_lo, v1, v2
	v_cndmask_b32_e32 v1, v2, v1, vcc_lo
	s_delay_alu instid0(VALU_DEP_1) | instskip(NEXT) | instid1(VALU_DEP_1)
	v_permlanex16_b32 v2, v1, s6, 0xfedcba98 op_sel:[1,1]
	v_cmp_gt_f32_e32 vcc_lo, v1, v2
	v_cndmask_b32_e32 v1, v2, v1, vcc_lo
.LBB1_9:
	s_mov_b32 s6, 0
	s_branch .LBB1_14
.LBB1_10:
	s_mov_b32 s1, 0
                                        ; implicit-def: $vgpr14
                                        ; implicit-def: $vgpr1_vgpr2
	s_and_b32 vcc_lo, exec_lo, s31
	s_cbranch_vccnz .LBB1_38
	s_branch .LBB1_41
.LBB1_11:
                                        ; implicit-def: $vgpr1
	s_branch .LBB1_21
.LBB1_12:
                                        ; implicit-def: $vgpr1
	s_branch .LBB1_18
.LBB1_13:
	s_mov_b32 s6, -1
                                        ; implicit-def: $vgpr1
.LBB1_14:
	s_delay_alu instid0(SALU_CYCLE_1)
	s_and_not1_b32 vcc_lo, exec_lo, s6
	s_cbranch_vccnz .LBB1_17
; %bb.15:
	v_mov_b32_e32 v1, v13
	s_cmp_eq_u32 s1, 16
	s_cbranch_scc0 .LBB1_17
; %bb.16:
	s_delay_alu instid0(VALU_DEP_1) | instskip(NEXT) | instid1(VALU_DEP_1)
	v_mov_b32_dpp v1, v13 quad_perm:[1,0,3,2] row_mask:0xf bank_mask:0xf
	v_cmp_gt_f32_e32 vcc_lo, v13, v1
	v_cndmask_b32_e32 v1, v1, v13, vcc_lo
	s_delay_alu instid0(VALU_DEP_1) | instskip(NEXT) | instid1(VALU_DEP_1)
	v_mov_b32_dpp v2, v1 quad_perm:[2,3,0,1] row_mask:0xf bank_mask:0xf
	v_cmp_gt_f32_e32 vcc_lo, v1, v2
	v_cndmask_b32_e32 v1, v2, v1, vcc_lo
	s_delay_alu instid0(VALU_DEP_1) | instskip(NEXT) | instid1(VALU_DEP_1)
	v_mov_b32_dpp v2, v1 row_half_mirror row_mask:0xf bank_mask:0xf
	v_cmp_gt_f32_e32 vcc_lo, v1, v2
	v_cndmask_b32_e32 v1, v2, v1, vcc_lo
	s_delay_alu instid0(VALU_DEP_1) | instskip(NEXT) | instid1(VALU_DEP_1)
	v_mov_b32_dpp v2, v1 row_mirror row_mask:0xf bank_mask:0xf
	v_cmp_gt_f32_e32 vcc_lo, v1, v2
	v_cndmask_b32_e32 v1, v2, v1, vcc_lo
.LBB1_17:
	s_cbranch_execnz .LBB1_20
.LBB1_18:
	v_mov_b32_e32 v1, v13
	s_cmp_eq_u32 s1, 8
	s_cbranch_scc0 .LBB1_20
; %bb.19:
	s_delay_alu instid0(VALU_DEP_1) | instskip(NEXT) | instid1(VALU_DEP_1)
	v_mov_b32_dpp v1, v13 quad_perm:[1,0,3,2] row_mask:0xf bank_mask:0xf
	v_cmp_gt_f32_e32 vcc_lo, v13, v1
	v_cndmask_b32_e32 v1, v1, v13, vcc_lo
	s_delay_alu instid0(VALU_DEP_1) | instskip(NEXT) | instid1(VALU_DEP_1)
	v_mov_b32_dpp v2, v1 quad_perm:[2,3,0,1] row_mask:0xf bank_mask:0xf
	v_cmp_gt_f32_e32 vcc_lo, v1, v2
	v_cndmask_b32_e32 v1, v2, v1, vcc_lo
	s_delay_alu instid0(VALU_DEP_1) | instskip(NEXT) | instid1(VALU_DEP_1)
	v_mov_b32_dpp v2, v1 row_half_mirror row_mask:0xf bank_mask:0xf
	v_cmp_gt_f32_e32 vcc_lo, v1, v2
	v_cndmask_b32_e32 v1, v2, v1, vcc_lo
.LBB1_20:
	s_cbranch_execnz .LBB1_28
.LBB1_21:
	s_cmp_lt_i32 s1, 4
	s_cbranch_scc1 .LBB1_24
; %bb.22:
	v_mov_b32_e32 v1, v13
	s_cmp_eq_u32 s1, 4
	s_cbranch_scc0 .LBB1_25
; %bb.23:
	s_delay_alu instid0(VALU_DEP_1) | instskip(NEXT) | instid1(VALU_DEP_1)
	v_mov_b32_dpp v1, v13 quad_perm:[1,0,3,2] row_mask:0xf bank_mask:0xf
	v_cmp_gt_f32_e32 vcc_lo, v13, v1
	v_cndmask_b32_e32 v1, v1, v13, vcc_lo
	s_delay_alu instid0(VALU_DEP_1) | instskip(NEXT) | instid1(VALU_DEP_1)
	v_mov_b32_dpp v2, v1 quad_perm:[2,3,0,1] row_mask:0xf bank_mask:0xf
	v_cmp_gt_f32_e32 vcc_lo, v1, v2
	v_cndmask_b32_e32 v1, v2, v1, vcc_lo
	s_cbranch_execz .LBB1_26
	s_branch .LBB1_28
.LBB1_24:
                                        ; implicit-def: $vgpr1
	s_branch .LBB1_26
.LBB1_25:
	s_cbranch_execnz .LBB1_28
.LBB1_26:
	v_mov_b32_e32 v1, v13
	s_cmp_lg_u32 s1, 2
	s_cbranch_scc1 .LBB1_28
; %bb.27:
	s_delay_alu instid0(VALU_DEP_1) | instskip(NEXT) | instid1(VALU_DEP_1)
	v_mov_b32_dpp v1, v13 quad_perm:[1,0,3,2] row_mask:0xf bank_mask:0xf
	v_cmp_gt_f32_e32 vcc_lo, v13, v1
	v_cndmask_b32_e32 v1, v1, v13, vcc_lo
.LBB1_28:
	v_cvt_f32_u32_e32 v2, s1
	s_sub_i32 s6, 0, s1
	s_mov_b32 s31, 0
	s_delay_alu instid0(VALU_DEP_1) | instskip(SKIP_2) | instid1(VALU_DEP_1)
	v_rcp_iflag_f32_e32 v2, v2
	s_waitcnt_depctr 0xfff
	v_mul_f32_e32 v2, 0x4f7ffffe, v2
	v_cvt_u32_f32_e32 v2, v2
	s_delay_alu instid0(VALU_DEP_1) | instskip(NEXT) | instid1(VALU_DEP_1)
	v_mul_lo_u32 v14, s6, v2
	v_mul_hi_u32 v14, v2, v14
	s_delay_alu instid0(VALU_DEP_1) | instskip(NEXT) | instid1(VALU_DEP_1)
	v_add_nc_u32_e32 v2, v2, v14
	v_mul_hi_u32 v2, v0, v2
	s_delay_alu instid0(VALU_DEP_1) | instskip(NEXT) | instid1(VALU_DEP_1)
	v_mul_lo_u32 v14, v2, s1
	v_sub_nc_u32_e32 v14, v0, v14
	s_delay_alu instid0(VALU_DEP_1) | instskip(SKIP_1) | instid1(VALU_DEP_2)
	v_subrev_nc_u32_e32 v16, s1, v14
	v_cmp_le_u32_e32 vcc_lo, s1, v14
	v_dual_cndmask_b32 v14, v14, v16 :: v_dual_add_nc_u32 v15, 1, v2
	s_delay_alu instid0(VALU_DEP_1) | instskip(NEXT) | instid1(VALU_DEP_2)
	v_cndmask_b32_e32 v2, v2, v15, vcc_lo
	v_cmp_le_u32_e32 vcc_lo, s1, v14
	s_delay_alu instid0(VALU_DEP_2) | instskip(NEXT) | instid1(VALU_DEP_1)
	v_dual_mul_f32 v14, 0x3b124925, v1 :: v_dual_add_nc_u32 v15, 1, v2
	v_cndmask_b32_e32 v15, v2, v15, vcc_lo
	v_cmp_gt_u32_e32 vcc_lo, s13, v5
	s_delay_alu instid0(VALU_DEP_2) | instskip(NEXT) | instid1(VALU_DEP_1)
	v_mul_lo_u32 v2, v15, s1
	v_sub_nc_u32_e32 v2, v0, v2
	s_delay_alu instid0(VALU_DEP_1) | instskip(NEXT) | instid1(VALU_DEP_1)
	v_cmp_eq_u32_e64 s1, 0, v2
                                        ; implicit-def: $vgpr1_vgpr2
	s_and_b32 s6, s1, vcc_lo
	s_mov_b32 s1, 0
	s_and_saveexec_b32 s7, s6
	s_delay_alu instid0(SALU_CYCLE_1)
	s_xor_b32 s16, exec_lo, s7
	s_cbranch_execz .LBB1_37
; %bb.29:
	s_bitcmp0_b32 s19, 0
	s_mov_b32 s10, 0
	s_cbranch_scc0 .LBB1_34
; %bb.30:
	s_ashr_i32 s1, s13, 31
	s_mul_hi_u32 s7, s13, s2
	s_mul_i32 s1, s1, s2
	s_mul_i32 s6, s13, s2
	s_add_i32 s7, s7, s1
	s_mov_b32 s19, s11
	s_delay_alu instid0(SALU_CYCLE_1) | instskip(NEXT) | instid1(SALU_CYCLE_1)
	s_or_b64 s[14:15], s[6:7], s[18:19]
	s_mov_b32 s11, s15
	s_delay_alu instid0(SALU_CYCLE_1)
	s_cmp_lg_u64 s[10:11], 0
	s_cbranch_scc0 .LBB1_45
; %bb.31:
	s_add_u32 s14, s18, s19
	s_mov_b32 s10, s19
	s_mov_b32 s11, s19
	s_addc_u32 s15, s19, s19
	s_delay_alu instid0(SALU_CYCLE_1) | instskip(NEXT) | instid1(SALU_CYCLE_1)
	s_xor_b64 s[14:15], s[14:15], s[10:11]
	v_cvt_f32_u32_e32 v1, s14
	v_cvt_f32_u32_e32 v2, s15
	s_sub_u32 s20, 0, s14
	s_subb_u32 s21, 0, s15
	s_delay_alu instid0(VALU_DEP_1) | instskip(NEXT) | instid1(VALU_DEP_1)
	v_fmamk_f32 v1, v2, 0x4f800000, v1
	v_rcp_f32_e32 v1, v1
	s_waitcnt_depctr 0xfff
	v_mul_f32_e32 v1, 0x5f7ffffc, v1
	s_delay_alu instid0(VALU_DEP_1) | instskip(NEXT) | instid1(VALU_DEP_1)
	v_mul_f32_e32 v2, 0x2f800000, v1
	v_trunc_f32_e32 v2, v2
	s_delay_alu instid0(VALU_DEP_1) | instskip(SKIP_1) | instid1(VALU_DEP_2)
	v_fmamk_f32 v1, v2, 0xcf800000, v1
	v_cvt_u32_f32_e32 v2, v2
	v_cvt_u32_f32_e32 v1, v1
	s_delay_alu instid0(VALU_DEP_2) | instskip(NEXT) | instid1(VALU_DEP_2)
	v_readfirstlane_b32 s1, v2
	v_readfirstlane_b32 s19, v1
	s_delay_alu instid0(VALU_DEP_2) | instskip(NEXT) | instid1(VALU_DEP_1)
	s_mul_i32 s22, s20, s1
	s_mul_hi_u32 s24, s20, s19
	s_mul_i32 s23, s21, s19
	s_add_i32 s22, s24, s22
	s_mul_i32 s25, s20, s19
	s_add_i32 s22, s22, s23
	s_mul_hi_u32 s24, s19, s25
	s_mul_hi_u32 s26, s1, s25
	s_mul_i32 s23, s1, s25
	s_mul_hi_u32 s25, s19, s22
	s_mul_i32 s19, s19, s22
	s_mul_hi_u32 s27, s1, s22
	s_add_u32 s19, s24, s19
	s_addc_u32 s24, 0, s25
	s_add_u32 s19, s19, s23
	s_mul_i32 s22, s1, s22
	s_addc_u32 s19, s24, s26
	s_addc_u32 s23, s27, 0
	s_add_u32 s19, s19, s22
	s_addc_u32 s22, 0, s23
	v_add_co_u32 v1, s19, v1, s19
	s_delay_alu instid0(VALU_DEP_1) | instskip(SKIP_1) | instid1(VALU_DEP_1)
	s_cmp_lg_u32 s19, 0
	s_addc_u32 s1, s1, s22
	v_readfirstlane_b32 s19, v1
	s_mul_i32 s22, s20, s1
	s_delay_alu instid0(VALU_DEP_1)
	s_mul_hi_u32 s23, s20, s19
	s_mul_i32 s21, s21, s19
	s_add_i32 s22, s23, s22
	s_mul_i32 s20, s20, s19
	s_add_i32 s22, s22, s21
	s_mul_hi_u32 s23, s1, s20
	s_mul_i32 s24, s1, s20
	s_mul_hi_u32 s20, s19, s20
	s_mul_hi_u32 s25, s19, s22
	s_mul_i32 s19, s19, s22
	s_mul_hi_u32 s21, s1, s22
	s_add_u32 s19, s20, s19
	s_addc_u32 s20, 0, s25
	s_add_u32 s19, s19, s24
	s_mul_i32 s22, s1, s22
	s_addc_u32 s19, s20, s23
	s_addc_u32 s20, s21, 0
	s_add_u32 s19, s19, s22
	s_addc_u32 s20, 0, s20
	v_add_co_u32 v1, s19, v1, s19
	s_delay_alu instid0(VALU_DEP_1) | instskip(SKIP_2) | instid1(SALU_CYCLE_1)
	s_cmp_lg_u32 s19, 0
	s_addc_u32 s1, s1, s20
	s_ashr_i32 s20, s7, 31
	s_add_u32 s22, s6, s20
	s_addc_u32 s23, s7, s20
	v_readfirstlane_b32 s7, v1
	s_mov_b32 s21, s20
	s_delay_alu instid0(SALU_CYCLE_1) | instskip(NEXT) | instid1(SALU_CYCLE_1)
	s_xor_b64 s[22:23], s[22:23], s[20:21]
	s_mul_i32 s24, s22, s1
	s_delay_alu instid0(VALU_DEP_1)
	s_mul_hi_u32 s25, s22, s7
	s_mul_hi_u32 s19, s22, s1
	;; [unrolled: 1-line block ×3, first 2 shown]
	s_mul_i32 s7, s23, s7
	s_add_u32 s24, s25, s24
	s_addc_u32 s19, 0, s19
	s_mul_hi_u32 s26, s23, s1
	s_add_u32 s7, s24, s7
	s_mul_i32 s1, s23, s1
	s_addc_u32 s7, s19, s27
	s_addc_u32 s19, s26, 0
	s_add_u32 s7, s7, s1
	s_addc_u32 s19, 0, s19
	s_mul_i32 s26, s14, s7
	s_mul_hi_u32 s1, s14, s7
	s_mul_i32 s25, s14, s19
	v_sub_co_u32 v1, s22, s22, s26
	s_mul_i32 s24, s15, s7
	s_add_i32 s1, s1, s25
	s_delay_alu instid0(SALU_CYCLE_1) | instskip(NEXT) | instid1(VALU_DEP_1)
	s_add_i32 s1, s1, s24
	v_sub_co_u32 v2, s25, v1, s14
	s_sub_i32 s24, s23, s1
	s_cmp_lg_u32 s22, 0
	s_subb_u32 s24, s24, s15
	s_cmp_lg_u32 s25, 0
	v_cmp_le_u32_e32 vcc_lo, s14, v2
	s_subb_u32 s24, s24, 0
	s_delay_alu instid0(SALU_CYCLE_1)
	s_cmp_ge_u32 s24, s15
	v_cndmask_b32_e64 v2, 0, -1, vcc_lo
	s_cselect_b32 s25, -1, 0
	s_cmp_eq_u32 s24, s15
	s_cselect_b32 vcc_lo, -1, 0
	s_add_u32 s24, s7, 1
	v_cndmask_b32_e32 v2, s25, v2, vcc_lo
	s_addc_u32 s25, s19, 0
	s_add_u32 s26, s7, 2
	s_addc_u32 s27, s19, 0
	s_cmp_lg_u32 s22, 0
	v_cmp_le_u32_e32 vcc_lo, s14, v1
	s_subb_u32 s1, s23, s1
	v_mov_b32_e32 v16, s26
	s_cmp_ge_u32 s1, s15
	v_cndmask_b32_e64 v1, 0, -1, vcc_lo
	s_cselect_b32 s14, -1, 0
	s_cmp_eq_u32 s1, s15
	v_cmp_ne_u32_e32 vcc_lo, 0, v2
	v_mov_b32_e32 v2, s27
	s_cselect_b32 s1, -1, 0
	s_xor_b64 s[10:11], s[20:21], s[10:11]
	v_cndmask_b32_e64 v1, s14, v1, s1
	v_cndmask_b32_e32 v16, s24, v16, vcc_lo
	v_cndmask_b32_e32 v2, s25, v2, vcc_lo
	s_delay_alu instid0(VALU_DEP_3) | instskip(NEXT) | instid1(VALU_DEP_2)
	v_cmp_ne_u32_e32 vcc_lo, 0, v1
	v_cndmask_b32_e32 v1, s19, v2, vcc_lo
	s_delay_alu instid0(VALU_DEP_4) | instskip(NEXT) | instid1(VALU_DEP_2)
	v_cndmask_b32_e32 v2, s7, v16, vcc_lo
	v_xor_b32_e32 v16, s11, v1
	s_delay_alu instid0(VALU_DEP_2) | instskip(NEXT) | instid1(VALU_DEP_1)
	v_xor_b32_e32 v2, s10, v2
	v_sub_co_u32 v1, vcc_lo, v2, s10
	s_delay_alu instid0(VALU_DEP_3)
	v_subrev_co_ci_u32_e32 v2, vcc_lo, s11, v16, vcc_lo
	s_cbranch_execnz .LBB1_33
.LBB1_32:
	v_cvt_f32_u32_e32 v1, s18
	s_sub_i32 s7, 0, s18
	s_delay_alu instid0(VALU_DEP_1) | instskip(SKIP_2) | instid1(VALU_DEP_1)
	v_rcp_iflag_f32_e32 v1, v1
	s_waitcnt_depctr 0xfff
	v_mul_f32_e32 v1, 0x4f7ffffe, v1
	v_cvt_u32_f32_e32 v1, v1
	s_delay_alu instid0(VALU_DEP_1) | instskip(NEXT) | instid1(VALU_DEP_1)
	v_readfirstlane_b32 s1, v1
	s_mul_i32 s7, s7, s1
	s_delay_alu instid0(SALU_CYCLE_1) | instskip(NEXT) | instid1(SALU_CYCLE_1)
	s_mul_hi_u32 s7, s1, s7
	s_add_i32 s1, s1, s7
	s_delay_alu instid0(SALU_CYCLE_1) | instskip(NEXT) | instid1(SALU_CYCLE_1)
	s_mul_hi_u32 s1, s6, s1
	s_mul_i32 s7, s1, s18
	s_delay_alu instid0(SALU_CYCLE_1)
	s_sub_i32 s6, s6, s7
	s_add_i32 s7, s1, 1
	s_sub_i32 s10, s6, s18
	s_cmp_ge_u32 s6, s18
	s_cselect_b32 s1, s7, s1
	s_cselect_b32 s6, s10, s6
	s_add_i32 s10, s1, 1
	s_cmp_ge_u32 s6, s18
	s_mov_b32 s7, 0
	s_cselect_b32 s6, s10, s1
	s_delay_alu instid0(SALU_CYCLE_1)
	v_dual_mov_b32 v1, s6 :: v_dual_mov_b32 v2, s7
.LBB1_33:
	s_delay_alu instid0(VALU_DEP_1) | instskip(NEXT) | instid1(VALU_DEP_2)
	v_add_co_u32 v1, vcc_lo, v1, v15
	v_add_co_ci_u32_e32 v2, vcc_lo, 0, v2, vcc_lo
	s_branch .LBB1_36
.LBB1_34:
                                        ; implicit-def: $vgpr1_vgpr2
	s_cbranch_execz .LBB1_36
; %bb.35:
	v_mul_lo_u32 v1, v15, s12
	s_delay_alu instid0(VALU_DEP_1) | instskip(SKIP_1) | instid1(VALU_DEP_2)
	v_ashrrev_i32_e32 v2, 31, v1
	v_add_co_u32 v1, vcc_lo, v1, s2
	v_add_co_ci_u32_e32 v2, vcc_lo, 0, v2, vcc_lo
.LBB1_36:
	s_mov_b32 s1, exec_lo
.LBB1_37:
	s_or_b32 exec_lo, exec_lo, s16
	s_delay_alu instid0(SALU_CYCLE_1)
	s_and_b32 vcc_lo, exec_lo, s31
	s_cbranch_vccz .LBB1_41
.LBB1_38:
	v_mov_b32_dpp v1, v13 quad_perm:[1,0,3,2] row_mask:0xf bank_mask:0xf
	s_delay_alu instid0(VALU_DEP_1) | instskip(SKIP_1) | instid1(VALU_DEP_1)
	v_cmp_gt_f32_e32 vcc_lo, v13, v1
	v_cndmask_b32_e32 v1, v1, v13, vcc_lo
	v_mov_b32_dpp v2, v1 quad_perm:[2,3,0,1] row_mask:0xf bank_mask:0xf
	s_delay_alu instid0(VALU_DEP_1) | instskip(SKIP_1) | instid1(VALU_DEP_1)
	v_cmp_gt_f32_e32 vcc_lo, v1, v2
	v_cndmask_b32_e32 v1, v2, v1, vcc_lo
	v_mov_b32_dpp v2, v1 row_xmask:7 row_mask:0xf bank_mask:0xf
	s_delay_alu instid0(VALU_DEP_1) | instskip(SKIP_1) | instid1(VALU_DEP_1)
	v_cmp_gt_f32_e32 vcc_lo, v1, v2
	v_cndmask_b32_e32 v1, v2, v1, vcc_lo
	v_mov_b32_dpp v2, v1 row_xmask:15 row_mask:0xf bank_mask:0xf
	s_delay_alu instid0(VALU_DEP_1)
	v_cmp_gt_f32_e32 vcc_lo, v1, v2
	s_and_saveexec_b32 s1, s0
	s_cbranch_execz .LBB1_40
; %bb.39:
	v_cndmask_b32_e32 v1, v2, v1, vcc_lo
	v_lshrrev_b32_e32 v2, 3, v0
	s_mov_b32 s0, 0x76543210
	s_delay_alu instid0(VALU_DEP_1) | instskip(NEXT) | instid1(VALU_DEP_3)
	v_and_b32_e32 v2, 0x7c, v2
	v_permlanex16_b32 v13, v1, s0, 0xfedcba98 op_sel:[1,1]
	s_delay_alu instid0(VALU_DEP_1)
	v_cmp_gt_f32_e32 vcc_lo, v1, v13
	v_cndmask_b32_e32 v1, v13, v1, vcc_lo
	ds_store_b32 v2, v1
.LBB1_40:
	s_or_b32 exec_lo, exec_lo, s1
	s_waitcnt lgkmcnt(0)
	s_barrier
	buffer_gl0_inv
	ds_load_b32 v1, v6
	v_cmp_eq_u32_e64 s1, 0, v0
	s_waitcnt lgkmcnt(0)
	v_mov_b32_dpp v2, v1 quad_perm:[1,0,3,2] row_mask:0xf bank_mask:0xf
	s_delay_alu instid0(VALU_DEP_1) | instskip(SKIP_1) | instid1(VALU_DEP_1)
	v_cmp_gt_f32_e32 vcc_lo, v1, v2
	v_cndmask_b32_e32 v1, v2, v1, vcc_lo
	v_dual_mul_f32 v14, 0x3b124925, v1 :: v_dual_mov_b32 v1, s2
	v_mov_b32_e32 v2, s3
.LBB1_41:
	s_and_saveexec_b32 s0, s1
	s_cbranch_execz .LBB1_43
; %bb.42:
	s_delay_alu instid0(VALU_DEP_1) | instskip(NEXT) | instid1(VALU_DEP_1)
	v_lshlrev_b64 v[0:1], 2, v[1:2]
	v_add_co_u32 v0, vcc_lo, s8, v0
	s_delay_alu instid0(VALU_DEP_2)
	v_add_co_ci_u32_e32 v1, vcc_lo, s9, v1, vcc_lo
	global_store_b32 v[0:1], v14, off
.LBB1_43:
	s_or_b32 exec_lo, exec_lo, s0
	;;#ASMSTART
	v_rcp_f32 v0, v14
	;;#ASMEND
	v_dual_mul_f32 v1, v11, v0 :: v_dual_mov_b32 v6, 0xc3e00000
	v_dual_mul_f32 v2, v12, v0 :: v_dual_mov_b32 v11, 0x43e00000
	v_mul_f32_e32 v9, v9, v0
	v_mul_f32_e32 v10, v10, v0
	;;#ASMSTART
	v_med3_f32 v1, v1, v6, v11
v_med3_f32 v2, v2, v6, v11
v_cvt_pk_fp8_f32 v12, v1, v2
	;;#ASMEND
	;;#ASMSTART
	v_med3_f32 v9, v9, v6, v11
v_med3_f32 v10, v10, v6, v11
v_cvt_pk_fp8_f32 v1, v9, v10
	;;#ASMEND
	v_perm_b32 v2, v1, v12, 0x5040100
	v_and_b32_e32 v1, 0xffffff00, v1
	s_add_i32 s0, s13, 3
	v_mul_f32_e32 v7, v7, v0
	s_ashr_i32 s7, s0, 31
	v_lshrrev_b32_e32 v9, 16, v2
	v_mul_f32_e32 v8, v8, v0
	s_ashr_i32 s1, s17, 31
	s_lshr_b32 s7, s7, 30
	s_mul_hi_u32 s3, s17, s2
	v_and_b32_e32 v9, 0xff, v9
	s_add_i32 s0, s0, s7
	s_mul_i32 s1, s1, s2
	s_mul_i32 s6, s17, s2
	s_and_b32 s2, s0, -4
	v_or_b32_e32 v1, v9, v1
	v_mul_f32_e32 v4, v4, v0
	v_mul_f32_e32 v0, v3, v0
	;;#ASMSTART
	v_med3_f32 v8, v8, v6, v11
v_med3_f32 v7, v7, v6, v11
v_cvt_pk_fp8_f32 v3, v8, v7
	;;#ASMEND
	s_add_i32 s3, s3, s1
	v_lshlrev_b32_e32 v1, 16, v1
	;;#ASMSTART
	v_med3_f32 v4, v4, v6, v11
v_med3_f32 v0, v0, v6, v11
v_cvt_pk_fp8_f32 v6, v4, v0
	;;#ASMEND
	v_lshlrev_b32_e32 v4, 16, v6
	s_add_u32 s0, s4, s6
	s_addc_u32 s1, s5, s3
	v_and_or_b32 v0, 0xffff, v2, v1
	s_and_b32 s1, s1, 0xffff
	v_and_or_b32 v1, 0xffff, v3, v4
	s_mov_b32 s3, -1
	buffer_store_b64 v[0:1], v5, s[0:3], 0 offen
	;;#ASMSTART
	s_nop 0
	;;#ASMEND
.LBB1_44:
	s_nop 0
	s_sendmsg sendmsg(MSG_DEALLOC_VGPRS)
	s_endpgm
.LBB1_45:
                                        ; implicit-def: $vgpr1_vgpr2
	s_branch .LBB1_32
	.section	.rodata,"a",@progbits
	.p2align	6, 0x0
	.amdhsa_kernel _ZN5aiter24add_rmsnorm_quant_kernelIDF16_DB8_Li64ELi8ELb1ELb1ELb1ELi1EEEvPT0_PT_PfS5_S5_S5_diiiiiiib
		.amdhsa_group_segment_fixed_size 16
		.amdhsa_private_segment_fixed_size 0
		.amdhsa_kernarg_size 88
		.amdhsa_user_sgpr_count 15
		.amdhsa_user_sgpr_dispatch_ptr 0
		.amdhsa_user_sgpr_queue_ptr 0
		.amdhsa_user_sgpr_kernarg_segment_ptr 1
		.amdhsa_user_sgpr_dispatch_id 0
		.amdhsa_user_sgpr_private_segment_size 0
		.amdhsa_wavefront_size32 1
		.amdhsa_uses_dynamic_stack 0
		.amdhsa_enable_private_segment 0
		.amdhsa_system_sgpr_workgroup_id_x 1
		.amdhsa_system_sgpr_workgroup_id_y 0
		.amdhsa_system_sgpr_workgroup_id_z 0
		.amdhsa_system_sgpr_workgroup_info 0
		.amdhsa_system_vgpr_workitem_id 0
		.amdhsa_next_free_vgpr 25
		.amdhsa_next_free_sgpr 40
		.amdhsa_reserve_vcc 1
		.amdhsa_float_round_mode_32 0
		.amdhsa_float_round_mode_16_64 0
		.amdhsa_float_denorm_mode_32 3
		.amdhsa_float_denorm_mode_16_64 3
		.amdhsa_dx10_clamp 1
		.amdhsa_ieee_mode 1
		.amdhsa_fp16_overflow 0
		.amdhsa_workgroup_processor_mode 1
		.amdhsa_memory_ordered 1
		.amdhsa_forward_progress 0
		.amdhsa_shared_vgpr_count 0
		.amdhsa_exception_fp_ieee_invalid_op 0
		.amdhsa_exception_fp_denorm_src 0
		.amdhsa_exception_fp_ieee_div_zero 0
		.amdhsa_exception_fp_ieee_overflow 0
		.amdhsa_exception_fp_ieee_underflow 0
		.amdhsa_exception_fp_ieee_inexact 0
		.amdhsa_exception_int_div_zero 0
	.end_amdhsa_kernel
	.section	.text._ZN5aiter24add_rmsnorm_quant_kernelIDF16_DB8_Li64ELi8ELb1ELb1ELb1ELi1EEEvPT0_PT_PfS5_S5_S5_diiiiiiib,"axG",@progbits,_ZN5aiter24add_rmsnorm_quant_kernelIDF16_DB8_Li64ELi8ELb1ELb1ELb1ELi1EEEvPT0_PT_PfS5_S5_S5_diiiiiiib,comdat
.Lfunc_end1:
	.size	_ZN5aiter24add_rmsnorm_quant_kernelIDF16_DB8_Li64ELi8ELb1ELb1ELb1ELi1EEEvPT0_PT_PfS5_S5_S5_diiiiiiib, .Lfunc_end1-_ZN5aiter24add_rmsnorm_quant_kernelIDF16_DB8_Li64ELi8ELb1ELb1ELb1ELi1EEEvPT0_PT_PfS5_S5_S5_diiiiiiib
                                        ; -- End function
	.section	.AMDGPU.csdata,"",@progbits
; Kernel info:
; codeLenInByte = 3556
; NumSgprs: 42
; NumVgprs: 25
; ScratchSize: 0
; MemoryBound: 0
; FloatMode: 240
; IeeeMode: 1
; LDSByteSize: 16 bytes/workgroup (compile time only)
; SGPRBlocks: 5
; VGPRBlocks: 3
; NumSGPRsForWavesPerEU: 42
; NumVGPRsForWavesPerEU: 25
; Occupancy: 16
; WaveLimiterHint : 0
; COMPUTE_PGM_RSRC2:SCRATCH_EN: 0
; COMPUTE_PGM_RSRC2:USER_SGPR: 15
; COMPUTE_PGM_RSRC2:TRAP_HANDLER: 0
; COMPUTE_PGM_RSRC2:TGID_X_EN: 1
; COMPUTE_PGM_RSRC2:TGID_Y_EN: 0
; COMPUTE_PGM_RSRC2:TGID_Z_EN: 0
; COMPUTE_PGM_RSRC2:TIDIG_COMP_CNT: 0
	.section	.text._ZN5aiter24add_rmsnorm_quant_kernelItDB8_Li64ELi8ELb1ELb1ELb1ELi1EEEvPT0_PT_PfS5_S5_S5_diiiiiiib,"axG",@progbits,_ZN5aiter24add_rmsnorm_quant_kernelItDB8_Li64ELi8ELb1ELb1ELb1ELi1EEEvPT0_PT_PfS5_S5_S5_diiiiiiib,comdat
	.protected	_ZN5aiter24add_rmsnorm_quant_kernelItDB8_Li64ELi8ELb1ELb1ELb1ELi1EEEvPT0_PT_PfS5_S5_S5_diiiiiiib ; -- Begin function _ZN5aiter24add_rmsnorm_quant_kernelItDB8_Li64ELi8ELb1ELb1ELb1ELi1EEEvPT0_PT_PfS5_S5_S5_diiiiiiib
	.globl	_ZN5aiter24add_rmsnorm_quant_kernelItDB8_Li64ELi8ELb1ELb1ELb1ELi1EEEvPT0_PT_PfS5_S5_S5_diiiiiiib
	.p2align	8
	.type	_ZN5aiter24add_rmsnorm_quant_kernelItDB8_Li64ELi8ELb1ELb1ELb1ELi1EEEvPT0_PT_PfS5_S5_S5_diiiiiiib,@function
_ZN5aiter24add_rmsnorm_quant_kernelItDB8_Li64ELi8ELb1ELb1ELb1ELi1EEEvPT0_PT_PfS5_S5_S5_diiiiiiib: ; @_ZN5aiter24add_rmsnorm_quant_kernelItDB8_Li64ELi8ELb1ELb1ELb1ELi1EEEvPT0_PT_PfS5_S5_S5_diiiiiiib
; %bb.0:
	s_mov_b32 s2, s15
	s_load_b256 s[12:19], s[0:1], 0x38
	s_mov_b32 s3, 0
	s_waitcnt lgkmcnt(0)
	s_ashr_i32 s5, s12, 31
	s_mov_b32 s4, s12
	s_delay_alu instid0(SALU_CYCLE_1) | instskip(NEXT) | instid1(VALU_DEP_1)
	v_cmp_ge_i64_e64 s4, s[2:3], s[4:5]
	s_and_b32 vcc_lo, exec_lo, s4
	s_cbranch_vccnz .LBB2_44
; %bb.1:
	s_clause 0x1
	s_load_b256 s[4:11], s[0:1], 0x0
	s_load_b256 s[20:27], s[0:1], 0x20
	s_ashr_i32 s1, s14, 31
	s_waitcnt lgkmcnt(0)
	s_mul_hi_u32 s26, s14, s2
	s_mul_i32 s1, s1, s2
	s_mul_i32 s0, s14, s2
	s_add_i32 s1, s26, s1
	s_mul_hi_u32 s26, s15, s2
	s_lshl_b64 s[0:1], s[0:1], 1
	v_lshlrev_b32_e32 v19, 4, v0
	s_mul_i32 s14, s15, s2
	s_mov_b32 s31, -1
	s_delay_alu instid0(SALU_CYCLE_1)
	s_mov_b32 s39, s31
	s_add_u32 s28, s10, s0
	s_addc_u32 s0, s11, s1
	s_add_i32 s1, s13, 1
	s_ashr_i32 s10, s15, 31
	s_lshr_b32 s11, s1, 31
	s_mul_i32 s10, s10, s2
	s_add_i32 s1, s1, s11
	s_and_b32 s29, s0, 0xffff
	s_lshl_b32 s0, s1, 1
	s_add_i32 s15, s26, s10
	s_and_b32 s30, s0, -4
	s_lshl_b64 s[0:1], s[14:15], 1
	s_and_b32 s37, s23, 0xffff
	buffer_load_b128 v[5:8], v19, s[28:31], 0 offen glc slc
	s_add_u32 s28, s20, s0
	s_addc_u32 s0, s21, s1
	s_mov_b32 s36, s22
	s_and_b32 s29, s0, 0xffff
	s_mov_b32 s38, s30
	buffer_load_b128 v[9:12], v19, s[28:31], 0 offen glc slc
	s_ashr_i32 s0, s16, 31
	s_mul_hi_u32 s1, s16, s2
	s_mul_i32 s10, s0, s2
	s_mul_i32 s0, s16, s2
	s_add_i32 s1, s1, s10
	s_delay_alu instid0(SALU_CYCLE_1) | instskip(NEXT) | instid1(SALU_CYCLE_1)
	s_lshl_b64 s[0:1], s[0:1], 1
	s_add_u32 s28, s6, s0
	s_addc_u32 s1, s7, s1
	s_delay_alu instid0(SALU_CYCLE_1)
	s_and_b32 s29, s1, 0xffff
	s_waitcnt vmcnt(1)
	v_lshrrev_b32_e32 v15, 16, v7
	v_and_b32_e32 v17, 0xffff, v7
	v_lshrrev_b32_e32 v14, 16, v6
	v_lshrrev_b32_e32 v18, 16, v8
	s_waitcnt vmcnt(0)
	v_and_b32_e32 v7, 0xffff, v9
	v_lshrrev_b32_e32 v16, 16, v9
	s_delay_alu instid0(VALU_DEP_2) | instskip(SKIP_2) | instid1(VALU_DEP_4)
	v_cvt_f32_u32_e32 v20, v7
	v_and_b32_e32 v13, 0xffff, v5
	v_lshrrev_b32_e32 v5, 16, v5
	v_cvt_f32_u32_e32 v9, v16
	s_delay_alu instid0(VALU_DEP_2) | instskip(NEXT) | instid1(VALU_DEP_1)
	v_cvt_f32_u32_e32 v5, v5
	v_dual_add_f32 v7, v5, v9 :: v_dual_and_b32 v6, 0xffff, v6
	s_delay_alu instid0(VALU_DEP_1) | instskip(SKIP_3) | instid1(VALU_DEP_2)
	v_cvt_f32_u32_e32 v5, v6
	v_and_b32_e32 v16, 0xffff, v8
	v_cvt_f32_u32_e32 v8, v13
	v_lshrrev_b32_e32 v6, 16, v10
	v_add_f32_e32 v8, v8, v20
	v_mul_f32_e32 v20, v7, v7
	buffer_load_b128 v[1:4], v19, s[36:39], 0 offen
	v_cvt_f32_u32_e32 v6, v6
	v_dual_fmac_f32 v20, v8, v8 :: v_dual_and_b32 v13, 0xffff, v10
	v_cvt_f32_u32_e32 v10, v14
	s_delay_alu instid0(VALU_DEP_2) | instskip(NEXT) | instid1(VALU_DEP_2)
	v_cvt_f32_u32_e32 v9, v13
	v_add_f32_e32 v10, v10, v6
	v_cvt_f32_u32_e32 v6, v15
	s_delay_alu instid0(VALU_DEP_3) | instskip(SKIP_1) | instid1(VALU_DEP_2)
	v_add_f32_e32 v9, v5, v9
	v_cvt_f32_u32_e32 v5, v17
	v_dual_fmac_f32 v20, v9, v9 :: v_dual_and_b32 v13, 0xffff, v11
	v_lshrrev_b32_e32 v11, 16, v11
	s_delay_alu instid0(VALU_DEP_2) | instskip(NEXT) | instid1(VALU_DEP_3)
	v_fmac_f32_e32 v20, v10, v10
	v_cvt_f32_u32_e32 v13, v13
	v_and_b32_e32 v14, 0xffff, v12
	s_delay_alu instid0(VALU_DEP_4) | instskip(NEXT) | instid1(VALU_DEP_3)
	v_cvt_f32_u32_e32 v15, v11
	v_add_f32_e32 v11, v5, v13
	v_cvt_f32_u32_e32 v5, v16
	v_lshrrev_b32_e32 v13, 16, v12
	v_cvt_f32_u32_e32 v14, v14
	v_add_f32_e32 v12, v6, v15
	v_fmac_f32_e32 v20, v11, v11
	v_cvt_f32_u32_e32 v6, v18
	v_cvt_f32_u32_e32 v15, v13
	v_add_f32_e32 v13, v5, v14
	v_perm_b32 v17, v12, v11, 0x7060302
	v_fmac_f32_e32 v20, v12, v12
	v_perm_b32 v16, v10, v9, 0x7060302
	v_add_f32_e32 v14, v6, v15
	v_perm_b32 v15, v7, v8, 0x7060302
	s_delay_alu instid0(VALU_DEP_4) | instskip(NEXT) | instid1(VALU_DEP_1)
	v_fmac_f32_e32 v20, v13, v13
	v_fmac_f32_e32 v20, v14, v14
	s_delay_alu instid0(VALU_DEP_1) | instskip(NEXT) | instid1(VALU_DEP_1)
	v_mov_b32_dpp v5, v20 quad_perm:[1,0,3,2] row_mask:0xf bank_mask:0xf
	v_dual_add_f32 v5, v20, v5 :: v_dual_and_b32 v20, 31, v0
	v_perm_b32 v18, v14, v13, 0x7060302
	s_delay_alu instid0(VALU_DEP_2) | instskip(NEXT) | instid1(VALU_DEP_3)
	v_mov_b32_dpp v6, v5 quad_perm:[2,3,0,1] row_mask:0xf bank_mask:0xf
	v_cmp_eq_u32_e64 s0, 31, v20
	buffer_store_b128 v[15:18], v19, s[28:31], 0 offen glc slc
	;;#ASMSTART
	s_nop 0
	;;#ASMEND
	v_add_f32_e32 v5, v5, v6
	s_delay_alu instid0(VALU_DEP_1) | instskip(NEXT) | instid1(VALU_DEP_1)
	v_mov_b32_dpp v6, v5 row_xmask:7 row_mask:0xf bank_mask:0xf
	v_add_f32_e32 v5, v5, v6
	s_delay_alu instid0(VALU_DEP_1)
	v_mov_b32_dpp v6, v5 row_xmask:15 row_mask:0xf bank_mask:0xf
	s_and_saveexec_b32 s1, s0
	s_cbranch_execz .LBB2_3
; %bb.2:
	s_delay_alu instid0(VALU_DEP_1) | instskip(SKIP_2) | instid1(VALU_DEP_2)
	v_add_f32_e32 v5, v5, v6
	s_mov_b32 s6, 0x76543210
	v_lshrrev_b32_e32 v6, 3, v0
	v_permlanex16_b32 v15, v5, s6, 0xfedcba98 op_sel:[1,1]
	s_delay_alu instid0(VALU_DEP_1)
	v_dual_add_f32 v5, v5, v15 :: v_dual_and_b32 v6, 0x7c, v6
	ds_store_b32 v6, v5 offset:8
.LBB2_3:
	s_or_b32 exec_lo, exec_lo, s1
	v_and_b32_e32 v5, 1, v0
	s_waitcnt vmcnt(0) lgkmcnt(0)
	s_waitcnt_vscnt null, 0x0
	s_barrier
	buffer_gl0_inv
	v_cvt_f32_i32_e32 v16, s13
	v_lshlrev_b32_e32 v6, 2, v5
	s_cmp_lg_u32 s18, 0
	ds_load_b32 v5, v6 offset:8
	s_waitcnt lgkmcnt(0)
	v_mov_b32_dpp v15, v5 quad_perm:[1,0,3,2] row_mask:0xf bank_mask:0xf
	s_delay_alu instid0(VALU_DEP_1) | instskip(NEXT) | instid1(VALU_DEP_1)
	v_add_f32_e32 v5, v5, v15
	v_div_scale_f32 v15, null, v16, v16, v5
	v_div_scale_f32 v19, vcc_lo, v5, v16, v5
	s_delay_alu instid0(VALU_DEP_2) | instskip(SKIP_2) | instid1(VALU_DEP_1)
	v_rcp_f32_e32 v17, v15
	s_waitcnt_depctr 0xfff
	v_fma_f32 v18, -v15, v17, 1.0
	v_fmac_f32_e32 v17, v18, v17
	s_delay_alu instid0(VALU_DEP_1) | instskip(NEXT) | instid1(VALU_DEP_1)
	v_mul_f32_e32 v18, v19, v17
	v_fma_f32 v20, -v15, v18, v19
	s_delay_alu instid0(VALU_DEP_1) | instskip(SKIP_1) | instid1(VALU_DEP_2)
	v_fmac_f32_e32 v18, v20, v17
	v_mov_b32_e32 v20, 0x2edbe6ff
	v_fma_f32 v15, -v15, v18, v19
	s_delay_alu instid0(VALU_DEP_1) | instskip(SKIP_2) | instid1(VALU_DEP_3)
	v_div_fmas_f32 v15, v15, v17, v18
	v_and_b32_e32 v18, 0xffff, v3
	v_lshrrev_b32_e32 v3, 16, v3
	v_div_fixup_f32 v5, v15, v16, v5
	s_delay_alu instid0(VALU_DEP_3) | instskip(NEXT) | instid1(VALU_DEP_3)
	v_cvt_f32_u32_e32 v18, v18
	v_cvt_f32_u32_e32 v3, v3
	s_delay_alu instid0(VALU_DEP_3) | instskip(NEXT) | instid1(VALU_DEP_1)
	v_cvt_f64_f32_e32 v[15:16], v5
	v_add_f64 v[15:16], v[15:16], s[24:25]
	s_delay_alu instid0(VALU_DEP_1) | instskip(SKIP_2) | instid1(VALU_DEP_2)
	v_cvt_f32_f64_e32 v5, v[15:16]
	v_and_b32_e32 v16, 0xffff, v1
	v_lshrrev_b32_e32 v1, 16, v1
	v_cvt_f32_u32_e32 v16, v16
	s_delay_alu instid0(VALU_DEP_2) | instskip(SKIP_2) | instid1(VALU_DEP_2)
	v_cvt_f32_u32_e32 v1, v1
	v_mul_f32_e32 v15, 0x4b800000, v5
	v_cmp_gt_f32_e32 vcc_lo, 0x800000, v5
	v_cndmask_b32_e32 v15, v5, v15, vcc_lo
	v_lshlrev_b32_e32 v5, 3, v0
	s_delay_alu instid0(VALU_DEP_2) | instskip(SKIP_2) | instid1(VALU_DEP_1)
	v_rsq_f32_e32 v15, v15
	s_waitcnt_depctr 0xfff
	v_mul_f32_e32 v21, 0x45800000, v15
	v_cndmask_b32_e32 v15, v15, v21, vcc_lo
	v_and_b32_e32 v17, 0xffff, v2
	v_lshrrev_b32_e32 v2, 16, v2
	s_delay_alu instid0(VALU_DEP_3) | instskip(NEXT) | instid1(VALU_DEP_2)
	v_mul_f32_e32 v10, v15, v10
	v_cvt_f32_u32_e32 v2, v2
	s_delay_alu instid0(VALU_DEP_1) | instskip(SKIP_2) | instid1(VALU_DEP_2)
	v_dual_mul_f32 v10, v10, v2 :: v_dual_and_b32 v19, 0xffff, v4
	v_lshrrev_b32_e32 v4, 16, v4
	v_mul_f32_e32 v7, v7, v15
	v_cvt_f32_u32_e32 v21, v4
	v_mul_f32_e32 v4, v8, v15
	v_mul_f32_e32 v8, v15, v9
	v_cvt_f32_u32_e32 v17, v17
	v_cvt_f32_u32_e32 v19, v19
	v_mul_f32_e32 v22, v15, v11
	v_mul_f32_e32 v23, v15, v12
	;; [unrolled: 1-line block ×3, first 2 shown]
	v_dual_mul_f32 v13, v15, v13 :: v_dual_mul_f32 v12, v4, v16
	v_dual_mul_f32 v14, v15, v14 :: v_dual_mul_f32 v9, v8, v17
	s_delay_alu instid0(VALU_DEP_4) | instskip(NEXT) | instid1(VALU_DEP_3)
	v_dual_mul_f32 v8, v22, v18 :: v_dual_mul_f32 v7, v23, v3
	v_and_b32_e32 v1, 0x7fffffff, v12
	s_delay_alu instid0(VALU_DEP_3)
	v_dual_mul_f32 v3, v14, v21 :: v_dual_and_b32 v2, 0x7fffffff, v11
	v_mul_f32_e32 v4, v13, v19
	;;#ASMSTART
	v_max3_f32 v1, v20, v1, v2

	;;#ASMEND
	v_and_b32_e32 v13, 0x7fffffff, v9
	v_and_b32_e32 v14, 0x7fffffff, v10
	;; [unrolled: 1-line block ×3, first 2 shown]
	;;#ASMSTART
	v_max3_f32 v1, v1, v13, v14

	;;#ASMEND
	v_and_b32_e32 v15, 0x7fffffff, v8
	v_and_b32_e32 v17, 0x7fffffff, v4
	;; [unrolled: 1-line block ×3, first 2 shown]
	;;#ASMSTART
	v_max3_f32 v1, v1, v15, v16

	;;#ASMEND
	;;#ASMSTART
	v_max3_f32 v13, v1, v17, v18

	;;#ASMEND
	s_cbranch_scc0 .LBB2_10
; %bb.4:
	s_ashr_i32 s11, s18, 31
	s_delay_alu instid0(SALU_CYCLE_1) | instskip(NEXT) | instid1(SALU_CYCLE_1)
	s_lshr_b32 s1, s11, 29
	s_add_i32 s1, s18, s1
	s_delay_alu instid0(SALU_CYCLE_1) | instskip(NEXT) | instid1(SALU_CYCLE_1)
	s_ashr_i32 s1, s1, 3
	s_cmp_lt_i32 s1, 8
	s_cbranch_scc1 .LBB2_11
; %bb.5:
	s_cmp_lt_i32 s1, 16
	s_cbranch_scc1 .LBB2_12
; %bb.6:
	;; [unrolled: 3-line block ×3, first 2 shown]
	v_mov_b32_e32 v1, v13
	s_cmp_eq_u32 s1, 32
	s_cbranch_scc0 .LBB2_9
; %bb.8:
	s_delay_alu instid0(VALU_DEP_1) | instskip(SKIP_1) | instid1(VALU_DEP_1)
	v_mov_b32_dpp v1, v13 quad_perm:[1,0,3,2] row_mask:0xf bank_mask:0xf
	s_mov_b32 s6, 0x76543210
	v_cmp_gt_f32_e32 vcc_lo, v13, v1
	v_cndmask_b32_e32 v1, v1, v13, vcc_lo
	s_delay_alu instid0(VALU_DEP_1) | instskip(NEXT) | instid1(VALU_DEP_1)
	v_mov_b32_dpp v2, v1 quad_perm:[2,3,0,1] row_mask:0xf bank_mask:0xf
	v_cmp_gt_f32_e32 vcc_lo, v1, v2
	v_cndmask_b32_e32 v1, v2, v1, vcc_lo
	s_delay_alu instid0(VALU_DEP_1) | instskip(NEXT) | instid1(VALU_DEP_1)
	v_mov_b32_dpp v2, v1 row_xmask:7 row_mask:0xf bank_mask:0xf
	v_cmp_gt_f32_e32 vcc_lo, v1, v2
	v_cndmask_b32_e32 v1, v2, v1, vcc_lo
	s_delay_alu instid0(VALU_DEP_1) | instskip(NEXT) | instid1(VALU_DEP_1)
	v_mov_b32_dpp v2, v1 row_xmask:15 row_mask:0xf bank_mask:0xf
	v_cmp_gt_f32_e32 vcc_lo, v1, v2
	v_cndmask_b32_e32 v1, v2, v1, vcc_lo
	s_delay_alu instid0(VALU_DEP_1) | instskip(NEXT) | instid1(VALU_DEP_1)
	v_permlanex16_b32 v2, v1, s6, 0xfedcba98 op_sel:[1,1]
	v_cmp_gt_f32_e32 vcc_lo, v1, v2
	v_cndmask_b32_e32 v1, v2, v1, vcc_lo
.LBB2_9:
	s_mov_b32 s6, 0
	s_branch .LBB2_14
.LBB2_10:
	s_mov_b32 s1, 0
                                        ; implicit-def: $vgpr14
                                        ; implicit-def: $vgpr1_vgpr2
	s_and_b32 vcc_lo, exec_lo, s31
	s_cbranch_vccnz .LBB2_38
	s_branch .LBB2_41
.LBB2_11:
                                        ; implicit-def: $vgpr1
	s_branch .LBB2_21
.LBB2_12:
                                        ; implicit-def: $vgpr1
	s_branch .LBB2_18
.LBB2_13:
	s_mov_b32 s6, -1
                                        ; implicit-def: $vgpr1
.LBB2_14:
	s_delay_alu instid0(SALU_CYCLE_1)
	s_and_not1_b32 vcc_lo, exec_lo, s6
	s_cbranch_vccnz .LBB2_17
; %bb.15:
	v_mov_b32_e32 v1, v13
	s_cmp_eq_u32 s1, 16
	s_cbranch_scc0 .LBB2_17
; %bb.16:
	s_delay_alu instid0(VALU_DEP_1) | instskip(NEXT) | instid1(VALU_DEP_1)
	v_mov_b32_dpp v1, v13 quad_perm:[1,0,3,2] row_mask:0xf bank_mask:0xf
	v_cmp_gt_f32_e32 vcc_lo, v13, v1
	v_cndmask_b32_e32 v1, v1, v13, vcc_lo
	s_delay_alu instid0(VALU_DEP_1) | instskip(NEXT) | instid1(VALU_DEP_1)
	v_mov_b32_dpp v2, v1 quad_perm:[2,3,0,1] row_mask:0xf bank_mask:0xf
	v_cmp_gt_f32_e32 vcc_lo, v1, v2
	v_cndmask_b32_e32 v1, v2, v1, vcc_lo
	s_delay_alu instid0(VALU_DEP_1) | instskip(NEXT) | instid1(VALU_DEP_1)
	v_mov_b32_dpp v2, v1 row_half_mirror row_mask:0xf bank_mask:0xf
	v_cmp_gt_f32_e32 vcc_lo, v1, v2
	v_cndmask_b32_e32 v1, v2, v1, vcc_lo
	s_delay_alu instid0(VALU_DEP_1) | instskip(NEXT) | instid1(VALU_DEP_1)
	v_mov_b32_dpp v2, v1 row_mirror row_mask:0xf bank_mask:0xf
	v_cmp_gt_f32_e32 vcc_lo, v1, v2
	v_cndmask_b32_e32 v1, v2, v1, vcc_lo
.LBB2_17:
	s_cbranch_execnz .LBB2_20
.LBB2_18:
	v_mov_b32_e32 v1, v13
	s_cmp_eq_u32 s1, 8
	s_cbranch_scc0 .LBB2_20
; %bb.19:
	s_delay_alu instid0(VALU_DEP_1) | instskip(NEXT) | instid1(VALU_DEP_1)
	v_mov_b32_dpp v1, v13 quad_perm:[1,0,3,2] row_mask:0xf bank_mask:0xf
	v_cmp_gt_f32_e32 vcc_lo, v13, v1
	v_cndmask_b32_e32 v1, v1, v13, vcc_lo
	s_delay_alu instid0(VALU_DEP_1) | instskip(NEXT) | instid1(VALU_DEP_1)
	v_mov_b32_dpp v2, v1 quad_perm:[2,3,0,1] row_mask:0xf bank_mask:0xf
	v_cmp_gt_f32_e32 vcc_lo, v1, v2
	v_cndmask_b32_e32 v1, v2, v1, vcc_lo
	s_delay_alu instid0(VALU_DEP_1) | instskip(NEXT) | instid1(VALU_DEP_1)
	v_mov_b32_dpp v2, v1 row_half_mirror row_mask:0xf bank_mask:0xf
	v_cmp_gt_f32_e32 vcc_lo, v1, v2
	v_cndmask_b32_e32 v1, v2, v1, vcc_lo
.LBB2_20:
	s_cbranch_execnz .LBB2_28
.LBB2_21:
	s_cmp_lt_i32 s1, 4
	s_cbranch_scc1 .LBB2_24
; %bb.22:
	v_mov_b32_e32 v1, v13
	s_cmp_eq_u32 s1, 4
	s_cbranch_scc0 .LBB2_25
; %bb.23:
	s_delay_alu instid0(VALU_DEP_1) | instskip(NEXT) | instid1(VALU_DEP_1)
	v_mov_b32_dpp v1, v13 quad_perm:[1,0,3,2] row_mask:0xf bank_mask:0xf
	v_cmp_gt_f32_e32 vcc_lo, v13, v1
	v_cndmask_b32_e32 v1, v1, v13, vcc_lo
	s_delay_alu instid0(VALU_DEP_1) | instskip(NEXT) | instid1(VALU_DEP_1)
	v_mov_b32_dpp v2, v1 quad_perm:[2,3,0,1] row_mask:0xf bank_mask:0xf
	v_cmp_gt_f32_e32 vcc_lo, v1, v2
	v_cndmask_b32_e32 v1, v2, v1, vcc_lo
	s_cbranch_execz .LBB2_26
	s_branch .LBB2_28
.LBB2_24:
                                        ; implicit-def: $vgpr1
	s_branch .LBB2_26
.LBB2_25:
	s_cbranch_execnz .LBB2_28
.LBB2_26:
	v_mov_b32_e32 v1, v13
	s_cmp_lg_u32 s1, 2
	s_cbranch_scc1 .LBB2_28
; %bb.27:
	s_delay_alu instid0(VALU_DEP_1) | instskip(NEXT) | instid1(VALU_DEP_1)
	v_mov_b32_dpp v1, v13 quad_perm:[1,0,3,2] row_mask:0xf bank_mask:0xf
	v_cmp_gt_f32_e32 vcc_lo, v13, v1
	v_cndmask_b32_e32 v1, v1, v13, vcc_lo
.LBB2_28:
	v_cvt_f32_u32_e32 v2, s1
	s_sub_i32 s6, 0, s1
	s_mov_b32 s31, 0
	s_delay_alu instid0(VALU_DEP_1) | instskip(SKIP_2) | instid1(VALU_DEP_1)
	v_rcp_iflag_f32_e32 v2, v2
	s_waitcnt_depctr 0xfff
	v_mul_f32_e32 v2, 0x4f7ffffe, v2
	v_cvt_u32_f32_e32 v2, v2
	s_delay_alu instid0(VALU_DEP_1) | instskip(NEXT) | instid1(VALU_DEP_1)
	v_mul_lo_u32 v14, s6, v2
	v_mul_hi_u32 v14, v2, v14
	s_delay_alu instid0(VALU_DEP_1) | instskip(NEXT) | instid1(VALU_DEP_1)
	v_add_nc_u32_e32 v2, v2, v14
	v_mul_hi_u32 v2, v0, v2
	s_delay_alu instid0(VALU_DEP_1) | instskip(NEXT) | instid1(VALU_DEP_1)
	v_mul_lo_u32 v14, v2, s1
	v_sub_nc_u32_e32 v14, v0, v14
	s_delay_alu instid0(VALU_DEP_1) | instskip(SKIP_1) | instid1(VALU_DEP_2)
	v_subrev_nc_u32_e32 v16, s1, v14
	v_cmp_le_u32_e32 vcc_lo, s1, v14
	v_dual_cndmask_b32 v14, v14, v16 :: v_dual_add_nc_u32 v15, 1, v2
	s_delay_alu instid0(VALU_DEP_1) | instskip(NEXT) | instid1(VALU_DEP_2)
	v_cndmask_b32_e32 v2, v2, v15, vcc_lo
	v_cmp_le_u32_e32 vcc_lo, s1, v14
	s_delay_alu instid0(VALU_DEP_2) | instskip(NEXT) | instid1(VALU_DEP_1)
	v_dual_mul_f32 v14, 0x3b124925, v1 :: v_dual_add_nc_u32 v15, 1, v2
	v_cndmask_b32_e32 v15, v2, v15, vcc_lo
	v_cmp_gt_u32_e32 vcc_lo, s13, v5
	s_delay_alu instid0(VALU_DEP_2) | instskip(NEXT) | instid1(VALU_DEP_1)
	v_mul_lo_u32 v2, v15, s1
	v_sub_nc_u32_e32 v2, v0, v2
	s_delay_alu instid0(VALU_DEP_1) | instskip(NEXT) | instid1(VALU_DEP_1)
	v_cmp_eq_u32_e64 s1, 0, v2
                                        ; implicit-def: $vgpr1_vgpr2
	s_and_b32 s6, s1, vcc_lo
	s_mov_b32 s1, 0
	s_and_saveexec_b32 s7, s6
	s_delay_alu instid0(SALU_CYCLE_1)
	s_xor_b32 s16, exec_lo, s7
	s_cbranch_execz .LBB2_37
; %bb.29:
	s_bitcmp0_b32 s19, 0
	s_mov_b32 s10, 0
	s_cbranch_scc0 .LBB2_34
; %bb.30:
	s_ashr_i32 s1, s13, 31
	s_mul_hi_u32 s7, s13, s2
	s_mul_i32 s1, s1, s2
	s_mul_i32 s6, s13, s2
	s_add_i32 s7, s7, s1
	s_mov_b32 s19, s11
	s_delay_alu instid0(SALU_CYCLE_1) | instskip(NEXT) | instid1(SALU_CYCLE_1)
	s_or_b64 s[14:15], s[6:7], s[18:19]
	s_mov_b32 s11, s15
	s_delay_alu instid0(SALU_CYCLE_1)
	s_cmp_lg_u64 s[10:11], 0
	s_cbranch_scc0 .LBB2_45
; %bb.31:
	s_add_u32 s14, s18, s19
	s_mov_b32 s10, s19
	s_mov_b32 s11, s19
	s_addc_u32 s15, s19, s19
	s_delay_alu instid0(SALU_CYCLE_1) | instskip(NEXT) | instid1(SALU_CYCLE_1)
	s_xor_b64 s[14:15], s[14:15], s[10:11]
	v_cvt_f32_u32_e32 v1, s14
	v_cvt_f32_u32_e32 v2, s15
	s_sub_u32 s20, 0, s14
	s_subb_u32 s21, 0, s15
	s_delay_alu instid0(VALU_DEP_1) | instskip(NEXT) | instid1(VALU_DEP_1)
	v_fmamk_f32 v1, v2, 0x4f800000, v1
	v_rcp_f32_e32 v1, v1
	s_waitcnt_depctr 0xfff
	v_mul_f32_e32 v1, 0x5f7ffffc, v1
	s_delay_alu instid0(VALU_DEP_1) | instskip(NEXT) | instid1(VALU_DEP_1)
	v_mul_f32_e32 v2, 0x2f800000, v1
	v_trunc_f32_e32 v2, v2
	s_delay_alu instid0(VALU_DEP_1) | instskip(SKIP_1) | instid1(VALU_DEP_2)
	v_fmamk_f32 v1, v2, 0xcf800000, v1
	v_cvt_u32_f32_e32 v2, v2
	v_cvt_u32_f32_e32 v1, v1
	s_delay_alu instid0(VALU_DEP_2) | instskip(NEXT) | instid1(VALU_DEP_2)
	v_readfirstlane_b32 s1, v2
	v_readfirstlane_b32 s19, v1
	s_delay_alu instid0(VALU_DEP_2) | instskip(NEXT) | instid1(VALU_DEP_1)
	s_mul_i32 s22, s20, s1
	s_mul_hi_u32 s24, s20, s19
	s_mul_i32 s23, s21, s19
	s_add_i32 s22, s24, s22
	s_mul_i32 s25, s20, s19
	s_add_i32 s22, s22, s23
	s_mul_hi_u32 s24, s19, s25
	s_mul_hi_u32 s26, s1, s25
	s_mul_i32 s23, s1, s25
	s_mul_hi_u32 s25, s19, s22
	s_mul_i32 s19, s19, s22
	s_mul_hi_u32 s27, s1, s22
	s_add_u32 s19, s24, s19
	s_addc_u32 s24, 0, s25
	s_add_u32 s19, s19, s23
	s_mul_i32 s22, s1, s22
	s_addc_u32 s19, s24, s26
	s_addc_u32 s23, s27, 0
	s_add_u32 s19, s19, s22
	s_addc_u32 s22, 0, s23
	v_add_co_u32 v1, s19, v1, s19
	s_delay_alu instid0(VALU_DEP_1) | instskip(SKIP_1) | instid1(VALU_DEP_1)
	s_cmp_lg_u32 s19, 0
	s_addc_u32 s1, s1, s22
	v_readfirstlane_b32 s19, v1
	s_mul_i32 s22, s20, s1
	s_delay_alu instid0(VALU_DEP_1)
	s_mul_hi_u32 s23, s20, s19
	s_mul_i32 s21, s21, s19
	s_add_i32 s22, s23, s22
	s_mul_i32 s20, s20, s19
	s_add_i32 s22, s22, s21
	s_mul_hi_u32 s23, s1, s20
	s_mul_i32 s24, s1, s20
	s_mul_hi_u32 s20, s19, s20
	s_mul_hi_u32 s25, s19, s22
	s_mul_i32 s19, s19, s22
	s_mul_hi_u32 s21, s1, s22
	s_add_u32 s19, s20, s19
	s_addc_u32 s20, 0, s25
	s_add_u32 s19, s19, s24
	s_mul_i32 s22, s1, s22
	s_addc_u32 s19, s20, s23
	s_addc_u32 s20, s21, 0
	s_add_u32 s19, s19, s22
	s_addc_u32 s20, 0, s20
	v_add_co_u32 v1, s19, v1, s19
	s_delay_alu instid0(VALU_DEP_1) | instskip(SKIP_2) | instid1(SALU_CYCLE_1)
	s_cmp_lg_u32 s19, 0
	s_addc_u32 s1, s1, s20
	s_ashr_i32 s20, s7, 31
	s_add_u32 s22, s6, s20
	s_addc_u32 s23, s7, s20
	v_readfirstlane_b32 s7, v1
	s_mov_b32 s21, s20
	s_delay_alu instid0(SALU_CYCLE_1) | instskip(NEXT) | instid1(SALU_CYCLE_1)
	s_xor_b64 s[22:23], s[22:23], s[20:21]
	s_mul_i32 s24, s22, s1
	s_delay_alu instid0(VALU_DEP_1)
	s_mul_hi_u32 s25, s22, s7
	s_mul_hi_u32 s19, s22, s1
	;; [unrolled: 1-line block ×3, first 2 shown]
	s_mul_i32 s7, s23, s7
	s_add_u32 s24, s25, s24
	s_addc_u32 s19, 0, s19
	s_mul_hi_u32 s26, s23, s1
	s_add_u32 s7, s24, s7
	s_mul_i32 s1, s23, s1
	s_addc_u32 s7, s19, s27
	s_addc_u32 s19, s26, 0
	s_add_u32 s7, s7, s1
	s_addc_u32 s19, 0, s19
	s_mul_i32 s26, s14, s7
	s_mul_hi_u32 s1, s14, s7
	s_mul_i32 s25, s14, s19
	v_sub_co_u32 v1, s22, s22, s26
	s_mul_i32 s24, s15, s7
	s_add_i32 s1, s1, s25
	s_delay_alu instid0(SALU_CYCLE_1) | instskip(NEXT) | instid1(VALU_DEP_1)
	s_add_i32 s1, s1, s24
	v_sub_co_u32 v2, s25, v1, s14
	s_sub_i32 s24, s23, s1
	s_cmp_lg_u32 s22, 0
	s_subb_u32 s24, s24, s15
	s_cmp_lg_u32 s25, 0
	v_cmp_le_u32_e32 vcc_lo, s14, v2
	s_subb_u32 s24, s24, 0
	s_delay_alu instid0(SALU_CYCLE_1)
	s_cmp_ge_u32 s24, s15
	v_cndmask_b32_e64 v2, 0, -1, vcc_lo
	s_cselect_b32 s25, -1, 0
	s_cmp_eq_u32 s24, s15
	s_cselect_b32 vcc_lo, -1, 0
	s_add_u32 s24, s7, 1
	v_cndmask_b32_e32 v2, s25, v2, vcc_lo
	s_addc_u32 s25, s19, 0
	s_add_u32 s26, s7, 2
	s_addc_u32 s27, s19, 0
	s_cmp_lg_u32 s22, 0
	v_cmp_le_u32_e32 vcc_lo, s14, v1
	s_subb_u32 s1, s23, s1
	v_mov_b32_e32 v16, s26
	s_cmp_ge_u32 s1, s15
	v_cndmask_b32_e64 v1, 0, -1, vcc_lo
	s_cselect_b32 s14, -1, 0
	s_cmp_eq_u32 s1, s15
	v_cmp_ne_u32_e32 vcc_lo, 0, v2
	v_mov_b32_e32 v2, s27
	s_cselect_b32 s1, -1, 0
	s_xor_b64 s[10:11], s[20:21], s[10:11]
	v_cndmask_b32_e64 v1, s14, v1, s1
	v_cndmask_b32_e32 v16, s24, v16, vcc_lo
	v_cndmask_b32_e32 v2, s25, v2, vcc_lo
	s_delay_alu instid0(VALU_DEP_3) | instskip(NEXT) | instid1(VALU_DEP_2)
	v_cmp_ne_u32_e32 vcc_lo, 0, v1
	v_cndmask_b32_e32 v1, s19, v2, vcc_lo
	s_delay_alu instid0(VALU_DEP_4) | instskip(NEXT) | instid1(VALU_DEP_2)
	v_cndmask_b32_e32 v2, s7, v16, vcc_lo
	v_xor_b32_e32 v16, s11, v1
	s_delay_alu instid0(VALU_DEP_2) | instskip(NEXT) | instid1(VALU_DEP_1)
	v_xor_b32_e32 v2, s10, v2
	v_sub_co_u32 v1, vcc_lo, v2, s10
	s_delay_alu instid0(VALU_DEP_3)
	v_subrev_co_ci_u32_e32 v2, vcc_lo, s11, v16, vcc_lo
	s_cbranch_execnz .LBB2_33
.LBB2_32:
	v_cvt_f32_u32_e32 v1, s18
	s_sub_i32 s7, 0, s18
	s_delay_alu instid0(VALU_DEP_1) | instskip(SKIP_2) | instid1(VALU_DEP_1)
	v_rcp_iflag_f32_e32 v1, v1
	s_waitcnt_depctr 0xfff
	v_mul_f32_e32 v1, 0x4f7ffffe, v1
	v_cvt_u32_f32_e32 v1, v1
	s_delay_alu instid0(VALU_DEP_1) | instskip(NEXT) | instid1(VALU_DEP_1)
	v_readfirstlane_b32 s1, v1
	s_mul_i32 s7, s7, s1
	s_delay_alu instid0(SALU_CYCLE_1) | instskip(NEXT) | instid1(SALU_CYCLE_1)
	s_mul_hi_u32 s7, s1, s7
	s_add_i32 s1, s1, s7
	s_delay_alu instid0(SALU_CYCLE_1) | instskip(NEXT) | instid1(SALU_CYCLE_1)
	s_mul_hi_u32 s1, s6, s1
	s_mul_i32 s7, s1, s18
	s_delay_alu instid0(SALU_CYCLE_1)
	s_sub_i32 s6, s6, s7
	s_add_i32 s7, s1, 1
	s_sub_i32 s10, s6, s18
	s_cmp_ge_u32 s6, s18
	s_cselect_b32 s1, s7, s1
	s_cselect_b32 s6, s10, s6
	s_add_i32 s10, s1, 1
	s_cmp_ge_u32 s6, s18
	s_mov_b32 s7, 0
	s_cselect_b32 s6, s10, s1
	s_delay_alu instid0(SALU_CYCLE_1)
	v_dual_mov_b32 v1, s6 :: v_dual_mov_b32 v2, s7
.LBB2_33:
	s_delay_alu instid0(VALU_DEP_1) | instskip(NEXT) | instid1(VALU_DEP_2)
	v_add_co_u32 v1, vcc_lo, v1, v15
	v_add_co_ci_u32_e32 v2, vcc_lo, 0, v2, vcc_lo
	s_branch .LBB2_36
.LBB2_34:
                                        ; implicit-def: $vgpr1_vgpr2
	s_cbranch_execz .LBB2_36
; %bb.35:
	v_mul_lo_u32 v1, v15, s12
	s_delay_alu instid0(VALU_DEP_1) | instskip(SKIP_1) | instid1(VALU_DEP_2)
	v_ashrrev_i32_e32 v2, 31, v1
	v_add_co_u32 v1, vcc_lo, v1, s2
	v_add_co_ci_u32_e32 v2, vcc_lo, 0, v2, vcc_lo
.LBB2_36:
	s_mov_b32 s1, exec_lo
.LBB2_37:
	s_or_b32 exec_lo, exec_lo, s16
	s_delay_alu instid0(SALU_CYCLE_1)
	s_and_b32 vcc_lo, exec_lo, s31
	s_cbranch_vccz .LBB2_41
.LBB2_38:
	v_mov_b32_dpp v1, v13 quad_perm:[1,0,3,2] row_mask:0xf bank_mask:0xf
	s_delay_alu instid0(VALU_DEP_1) | instskip(SKIP_1) | instid1(VALU_DEP_1)
	v_cmp_gt_f32_e32 vcc_lo, v13, v1
	v_cndmask_b32_e32 v1, v1, v13, vcc_lo
	v_mov_b32_dpp v2, v1 quad_perm:[2,3,0,1] row_mask:0xf bank_mask:0xf
	s_delay_alu instid0(VALU_DEP_1) | instskip(SKIP_1) | instid1(VALU_DEP_1)
	v_cmp_gt_f32_e32 vcc_lo, v1, v2
	v_cndmask_b32_e32 v1, v2, v1, vcc_lo
	v_mov_b32_dpp v2, v1 row_xmask:7 row_mask:0xf bank_mask:0xf
	s_delay_alu instid0(VALU_DEP_1) | instskip(SKIP_1) | instid1(VALU_DEP_1)
	v_cmp_gt_f32_e32 vcc_lo, v1, v2
	v_cndmask_b32_e32 v1, v2, v1, vcc_lo
	v_mov_b32_dpp v2, v1 row_xmask:15 row_mask:0xf bank_mask:0xf
	s_delay_alu instid0(VALU_DEP_1)
	v_cmp_gt_f32_e32 vcc_lo, v1, v2
	s_and_saveexec_b32 s1, s0
	s_cbranch_execz .LBB2_40
; %bb.39:
	v_cndmask_b32_e32 v1, v2, v1, vcc_lo
	v_lshrrev_b32_e32 v2, 3, v0
	s_mov_b32 s0, 0x76543210
	s_delay_alu instid0(VALU_DEP_1) | instskip(NEXT) | instid1(VALU_DEP_3)
	v_and_b32_e32 v2, 0x7c, v2
	v_permlanex16_b32 v13, v1, s0, 0xfedcba98 op_sel:[1,1]
	s_delay_alu instid0(VALU_DEP_1)
	v_cmp_gt_f32_e32 vcc_lo, v1, v13
	v_cndmask_b32_e32 v1, v13, v1, vcc_lo
	ds_store_b32 v2, v1
.LBB2_40:
	s_or_b32 exec_lo, exec_lo, s1
	s_waitcnt lgkmcnt(0)
	s_barrier
	buffer_gl0_inv
	ds_load_b32 v1, v6
	v_cmp_eq_u32_e64 s1, 0, v0
	s_waitcnt lgkmcnt(0)
	v_mov_b32_dpp v2, v1 quad_perm:[1,0,3,2] row_mask:0xf bank_mask:0xf
	s_delay_alu instid0(VALU_DEP_1) | instskip(SKIP_1) | instid1(VALU_DEP_1)
	v_cmp_gt_f32_e32 vcc_lo, v1, v2
	v_cndmask_b32_e32 v1, v2, v1, vcc_lo
	v_dual_mul_f32 v14, 0x3b124925, v1 :: v_dual_mov_b32 v1, s2
	v_mov_b32_e32 v2, s3
.LBB2_41:
	s_and_saveexec_b32 s0, s1
	s_cbranch_execz .LBB2_43
; %bb.42:
	s_delay_alu instid0(VALU_DEP_1) | instskip(NEXT) | instid1(VALU_DEP_1)
	v_lshlrev_b64 v[0:1], 2, v[1:2]
	v_add_co_u32 v0, vcc_lo, s8, v0
	s_delay_alu instid0(VALU_DEP_2)
	v_add_co_ci_u32_e32 v1, vcc_lo, s9, v1, vcc_lo
	global_store_b32 v[0:1], v14, off
.LBB2_43:
	s_or_b32 exec_lo, exec_lo, s0
	;;#ASMSTART
	v_rcp_f32 v0, v14
	;;#ASMEND
	v_dual_mul_f32 v1, v12, v0 :: v_dual_mov_b32 v6, 0xc3e00000
	v_dual_mul_f32 v2, v11, v0 :: v_dual_mov_b32 v11, 0x43e00000
	v_mul_f32_e32 v9, v9, v0
	v_mul_f32_e32 v10, v10, v0
	;;#ASMSTART
	v_med3_f32 v1, v1, v6, v11
v_med3_f32 v2, v2, v6, v11
v_cvt_pk_fp8_f32 v12, v1, v2
	;;#ASMEND
	;;#ASMSTART
	v_med3_f32 v9, v9, v6, v11
v_med3_f32 v10, v10, v6, v11
v_cvt_pk_fp8_f32 v1, v9, v10
	;;#ASMEND
	v_perm_b32 v2, v1, v12, 0x5040100
	v_and_b32_e32 v1, 0xffffff00, v1
	s_add_i32 s0, s13, 3
	v_mul_f32_e32 v7, v7, v0
	s_ashr_i32 s7, s0, 31
	v_lshrrev_b32_e32 v9, 16, v2
	v_mul_f32_e32 v8, v8, v0
	s_ashr_i32 s1, s17, 31
	s_lshr_b32 s7, s7, 30
	s_mul_hi_u32 s3, s17, s2
	v_and_b32_e32 v9, 0xff, v9
	s_add_i32 s0, s0, s7
	s_mul_i32 s1, s1, s2
	s_mul_i32 s6, s17, s2
	s_and_b32 s2, s0, -4
	v_or_b32_e32 v1, v9, v1
	v_mul_f32_e32 v4, v4, v0
	v_mul_f32_e32 v0, v3, v0
	;;#ASMSTART
	v_med3_f32 v8, v8, v6, v11
v_med3_f32 v7, v7, v6, v11
v_cvt_pk_fp8_f32 v3, v8, v7
	;;#ASMEND
	s_add_i32 s3, s3, s1
	v_lshlrev_b32_e32 v1, 16, v1
	;;#ASMSTART
	v_med3_f32 v4, v4, v6, v11
v_med3_f32 v0, v0, v6, v11
v_cvt_pk_fp8_f32 v6, v4, v0
	;;#ASMEND
	v_lshlrev_b32_e32 v4, 16, v6
	s_add_u32 s0, s4, s6
	s_addc_u32 s1, s5, s3
	v_and_or_b32 v0, 0xffff, v2, v1
	s_and_b32 s1, s1, 0xffff
	v_and_or_b32 v1, 0xffff, v3, v4
	s_mov_b32 s3, -1
	buffer_store_b64 v[0:1], v5, s[0:3], 0 offen
	;;#ASMSTART
	s_nop 0
	;;#ASMEND
.LBB2_44:
	s_nop 0
	s_sendmsg sendmsg(MSG_DEALLOC_VGPRS)
	s_endpgm
.LBB2_45:
                                        ; implicit-def: $vgpr1_vgpr2
	s_branch .LBB2_32
	.section	.rodata,"a",@progbits
	.p2align	6, 0x0
	.amdhsa_kernel _ZN5aiter24add_rmsnorm_quant_kernelItDB8_Li64ELi8ELb1ELb1ELb1ELi1EEEvPT0_PT_PfS5_S5_S5_diiiiiiib
		.amdhsa_group_segment_fixed_size 16
		.amdhsa_private_segment_fixed_size 0
		.amdhsa_kernarg_size 88
		.amdhsa_user_sgpr_count 15
		.amdhsa_user_sgpr_dispatch_ptr 0
		.amdhsa_user_sgpr_queue_ptr 0
		.amdhsa_user_sgpr_kernarg_segment_ptr 1
		.amdhsa_user_sgpr_dispatch_id 0
		.amdhsa_user_sgpr_private_segment_size 0
		.amdhsa_wavefront_size32 1
		.amdhsa_uses_dynamic_stack 0
		.amdhsa_enable_private_segment 0
		.amdhsa_system_sgpr_workgroup_id_x 1
		.amdhsa_system_sgpr_workgroup_id_y 0
		.amdhsa_system_sgpr_workgroup_id_z 0
		.amdhsa_system_sgpr_workgroup_info 0
		.amdhsa_system_vgpr_workitem_id 0
		.amdhsa_next_free_vgpr 24
		.amdhsa_next_free_sgpr 40
		.amdhsa_reserve_vcc 1
		.amdhsa_float_round_mode_32 0
		.amdhsa_float_round_mode_16_64 0
		.amdhsa_float_denorm_mode_32 3
		.amdhsa_float_denorm_mode_16_64 3
		.amdhsa_dx10_clamp 1
		.amdhsa_ieee_mode 1
		.amdhsa_fp16_overflow 0
		.amdhsa_workgroup_processor_mode 1
		.amdhsa_memory_ordered 1
		.amdhsa_forward_progress 0
		.amdhsa_shared_vgpr_count 0
		.amdhsa_exception_fp_ieee_invalid_op 0
		.amdhsa_exception_fp_denorm_src 0
		.amdhsa_exception_fp_ieee_div_zero 0
		.amdhsa_exception_fp_ieee_overflow 0
		.amdhsa_exception_fp_ieee_underflow 0
		.amdhsa_exception_fp_ieee_inexact 0
		.amdhsa_exception_int_div_zero 0
	.end_amdhsa_kernel
	.section	.text._ZN5aiter24add_rmsnorm_quant_kernelItDB8_Li64ELi8ELb1ELb1ELb1ELi1EEEvPT0_PT_PfS5_S5_S5_diiiiiiib,"axG",@progbits,_ZN5aiter24add_rmsnorm_quant_kernelItDB8_Li64ELi8ELb1ELb1ELb1ELi1EEEvPT0_PT_PfS5_S5_S5_diiiiiiib,comdat
.Lfunc_end2:
	.size	_ZN5aiter24add_rmsnorm_quant_kernelItDB8_Li64ELi8ELb1ELb1ELb1ELi1EEEvPT0_PT_PfS5_S5_S5_diiiiiiib, .Lfunc_end2-_ZN5aiter24add_rmsnorm_quant_kernelItDB8_Li64ELi8ELb1ELb1ELb1ELi1EEEvPT0_PT_PfS5_S5_S5_diiiiiiib
                                        ; -- End function
	.section	.AMDGPU.csdata,"",@progbits
; Kernel info:
; codeLenInByte = 3660
; NumSgprs: 42
; NumVgprs: 24
; ScratchSize: 0
; MemoryBound: 0
; FloatMode: 240
; IeeeMode: 1
; LDSByteSize: 16 bytes/workgroup (compile time only)
; SGPRBlocks: 5
; VGPRBlocks: 2
; NumSGPRsForWavesPerEU: 42
; NumVGPRsForWavesPerEU: 24
; Occupancy: 16
; WaveLimiterHint : 0
; COMPUTE_PGM_RSRC2:SCRATCH_EN: 0
; COMPUTE_PGM_RSRC2:USER_SGPR: 15
; COMPUTE_PGM_RSRC2:TRAP_HANDLER: 0
; COMPUTE_PGM_RSRC2:TGID_X_EN: 1
; COMPUTE_PGM_RSRC2:TGID_Y_EN: 0
; COMPUTE_PGM_RSRC2:TGID_Z_EN: 0
; COMPUTE_PGM_RSRC2:TIDIG_COMP_CNT: 0
	.section	.text._ZN5aiter24add_rmsnorm_quant_kernelIDF16_DB8_Li64ELi8ELb1ELb1ELb0ELi1EEEvPT0_PT_PfS5_S5_S5_diiiiiiib,"axG",@progbits,_ZN5aiter24add_rmsnorm_quant_kernelIDF16_DB8_Li64ELi8ELb1ELb1ELb0ELi1EEEvPT0_PT_PfS5_S5_S5_diiiiiiib,comdat
	.protected	_ZN5aiter24add_rmsnorm_quant_kernelIDF16_DB8_Li64ELi8ELb1ELb1ELb0ELi1EEEvPT0_PT_PfS5_S5_S5_diiiiiiib ; -- Begin function _ZN5aiter24add_rmsnorm_quant_kernelIDF16_DB8_Li64ELi8ELb1ELb1ELb0ELi1EEEvPT0_PT_PfS5_S5_S5_diiiiiiib
	.globl	_ZN5aiter24add_rmsnorm_quant_kernelIDF16_DB8_Li64ELi8ELb1ELb1ELb0ELi1EEEvPT0_PT_PfS5_S5_S5_diiiiiiib
	.p2align	8
	.type	_ZN5aiter24add_rmsnorm_quant_kernelIDF16_DB8_Li64ELi8ELb1ELb1ELb0ELi1EEEvPT0_PT_PfS5_S5_S5_diiiiiiib,@function
_ZN5aiter24add_rmsnorm_quant_kernelIDF16_DB8_Li64ELi8ELb1ELb1ELb0ELi1EEEvPT0_PT_PfS5_S5_S5_diiiiiiib: ; @_ZN5aiter24add_rmsnorm_quant_kernelIDF16_DB8_Li64ELi8ELb1ELb1ELb0ELi1EEEvPT0_PT_PfS5_S5_S5_diiiiiiib
; %bb.0:
	s_mov_b32 s2, s15
	s_load_b256 s[12:19], s[0:1], 0x38
	s_mov_b32 s3, 0
	s_waitcnt lgkmcnt(0)
	s_ashr_i32 s5, s12, 31
	s_mov_b32 s4, s12
	s_delay_alu instid0(SALU_CYCLE_1) | instskip(NEXT) | instid1(VALU_DEP_1)
	v_cmp_ge_i64_e64 s4, s[2:3], s[4:5]
	s_and_b32 vcc_lo, exec_lo, s4
	s_cbranch_vccnz .LBB3_44
; %bb.1:
	s_clause 0x1
	s_load_b256 s[4:11], s[0:1], 0x0
	s_load_b256 s[20:27], s[0:1], 0x20
	s_ashr_i32 s1, s14, 31
	s_waitcnt lgkmcnt(0)
	s_mul_hi_u32 s26, s14, s2
	s_mul_i32 s1, s1, s2
	s_mul_i32 s0, s14, s2
	s_add_i32 s1, s26, s1
	s_mul_hi_u32 s26, s15, s2
	s_lshl_b64 s[0:1], s[0:1], 1
	v_lshlrev_b32_e32 v19, 4, v0
	s_mul_i32 s14, s15, s2
	s_mov_b32 s31, -1
	v_and_b32_e32 v20, 31, v0
	s_mov_b32 s39, s31
	s_add_u32 s28, s10, s0
	s_addc_u32 s0, s11, s1
	s_add_i32 s1, s13, 1
	s_ashr_i32 s10, s15, 31
	s_lshr_b32 s11, s1, 31
	s_mul_i32 s10, s10, s2
	s_add_i32 s1, s1, s11
	s_and_b32 s29, s0, 0xffff
	s_lshl_b32 s0, s1, 1
	s_add_i32 s15, s26, s10
	s_and_b32 s30, s0, -4
	s_lshl_b64 s[0:1], s[14:15], 1
	s_and_b32 s37, s23, 0xffff
	buffer_load_b128 v[9:12], v19, s[28:31], 0 offen glc slc
	s_add_u32 s28, s20, s0
	s_addc_u32 s0, s21, s1
	s_mov_b32 s36, s22
	s_and_b32 s29, s0, 0xffff
	s_mov_b32 s38, s30
	buffer_load_b128 v[13:16], v19, s[28:31], 0 offen glc slc
	s_ashr_i32 s0, s16, 31
	s_mul_hi_u32 s1, s16, s2
	s_mul_i32 s10, s0, s2
	s_mul_i32 s0, s16, s2
	s_add_i32 s1, s1, s10
	s_delay_alu instid0(SALU_CYCLE_1) | instskip(NEXT) | instid1(SALU_CYCLE_1)
	s_lshl_b64 s[0:1], s[0:1], 1
	s_add_u32 s28, s6, s0
	s_addc_u32 s1, s7, s1
	v_cmp_eq_u32_e64 s0, 31, v20
	s_and_b32 s29, s1, 0xffff
	s_waitcnt vmcnt(1)
	v_cvt_f32_f16_e32 v8, v9
	v_lshrrev_b32_e32 v5, 16, v9
	v_cvt_f32_f16_e32 v9, v10
	s_waitcnt vmcnt(0)
	v_lshrrev_b32_e32 v6, 16, v13
	v_cvt_f32_f16_e32 v13, v13
	v_cvt_f32_f16_e32 v5, v5
	s_delay_alu instid0(VALU_DEP_3) | instskip(NEXT) | instid1(VALU_DEP_3)
	v_cvt_f32_f16_e32 v6, v6
	v_add_f32_e32 v8, v8, v13
	buffer_load_b128 v[1:4], v19, s[36:39], 0 offen
	v_cvt_f32_f16_e32 v13, v11
	v_add_f32_e32 v7, v5, v6
	v_lshrrev_b32_e32 v5, 16, v10
	v_cvt_f32_f16_e32 v6, v14
	v_lshrrev_b32_e32 v10, 16, v14
	v_lshrrev_b32_e32 v14, 16, v15
	v_cvt_f16_f32_e32 v24, v7
	v_cvt_f32_f16_e32 v5, v5
	v_add_f32_e32 v9, v9, v6
	v_cvt_f32_f16_e32 v10, v10
	v_mul_f32_e32 v17, v7, v7
	v_lshrrev_b32_e32 v6, 16, v11
	v_cvt_f32_f16_e32 v11, v15
	v_cvt_f32_f16_e32 v14, v14
	v_add_f32_e32 v10, v5, v10
	v_cvt_f32_f16_e32 v15, v16
	v_cvt_f32_f16_e32 v6, v6
	v_fmac_f32_e32 v17, v8, v8
	v_add_f32_e32 v11, v13, v11
	v_lshrrev_b32_e32 v13, 16, v12
	v_lshrrev_b32_e32 v16, 16, v16
	v_cvt_f32_f16_e32 v5, v12
	v_add_f32_e32 v12, v6, v14
	v_cvt_f16_f32_e32 v23, v10
	v_cvt_f32_f16_e32 v6, v13
	v_cvt_f32_f16_e32 v14, v16
	v_fmac_f32_e32 v17, v9, v9
	v_add_f32_e32 v13, v5, v15
	v_cvt_f16_f32_e32 v15, v9
	v_cvt_f16_f32_e32 v16, v11
	v_add_f32_e32 v14, v6, v14
	v_fmac_f32_e32 v17, v10, v10
	v_cvt_f16_f32_e32 v22, v12
	s_delay_alu instid0(VALU_DEP_3) | instskip(NEXT) | instid1(VALU_DEP_3)
	v_cvt_f16_f32_e32 v21, v14
	v_fmac_f32_e32 v17, v11, v11
	s_delay_alu instid0(VALU_DEP_1) | instskip(NEXT) | instid1(VALU_DEP_1)
	v_fmac_f32_e32 v17, v12, v12
	v_fmac_f32_e32 v17, v13, v13
	s_delay_alu instid0(VALU_DEP_1) | instskip(NEXT) | instid1(VALU_DEP_1)
	v_fmac_f32_e32 v17, v14, v14
	v_mov_b32_dpp v5, v17 quad_perm:[1,0,3,2] row_mask:0xf bank_mask:0xf
	s_delay_alu instid0(VALU_DEP_1) | instskip(SKIP_1) | instid1(VALU_DEP_2)
	v_add_f32_e32 v5, v17, v5
	v_cvt_f16_f32_e32 v17, v13
	v_mov_b32_dpp v6, v5 quad_perm:[2,3,0,1] row_mask:0xf bank_mask:0xf
	s_delay_alu instid0(VALU_DEP_1) | instskip(SKIP_1) | instid1(VALU_DEP_2)
	v_add_f32_e32 v5, v5, v6
	v_cvt_f16_f32_e32 v6, v8
	v_mov_b32_dpp v18, v5 row_xmask:7 row_mask:0xf bank_mask:0xf
	s_delay_alu instid0(VALU_DEP_1)
	v_add_f32_e32 v5, v5, v18
	v_pack_b32_f16 v18, v17, v21
	v_pack_b32_f16 v17, v16, v22
	;; [unrolled: 1-line block ×4, first 2 shown]
	v_mov_b32_dpp v6, v5 row_xmask:15 row_mask:0xf bank_mask:0xf
	buffer_store_b128 v[15:18], v19, s[28:31], 0 offen glc slc
	;;#ASMSTART
	s_nop 0
	;;#ASMEND
	s_and_saveexec_b32 s1, s0
	s_cbranch_execz .LBB3_3
; %bb.2:
	v_add_f32_e32 v5, v5, v6
	s_mov_b32 s6, 0x76543210
	v_lshrrev_b32_e32 v6, 3, v0
	s_delay_alu instid0(VALU_DEP_2) | instskip(NEXT) | instid1(VALU_DEP_1)
	v_permlanex16_b32 v15, v5, s6, 0xfedcba98 op_sel:[1,1]
	v_dual_add_f32 v5, v5, v15 :: v_dual_and_b32 v6, 0x7c, v6
	ds_store_b32 v6, v5 offset:8
.LBB3_3:
	s_or_b32 exec_lo, exec_lo, s1
	v_and_b32_e32 v5, 1, v0
	s_waitcnt vmcnt(0) lgkmcnt(0)
	s_waitcnt_vscnt null, 0x0
	s_barrier
	buffer_gl0_inv
	v_cvt_f32_i32_e32 v16, s13
	v_lshlrev_b32_e32 v6, 2, v5
	s_cmp_lg_u32 s18, 0
	ds_load_b32 v5, v6 offset:8
	s_waitcnt lgkmcnt(0)
	v_mov_b32_dpp v15, v5 quad_perm:[1,0,3,2] row_mask:0xf bank_mask:0xf
	s_delay_alu instid0(VALU_DEP_1) | instskip(NEXT) | instid1(VALU_DEP_1)
	v_add_f32_e32 v5, v5, v15
	v_div_scale_f32 v15, null, v16, v16, v5
	v_div_scale_f32 v19, vcc_lo, v5, v16, v5
	s_delay_alu instid0(VALU_DEP_2) | instskip(SKIP_2) | instid1(VALU_DEP_1)
	v_rcp_f32_e32 v17, v15
	s_waitcnt_depctr 0xfff
	v_fma_f32 v18, -v15, v17, 1.0
	v_fmac_f32_e32 v17, v18, v17
	s_delay_alu instid0(VALU_DEP_1) | instskip(NEXT) | instid1(VALU_DEP_1)
	v_mul_f32_e32 v18, v19, v17
	v_fma_f32 v20, -v15, v18, v19
	s_delay_alu instid0(VALU_DEP_1) | instskip(SKIP_2) | instid1(VALU_DEP_3)
	v_fmac_f32_e32 v18, v20, v17
	v_cvt_f32_f16_e32 v20, v4
	v_lshrrev_b32_e32 v4, 16, v4
	v_fma_f32 v15, -v15, v18, v19
	s_delay_alu instid0(VALU_DEP_1)
	v_div_fmas_f32 v15, v15, v17, v18
	v_cvt_f32_f16_e32 v17, v2
	v_lshrrev_b32_e32 v2, 16, v2
	v_cvt_f32_f16_e32 v18, v3
	v_lshrrev_b32_e32 v3, 16, v3
	v_div_fixup_f32 v5, v15, v16, v5
	s_delay_alu instid0(VALU_DEP_4) | instskip(NEXT) | instid1(VALU_DEP_3)
	v_cvt_f32_f16_e32 v2, v2
	v_cvt_f32_f16_e32 v3, v3
	s_delay_alu instid0(VALU_DEP_3) | instskip(NEXT) | instid1(VALU_DEP_1)
	v_cvt_f64_f32_e32 v[15:16], v5
	v_add_f64 v[15:16], v[15:16], s[24:25]
	s_delay_alu instid0(VALU_DEP_1) | instskip(SKIP_2) | instid1(VALU_DEP_1)
	v_cvt_f32_f64_e32 v5, v[15:16]
	v_cvt_f32_f16_e32 v16, v1
	v_lshrrev_b32_e32 v1, 16, v1
	v_cvt_f32_f16_e32 v1, v1
	s_delay_alu instid0(VALU_DEP_4) | instskip(SKIP_1) | instid1(VALU_DEP_2)
	v_mul_f32_e32 v15, 0x4b800000, v5
	v_cmp_gt_f32_e32 vcc_lo, 0x800000, v5
	v_cndmask_b32_e32 v5, v5, v15, vcc_lo
	s_delay_alu instid0(VALU_DEP_1) | instskip(SKIP_2) | instid1(VALU_DEP_1)
	v_rsq_f32_e32 v15, v5
	s_waitcnt_depctr 0xfff
	v_mul_f32_e32 v19, 0x45800000, v15
	v_cndmask_b32_e32 v15, v15, v19, vcc_lo
	v_lshlrev_b32_e32 v5, 3, v0
	v_cvt_f32_f16_e32 v19, v4
	s_delay_alu instid0(VALU_DEP_3) | instskip(SKIP_1) | instid1(VALU_DEP_2)
	v_mul_f32_e32 v4, v8, v15
	v_mul_f32_e32 v8, v9, v15
	v_dual_mul_f32 v22, v11, v15 :: v_dual_mul_f32 v11, v4, v16
	s_delay_alu instid0(VALU_DEP_1) | instskip(SKIP_1) | instid1(VALU_DEP_1)
	v_dual_mul_f32 v9, v8, v17 :: v_dual_mul_f32 v8, v22, v18
	v_dual_mov_b32 v21, 0x2edbe6ff :: v_dual_mul_f32 v10, v10, v15
	v_dual_mul_f32 v23, v12, v15 :: v_dual_mul_f32 v10, v10, v2
	v_mul_f32_e32 v13, v13, v15
	s_delay_alu instid0(VALU_DEP_1) | instskip(NEXT) | instid1(VALU_DEP_1)
	v_dual_mul_f32 v7, v7, v15 :: v_dual_mul_f32 v4, v13, v20
	v_dual_mul_f32 v12, v7, v1 :: v_dual_and_b32 v1, 0x7fffffff, v11
	s_delay_alu instid0(VALU_DEP_2) | instskip(NEXT) | instid1(VALU_DEP_2)
	v_and_b32_e32 v17, 0x7fffffff, v4
	v_dual_mul_f32 v7, v23, v3 :: v_dual_and_b32 v2, 0x7fffffff, v12
	;;#ASMSTART
	v_max3_f32 v1, v21, v1, v2

	;;#ASMEND
	s_delay_alu instid0(VALU_DEP_1) | instskip(SKIP_2) | instid1(VALU_DEP_2)
	v_and_b32_e32 v16, 0x7fffffff, v7
	v_dual_mul_f32 v14, v14, v15 :: v_dual_and_b32 v13, 0x7fffffff, v9
	v_and_b32_e32 v15, 0x7fffffff, v8
	v_dual_mul_f32 v3, v14, v19 :: v_dual_and_b32 v14, 0x7fffffff, v10
	;;#ASMSTART
	v_max3_f32 v1, v1, v13, v14

	;;#ASMEND
	;;#ASMSTART
	v_max3_f32 v1, v1, v15, v16

	;;#ASMEND
	s_delay_alu instid0(VALU_DEP_1)
	v_and_b32_e32 v18, 0x7fffffff, v3
	;;#ASMSTART
	v_max3_f32 v13, v1, v17, v18

	;;#ASMEND
	s_cbranch_scc0 .LBB3_10
; %bb.4:
	s_ashr_i32 s11, s18, 31
	s_delay_alu instid0(SALU_CYCLE_1) | instskip(NEXT) | instid1(SALU_CYCLE_1)
	s_lshr_b32 s1, s11, 29
	s_add_i32 s1, s18, s1
	s_delay_alu instid0(SALU_CYCLE_1) | instskip(NEXT) | instid1(SALU_CYCLE_1)
	s_ashr_i32 s1, s1, 3
	s_cmp_lt_i32 s1, 8
	s_cbranch_scc1 .LBB3_11
; %bb.5:
	s_cmp_lt_i32 s1, 16
	s_cbranch_scc1 .LBB3_12
; %bb.6:
	;; [unrolled: 3-line block ×3, first 2 shown]
	v_mov_b32_e32 v1, v13
	s_cmp_eq_u32 s1, 32
	s_cbranch_scc0 .LBB3_9
; %bb.8:
	s_delay_alu instid0(VALU_DEP_1) | instskip(SKIP_1) | instid1(VALU_DEP_1)
	v_mov_b32_dpp v1, v13 quad_perm:[1,0,3,2] row_mask:0xf bank_mask:0xf
	s_mov_b32 s6, 0x76543210
	v_cmp_gt_f32_e32 vcc_lo, v13, v1
	v_cndmask_b32_e32 v1, v1, v13, vcc_lo
	s_delay_alu instid0(VALU_DEP_1) | instskip(NEXT) | instid1(VALU_DEP_1)
	v_mov_b32_dpp v2, v1 quad_perm:[2,3,0,1] row_mask:0xf bank_mask:0xf
	v_cmp_gt_f32_e32 vcc_lo, v1, v2
	v_cndmask_b32_e32 v1, v2, v1, vcc_lo
	s_delay_alu instid0(VALU_DEP_1) | instskip(NEXT) | instid1(VALU_DEP_1)
	v_mov_b32_dpp v2, v1 row_xmask:7 row_mask:0xf bank_mask:0xf
	v_cmp_gt_f32_e32 vcc_lo, v1, v2
	v_cndmask_b32_e32 v1, v2, v1, vcc_lo
	s_delay_alu instid0(VALU_DEP_1) | instskip(NEXT) | instid1(VALU_DEP_1)
	v_mov_b32_dpp v2, v1 row_xmask:15 row_mask:0xf bank_mask:0xf
	v_cmp_gt_f32_e32 vcc_lo, v1, v2
	v_cndmask_b32_e32 v1, v2, v1, vcc_lo
	s_delay_alu instid0(VALU_DEP_1) | instskip(NEXT) | instid1(VALU_DEP_1)
	v_permlanex16_b32 v2, v1, s6, 0xfedcba98 op_sel:[1,1]
	v_cmp_gt_f32_e32 vcc_lo, v1, v2
	v_cndmask_b32_e32 v1, v2, v1, vcc_lo
.LBB3_9:
	s_mov_b32 s6, 0
	s_branch .LBB3_14
.LBB3_10:
	s_mov_b32 s1, 0
                                        ; implicit-def: $vgpr14
                                        ; implicit-def: $vgpr1_vgpr2
	s_and_b32 vcc_lo, exec_lo, s31
	s_cbranch_vccnz .LBB3_38
	s_branch .LBB3_41
.LBB3_11:
                                        ; implicit-def: $vgpr1
	s_branch .LBB3_21
.LBB3_12:
                                        ; implicit-def: $vgpr1
	s_branch .LBB3_18
.LBB3_13:
	s_mov_b32 s6, -1
                                        ; implicit-def: $vgpr1
.LBB3_14:
	s_delay_alu instid0(SALU_CYCLE_1)
	s_and_not1_b32 vcc_lo, exec_lo, s6
	s_cbranch_vccnz .LBB3_17
; %bb.15:
	v_mov_b32_e32 v1, v13
	s_cmp_eq_u32 s1, 16
	s_cbranch_scc0 .LBB3_17
; %bb.16:
	s_delay_alu instid0(VALU_DEP_1) | instskip(NEXT) | instid1(VALU_DEP_1)
	v_mov_b32_dpp v1, v13 quad_perm:[1,0,3,2] row_mask:0xf bank_mask:0xf
	v_cmp_gt_f32_e32 vcc_lo, v13, v1
	v_cndmask_b32_e32 v1, v1, v13, vcc_lo
	s_delay_alu instid0(VALU_DEP_1) | instskip(NEXT) | instid1(VALU_DEP_1)
	v_mov_b32_dpp v2, v1 quad_perm:[2,3,0,1] row_mask:0xf bank_mask:0xf
	v_cmp_gt_f32_e32 vcc_lo, v1, v2
	v_cndmask_b32_e32 v1, v2, v1, vcc_lo
	s_delay_alu instid0(VALU_DEP_1) | instskip(NEXT) | instid1(VALU_DEP_1)
	v_mov_b32_dpp v2, v1 row_half_mirror row_mask:0xf bank_mask:0xf
	v_cmp_gt_f32_e32 vcc_lo, v1, v2
	v_cndmask_b32_e32 v1, v2, v1, vcc_lo
	s_delay_alu instid0(VALU_DEP_1) | instskip(NEXT) | instid1(VALU_DEP_1)
	v_mov_b32_dpp v2, v1 row_mirror row_mask:0xf bank_mask:0xf
	v_cmp_gt_f32_e32 vcc_lo, v1, v2
	v_cndmask_b32_e32 v1, v2, v1, vcc_lo
.LBB3_17:
	s_cbranch_execnz .LBB3_20
.LBB3_18:
	v_mov_b32_e32 v1, v13
	s_cmp_eq_u32 s1, 8
	s_cbranch_scc0 .LBB3_20
; %bb.19:
	s_delay_alu instid0(VALU_DEP_1) | instskip(NEXT) | instid1(VALU_DEP_1)
	v_mov_b32_dpp v1, v13 quad_perm:[1,0,3,2] row_mask:0xf bank_mask:0xf
	v_cmp_gt_f32_e32 vcc_lo, v13, v1
	v_cndmask_b32_e32 v1, v1, v13, vcc_lo
	s_delay_alu instid0(VALU_DEP_1) | instskip(NEXT) | instid1(VALU_DEP_1)
	v_mov_b32_dpp v2, v1 quad_perm:[2,3,0,1] row_mask:0xf bank_mask:0xf
	v_cmp_gt_f32_e32 vcc_lo, v1, v2
	v_cndmask_b32_e32 v1, v2, v1, vcc_lo
	s_delay_alu instid0(VALU_DEP_1) | instskip(NEXT) | instid1(VALU_DEP_1)
	v_mov_b32_dpp v2, v1 row_half_mirror row_mask:0xf bank_mask:0xf
	v_cmp_gt_f32_e32 vcc_lo, v1, v2
	v_cndmask_b32_e32 v1, v2, v1, vcc_lo
.LBB3_20:
	s_cbranch_execnz .LBB3_28
.LBB3_21:
	s_cmp_lt_i32 s1, 4
	s_cbranch_scc1 .LBB3_24
; %bb.22:
	v_mov_b32_e32 v1, v13
	s_cmp_eq_u32 s1, 4
	s_cbranch_scc0 .LBB3_25
; %bb.23:
	s_delay_alu instid0(VALU_DEP_1) | instskip(NEXT) | instid1(VALU_DEP_1)
	v_mov_b32_dpp v1, v13 quad_perm:[1,0,3,2] row_mask:0xf bank_mask:0xf
	v_cmp_gt_f32_e32 vcc_lo, v13, v1
	v_cndmask_b32_e32 v1, v1, v13, vcc_lo
	s_delay_alu instid0(VALU_DEP_1) | instskip(NEXT) | instid1(VALU_DEP_1)
	v_mov_b32_dpp v2, v1 quad_perm:[2,3,0,1] row_mask:0xf bank_mask:0xf
	v_cmp_gt_f32_e32 vcc_lo, v1, v2
	v_cndmask_b32_e32 v1, v2, v1, vcc_lo
	s_cbranch_execz .LBB3_26
	s_branch .LBB3_28
.LBB3_24:
                                        ; implicit-def: $vgpr1
	s_branch .LBB3_26
.LBB3_25:
	s_cbranch_execnz .LBB3_28
.LBB3_26:
	v_mov_b32_e32 v1, v13
	s_cmp_lg_u32 s1, 2
	s_cbranch_scc1 .LBB3_28
; %bb.27:
	s_delay_alu instid0(VALU_DEP_1) | instskip(NEXT) | instid1(VALU_DEP_1)
	v_mov_b32_dpp v1, v13 quad_perm:[1,0,3,2] row_mask:0xf bank_mask:0xf
	v_cmp_gt_f32_e32 vcc_lo, v13, v1
	v_cndmask_b32_e32 v1, v1, v13, vcc_lo
.LBB3_28:
	v_cvt_f32_u32_e32 v2, s1
	s_sub_i32 s6, 0, s1
	s_mov_b32 s31, 0
	s_delay_alu instid0(VALU_DEP_1) | instskip(SKIP_2) | instid1(VALU_DEP_1)
	v_rcp_iflag_f32_e32 v2, v2
	s_waitcnt_depctr 0xfff
	v_mul_f32_e32 v2, 0x4f7ffffe, v2
	v_cvt_u32_f32_e32 v2, v2
	s_delay_alu instid0(VALU_DEP_1) | instskip(NEXT) | instid1(VALU_DEP_1)
	v_mul_lo_u32 v14, s6, v2
	v_mul_hi_u32 v14, v2, v14
	s_delay_alu instid0(VALU_DEP_1) | instskip(NEXT) | instid1(VALU_DEP_1)
	v_add_nc_u32_e32 v2, v2, v14
	v_mul_hi_u32 v2, v0, v2
	s_delay_alu instid0(VALU_DEP_1) | instskip(NEXT) | instid1(VALU_DEP_1)
	v_mul_lo_u32 v14, v2, s1
	v_sub_nc_u32_e32 v14, v0, v14
	s_delay_alu instid0(VALU_DEP_1) | instskip(SKIP_1) | instid1(VALU_DEP_2)
	v_subrev_nc_u32_e32 v16, s1, v14
	v_cmp_le_u32_e32 vcc_lo, s1, v14
	v_dual_cndmask_b32 v14, v14, v16 :: v_dual_add_nc_u32 v15, 1, v2
	s_delay_alu instid0(VALU_DEP_1) | instskip(NEXT) | instid1(VALU_DEP_2)
	v_cndmask_b32_e32 v2, v2, v15, vcc_lo
	v_cmp_le_u32_e32 vcc_lo, s1, v14
	s_delay_alu instid0(VALU_DEP_2) | instskip(NEXT) | instid1(VALU_DEP_1)
	v_dual_mul_f32 v14, 0x3b124925, v1 :: v_dual_add_nc_u32 v15, 1, v2
	v_cndmask_b32_e32 v15, v2, v15, vcc_lo
	v_cmp_gt_u32_e32 vcc_lo, s13, v5
	s_delay_alu instid0(VALU_DEP_2) | instskip(NEXT) | instid1(VALU_DEP_1)
	v_mul_lo_u32 v2, v15, s1
	v_sub_nc_u32_e32 v2, v0, v2
	s_delay_alu instid0(VALU_DEP_1) | instskip(NEXT) | instid1(VALU_DEP_1)
	v_cmp_eq_u32_e64 s1, 0, v2
                                        ; implicit-def: $vgpr1_vgpr2
	s_and_b32 s6, s1, vcc_lo
	s_mov_b32 s1, 0
	s_and_saveexec_b32 s7, s6
	s_delay_alu instid0(SALU_CYCLE_1)
	s_xor_b32 s16, exec_lo, s7
	s_cbranch_execz .LBB3_37
; %bb.29:
	s_bitcmp0_b32 s19, 0
	s_mov_b32 s10, 0
	s_cbranch_scc0 .LBB3_34
; %bb.30:
	s_ashr_i32 s1, s13, 31
	s_mul_hi_u32 s7, s13, s2
	s_mul_i32 s1, s1, s2
	s_mul_i32 s6, s13, s2
	s_add_i32 s7, s7, s1
	s_mov_b32 s19, s11
	s_delay_alu instid0(SALU_CYCLE_1) | instskip(NEXT) | instid1(SALU_CYCLE_1)
	s_or_b64 s[14:15], s[6:7], s[18:19]
	s_mov_b32 s11, s15
	s_delay_alu instid0(SALU_CYCLE_1)
	s_cmp_lg_u64 s[10:11], 0
	s_cbranch_scc0 .LBB3_45
; %bb.31:
	s_add_u32 s14, s18, s19
	s_mov_b32 s10, s19
	s_mov_b32 s11, s19
	s_addc_u32 s15, s19, s19
	s_delay_alu instid0(SALU_CYCLE_1) | instskip(NEXT) | instid1(SALU_CYCLE_1)
	s_xor_b64 s[14:15], s[14:15], s[10:11]
	v_cvt_f32_u32_e32 v1, s14
	v_cvt_f32_u32_e32 v2, s15
	s_sub_u32 s20, 0, s14
	s_subb_u32 s21, 0, s15
	s_delay_alu instid0(VALU_DEP_1) | instskip(NEXT) | instid1(VALU_DEP_1)
	v_fmamk_f32 v1, v2, 0x4f800000, v1
	v_rcp_f32_e32 v1, v1
	s_waitcnt_depctr 0xfff
	v_mul_f32_e32 v1, 0x5f7ffffc, v1
	s_delay_alu instid0(VALU_DEP_1) | instskip(NEXT) | instid1(VALU_DEP_1)
	v_mul_f32_e32 v2, 0x2f800000, v1
	v_trunc_f32_e32 v2, v2
	s_delay_alu instid0(VALU_DEP_1) | instskip(SKIP_1) | instid1(VALU_DEP_2)
	v_fmamk_f32 v1, v2, 0xcf800000, v1
	v_cvt_u32_f32_e32 v2, v2
	v_cvt_u32_f32_e32 v1, v1
	s_delay_alu instid0(VALU_DEP_2) | instskip(NEXT) | instid1(VALU_DEP_2)
	v_readfirstlane_b32 s1, v2
	v_readfirstlane_b32 s19, v1
	s_delay_alu instid0(VALU_DEP_2) | instskip(NEXT) | instid1(VALU_DEP_1)
	s_mul_i32 s22, s20, s1
	s_mul_hi_u32 s24, s20, s19
	s_mul_i32 s23, s21, s19
	s_add_i32 s22, s24, s22
	s_mul_i32 s25, s20, s19
	s_add_i32 s22, s22, s23
	s_mul_hi_u32 s24, s19, s25
	s_mul_hi_u32 s26, s1, s25
	s_mul_i32 s23, s1, s25
	s_mul_hi_u32 s25, s19, s22
	s_mul_i32 s19, s19, s22
	s_mul_hi_u32 s27, s1, s22
	s_add_u32 s19, s24, s19
	s_addc_u32 s24, 0, s25
	s_add_u32 s19, s19, s23
	s_mul_i32 s22, s1, s22
	s_addc_u32 s19, s24, s26
	s_addc_u32 s23, s27, 0
	s_add_u32 s19, s19, s22
	s_addc_u32 s22, 0, s23
	v_add_co_u32 v1, s19, v1, s19
	s_delay_alu instid0(VALU_DEP_1) | instskip(SKIP_1) | instid1(VALU_DEP_1)
	s_cmp_lg_u32 s19, 0
	s_addc_u32 s1, s1, s22
	v_readfirstlane_b32 s19, v1
	s_mul_i32 s22, s20, s1
	s_delay_alu instid0(VALU_DEP_1)
	s_mul_hi_u32 s23, s20, s19
	s_mul_i32 s21, s21, s19
	s_add_i32 s22, s23, s22
	s_mul_i32 s20, s20, s19
	s_add_i32 s22, s22, s21
	s_mul_hi_u32 s23, s1, s20
	s_mul_i32 s24, s1, s20
	s_mul_hi_u32 s20, s19, s20
	s_mul_hi_u32 s25, s19, s22
	s_mul_i32 s19, s19, s22
	s_mul_hi_u32 s21, s1, s22
	s_add_u32 s19, s20, s19
	s_addc_u32 s20, 0, s25
	s_add_u32 s19, s19, s24
	s_mul_i32 s22, s1, s22
	s_addc_u32 s19, s20, s23
	s_addc_u32 s20, s21, 0
	s_add_u32 s19, s19, s22
	s_addc_u32 s20, 0, s20
	v_add_co_u32 v1, s19, v1, s19
	s_delay_alu instid0(VALU_DEP_1) | instskip(SKIP_2) | instid1(SALU_CYCLE_1)
	s_cmp_lg_u32 s19, 0
	s_addc_u32 s1, s1, s20
	s_ashr_i32 s20, s7, 31
	s_add_u32 s22, s6, s20
	s_addc_u32 s23, s7, s20
	v_readfirstlane_b32 s7, v1
	s_mov_b32 s21, s20
	s_delay_alu instid0(SALU_CYCLE_1) | instskip(NEXT) | instid1(SALU_CYCLE_1)
	s_xor_b64 s[22:23], s[22:23], s[20:21]
	s_mul_i32 s24, s22, s1
	s_delay_alu instid0(VALU_DEP_1)
	s_mul_hi_u32 s25, s22, s7
	s_mul_hi_u32 s19, s22, s1
	;; [unrolled: 1-line block ×3, first 2 shown]
	s_mul_i32 s7, s23, s7
	s_add_u32 s24, s25, s24
	s_addc_u32 s19, 0, s19
	s_mul_hi_u32 s26, s23, s1
	s_add_u32 s7, s24, s7
	s_mul_i32 s1, s23, s1
	s_addc_u32 s7, s19, s27
	s_addc_u32 s19, s26, 0
	s_add_u32 s7, s7, s1
	s_addc_u32 s19, 0, s19
	s_mul_i32 s26, s14, s7
	s_mul_hi_u32 s1, s14, s7
	s_mul_i32 s25, s14, s19
	v_sub_co_u32 v1, s22, s22, s26
	s_mul_i32 s24, s15, s7
	s_add_i32 s1, s1, s25
	s_delay_alu instid0(SALU_CYCLE_1) | instskip(NEXT) | instid1(VALU_DEP_1)
	s_add_i32 s1, s1, s24
	v_sub_co_u32 v2, s25, v1, s14
	s_sub_i32 s24, s23, s1
	s_cmp_lg_u32 s22, 0
	s_subb_u32 s24, s24, s15
	s_cmp_lg_u32 s25, 0
	v_cmp_le_u32_e32 vcc_lo, s14, v2
	s_subb_u32 s24, s24, 0
	s_delay_alu instid0(SALU_CYCLE_1)
	s_cmp_ge_u32 s24, s15
	v_cndmask_b32_e64 v2, 0, -1, vcc_lo
	s_cselect_b32 s25, -1, 0
	s_cmp_eq_u32 s24, s15
	s_cselect_b32 vcc_lo, -1, 0
	s_add_u32 s24, s7, 1
	v_cndmask_b32_e32 v2, s25, v2, vcc_lo
	s_addc_u32 s25, s19, 0
	s_add_u32 s26, s7, 2
	s_addc_u32 s27, s19, 0
	s_cmp_lg_u32 s22, 0
	v_cmp_le_u32_e32 vcc_lo, s14, v1
	s_subb_u32 s1, s23, s1
	v_mov_b32_e32 v16, s26
	s_cmp_ge_u32 s1, s15
	v_cndmask_b32_e64 v1, 0, -1, vcc_lo
	s_cselect_b32 s14, -1, 0
	s_cmp_eq_u32 s1, s15
	v_cmp_ne_u32_e32 vcc_lo, 0, v2
	v_mov_b32_e32 v2, s27
	s_cselect_b32 s1, -1, 0
	s_xor_b64 s[10:11], s[20:21], s[10:11]
	v_cndmask_b32_e64 v1, s14, v1, s1
	v_cndmask_b32_e32 v16, s24, v16, vcc_lo
	v_cndmask_b32_e32 v2, s25, v2, vcc_lo
	s_delay_alu instid0(VALU_DEP_3) | instskip(NEXT) | instid1(VALU_DEP_2)
	v_cmp_ne_u32_e32 vcc_lo, 0, v1
	v_cndmask_b32_e32 v1, s19, v2, vcc_lo
	s_delay_alu instid0(VALU_DEP_4) | instskip(NEXT) | instid1(VALU_DEP_2)
	v_cndmask_b32_e32 v2, s7, v16, vcc_lo
	v_xor_b32_e32 v16, s11, v1
	s_delay_alu instid0(VALU_DEP_2) | instskip(NEXT) | instid1(VALU_DEP_1)
	v_xor_b32_e32 v2, s10, v2
	v_sub_co_u32 v1, vcc_lo, v2, s10
	s_delay_alu instid0(VALU_DEP_3)
	v_subrev_co_ci_u32_e32 v2, vcc_lo, s11, v16, vcc_lo
	s_cbranch_execnz .LBB3_33
.LBB3_32:
	v_cvt_f32_u32_e32 v1, s18
	s_sub_i32 s7, 0, s18
	s_delay_alu instid0(VALU_DEP_1) | instskip(SKIP_2) | instid1(VALU_DEP_1)
	v_rcp_iflag_f32_e32 v1, v1
	s_waitcnt_depctr 0xfff
	v_mul_f32_e32 v1, 0x4f7ffffe, v1
	v_cvt_u32_f32_e32 v1, v1
	s_delay_alu instid0(VALU_DEP_1) | instskip(NEXT) | instid1(VALU_DEP_1)
	v_readfirstlane_b32 s1, v1
	s_mul_i32 s7, s7, s1
	s_delay_alu instid0(SALU_CYCLE_1) | instskip(NEXT) | instid1(SALU_CYCLE_1)
	s_mul_hi_u32 s7, s1, s7
	s_add_i32 s1, s1, s7
	s_delay_alu instid0(SALU_CYCLE_1) | instskip(NEXT) | instid1(SALU_CYCLE_1)
	s_mul_hi_u32 s1, s6, s1
	s_mul_i32 s7, s1, s18
	s_delay_alu instid0(SALU_CYCLE_1)
	s_sub_i32 s6, s6, s7
	s_add_i32 s7, s1, 1
	s_sub_i32 s10, s6, s18
	s_cmp_ge_u32 s6, s18
	s_cselect_b32 s1, s7, s1
	s_cselect_b32 s6, s10, s6
	s_add_i32 s10, s1, 1
	s_cmp_ge_u32 s6, s18
	s_mov_b32 s7, 0
	s_cselect_b32 s6, s10, s1
	s_delay_alu instid0(SALU_CYCLE_1)
	v_dual_mov_b32 v1, s6 :: v_dual_mov_b32 v2, s7
.LBB3_33:
	s_delay_alu instid0(VALU_DEP_1) | instskip(NEXT) | instid1(VALU_DEP_2)
	v_add_co_u32 v1, vcc_lo, v1, v15
	v_add_co_ci_u32_e32 v2, vcc_lo, 0, v2, vcc_lo
	s_branch .LBB3_36
.LBB3_34:
                                        ; implicit-def: $vgpr1_vgpr2
	s_cbranch_execz .LBB3_36
; %bb.35:
	v_mul_lo_u32 v1, v15, s12
	s_delay_alu instid0(VALU_DEP_1) | instskip(SKIP_1) | instid1(VALU_DEP_2)
	v_ashrrev_i32_e32 v2, 31, v1
	v_add_co_u32 v1, vcc_lo, v1, s2
	v_add_co_ci_u32_e32 v2, vcc_lo, 0, v2, vcc_lo
.LBB3_36:
	s_mov_b32 s1, exec_lo
.LBB3_37:
	s_or_b32 exec_lo, exec_lo, s16
	s_delay_alu instid0(SALU_CYCLE_1)
	s_and_b32 vcc_lo, exec_lo, s31
	s_cbranch_vccz .LBB3_41
.LBB3_38:
	v_mov_b32_dpp v1, v13 quad_perm:[1,0,3,2] row_mask:0xf bank_mask:0xf
	s_delay_alu instid0(VALU_DEP_1) | instskip(SKIP_1) | instid1(VALU_DEP_1)
	v_cmp_gt_f32_e32 vcc_lo, v13, v1
	v_cndmask_b32_e32 v1, v1, v13, vcc_lo
	v_mov_b32_dpp v2, v1 quad_perm:[2,3,0,1] row_mask:0xf bank_mask:0xf
	s_delay_alu instid0(VALU_DEP_1) | instskip(SKIP_1) | instid1(VALU_DEP_1)
	v_cmp_gt_f32_e32 vcc_lo, v1, v2
	v_cndmask_b32_e32 v1, v2, v1, vcc_lo
	v_mov_b32_dpp v2, v1 row_xmask:7 row_mask:0xf bank_mask:0xf
	s_delay_alu instid0(VALU_DEP_1) | instskip(SKIP_1) | instid1(VALU_DEP_1)
	v_cmp_gt_f32_e32 vcc_lo, v1, v2
	v_cndmask_b32_e32 v1, v2, v1, vcc_lo
	v_mov_b32_dpp v2, v1 row_xmask:15 row_mask:0xf bank_mask:0xf
	s_delay_alu instid0(VALU_DEP_1)
	v_cmp_gt_f32_e32 vcc_lo, v1, v2
	s_and_saveexec_b32 s1, s0
	s_cbranch_execz .LBB3_40
; %bb.39:
	v_cndmask_b32_e32 v1, v2, v1, vcc_lo
	v_lshrrev_b32_e32 v2, 3, v0
	s_mov_b32 s0, 0x76543210
	s_delay_alu instid0(VALU_DEP_1) | instskip(NEXT) | instid1(VALU_DEP_3)
	v_and_b32_e32 v2, 0x7c, v2
	v_permlanex16_b32 v13, v1, s0, 0xfedcba98 op_sel:[1,1]
	s_delay_alu instid0(VALU_DEP_1)
	v_cmp_gt_f32_e32 vcc_lo, v1, v13
	v_cndmask_b32_e32 v1, v13, v1, vcc_lo
	ds_store_b32 v2, v1
.LBB3_40:
	s_or_b32 exec_lo, exec_lo, s1
	s_waitcnt lgkmcnt(0)
	s_barrier
	buffer_gl0_inv
	ds_load_b32 v1, v6
	v_cmp_eq_u32_e64 s1, 0, v0
	s_waitcnt lgkmcnt(0)
	v_mov_b32_dpp v2, v1 quad_perm:[1,0,3,2] row_mask:0xf bank_mask:0xf
	s_delay_alu instid0(VALU_DEP_1) | instskip(SKIP_1) | instid1(VALU_DEP_1)
	v_cmp_gt_f32_e32 vcc_lo, v1, v2
	v_cndmask_b32_e32 v1, v2, v1, vcc_lo
	v_dual_mul_f32 v14, 0x3b124925, v1 :: v_dual_mov_b32 v1, s2
	v_mov_b32_e32 v2, s3
.LBB3_41:
	s_and_saveexec_b32 s0, s1
	s_cbranch_execz .LBB3_43
; %bb.42:
	s_delay_alu instid0(VALU_DEP_1) | instskip(NEXT) | instid1(VALU_DEP_1)
	v_lshlrev_b64 v[0:1], 2, v[1:2]
	v_add_co_u32 v0, vcc_lo, s8, v0
	s_delay_alu instid0(VALU_DEP_2)
	v_add_co_ci_u32_e32 v1, vcc_lo, s9, v1, vcc_lo
	global_store_b32 v[0:1], v14, off
.LBB3_43:
	s_or_b32 exec_lo, exec_lo, s0
	;;#ASMSTART
	v_rcp_f32 v0, v14
	;;#ASMEND
	v_dual_mul_f32 v1, v11, v0 :: v_dual_mov_b32 v6, 0xc3e00000
	v_dual_mul_f32 v2, v12, v0 :: v_dual_mov_b32 v11, 0x43e00000
	v_mul_f32_e32 v9, v9, v0
	v_mul_f32_e32 v10, v10, v0
	;;#ASMSTART
	v_med3_f32 v1, v1, v6, v11
v_med3_f32 v2, v2, v6, v11
v_cvt_pk_fp8_f32 v12, v1, v2
	;;#ASMEND
	;;#ASMSTART
	v_med3_f32 v9, v9, v6, v11
v_med3_f32 v10, v10, v6, v11
v_cvt_pk_fp8_f32 v1, v9, v10
	;;#ASMEND
	v_perm_b32 v2, v1, v12, 0x5040100
	v_and_b32_e32 v1, 0xffffff00, v1
	s_add_i32 s0, s13, 3
	v_mul_f32_e32 v7, v7, v0
	s_ashr_i32 s7, s0, 31
	v_lshrrev_b32_e32 v9, 16, v2
	v_mul_f32_e32 v8, v8, v0
	s_ashr_i32 s1, s17, 31
	s_lshr_b32 s7, s7, 30
	s_mul_hi_u32 s3, s17, s2
	v_and_b32_e32 v9, 0xff, v9
	s_add_i32 s0, s0, s7
	s_mul_i32 s1, s1, s2
	s_mul_i32 s6, s17, s2
	s_and_b32 s2, s0, -4
	v_or_b32_e32 v1, v9, v1
	v_mul_f32_e32 v4, v4, v0
	v_mul_f32_e32 v0, v3, v0
	;;#ASMSTART
	v_med3_f32 v8, v8, v6, v11
v_med3_f32 v7, v7, v6, v11
v_cvt_pk_fp8_f32 v3, v8, v7
	;;#ASMEND
	s_add_i32 s3, s3, s1
	v_lshlrev_b32_e32 v1, 16, v1
	;;#ASMSTART
	v_med3_f32 v4, v4, v6, v11
v_med3_f32 v0, v0, v6, v11
v_cvt_pk_fp8_f32 v6, v4, v0
	;;#ASMEND
	v_lshlrev_b32_e32 v4, 16, v6
	s_add_u32 s0, s4, s6
	s_addc_u32 s1, s5, s3
	v_and_or_b32 v0, 0xffff, v2, v1
	s_and_b32 s1, s1, 0xffff
	v_and_or_b32 v1, 0xffff, v3, v4
	s_mov_b32 s3, -1
	buffer_store_b64 v[0:1], v5, s[0:3], 0 offen
	;;#ASMSTART
	s_nop 0
	;;#ASMEND
.LBB3_44:
	s_nop 0
	s_sendmsg sendmsg(MSG_DEALLOC_VGPRS)
	s_endpgm
.LBB3_45:
                                        ; implicit-def: $vgpr1_vgpr2
	s_branch .LBB3_32
	.section	.rodata,"a",@progbits
	.p2align	6, 0x0
	.amdhsa_kernel _ZN5aiter24add_rmsnorm_quant_kernelIDF16_DB8_Li64ELi8ELb1ELb1ELb0ELi1EEEvPT0_PT_PfS5_S5_S5_diiiiiiib
		.amdhsa_group_segment_fixed_size 16
		.amdhsa_private_segment_fixed_size 0
		.amdhsa_kernarg_size 88
		.amdhsa_user_sgpr_count 15
		.amdhsa_user_sgpr_dispatch_ptr 0
		.amdhsa_user_sgpr_queue_ptr 0
		.amdhsa_user_sgpr_kernarg_segment_ptr 1
		.amdhsa_user_sgpr_dispatch_id 0
		.amdhsa_user_sgpr_private_segment_size 0
		.amdhsa_wavefront_size32 1
		.amdhsa_uses_dynamic_stack 0
		.amdhsa_enable_private_segment 0
		.amdhsa_system_sgpr_workgroup_id_x 1
		.amdhsa_system_sgpr_workgroup_id_y 0
		.amdhsa_system_sgpr_workgroup_id_z 0
		.amdhsa_system_sgpr_workgroup_info 0
		.amdhsa_system_vgpr_workitem_id 0
		.amdhsa_next_free_vgpr 25
		.amdhsa_next_free_sgpr 40
		.amdhsa_reserve_vcc 1
		.amdhsa_float_round_mode_32 0
		.amdhsa_float_round_mode_16_64 0
		.amdhsa_float_denorm_mode_32 3
		.amdhsa_float_denorm_mode_16_64 3
		.amdhsa_dx10_clamp 1
		.amdhsa_ieee_mode 1
		.amdhsa_fp16_overflow 0
		.amdhsa_workgroup_processor_mode 1
		.amdhsa_memory_ordered 1
		.amdhsa_forward_progress 0
		.amdhsa_shared_vgpr_count 0
		.amdhsa_exception_fp_ieee_invalid_op 0
		.amdhsa_exception_fp_denorm_src 0
		.amdhsa_exception_fp_ieee_div_zero 0
		.amdhsa_exception_fp_ieee_overflow 0
		.amdhsa_exception_fp_ieee_underflow 0
		.amdhsa_exception_fp_ieee_inexact 0
		.amdhsa_exception_int_div_zero 0
	.end_amdhsa_kernel
	.section	.text._ZN5aiter24add_rmsnorm_quant_kernelIDF16_DB8_Li64ELi8ELb1ELb1ELb0ELi1EEEvPT0_PT_PfS5_S5_S5_diiiiiiib,"axG",@progbits,_ZN5aiter24add_rmsnorm_quant_kernelIDF16_DB8_Li64ELi8ELb1ELb1ELb0ELi1EEEvPT0_PT_PfS5_S5_S5_diiiiiiib,comdat
.Lfunc_end3:
	.size	_ZN5aiter24add_rmsnorm_quant_kernelIDF16_DB8_Li64ELi8ELb1ELb1ELb0ELi1EEEvPT0_PT_PfS5_S5_S5_diiiiiiib, .Lfunc_end3-_ZN5aiter24add_rmsnorm_quant_kernelIDF16_DB8_Li64ELi8ELb1ELb1ELb0ELi1EEEvPT0_PT_PfS5_S5_S5_diiiiiiib
                                        ; -- End function
	.section	.AMDGPU.csdata,"",@progbits
; Kernel info:
; codeLenInByte = 3556
; NumSgprs: 42
; NumVgprs: 25
; ScratchSize: 0
; MemoryBound: 0
; FloatMode: 240
; IeeeMode: 1
; LDSByteSize: 16 bytes/workgroup (compile time only)
; SGPRBlocks: 5
; VGPRBlocks: 3
; NumSGPRsForWavesPerEU: 42
; NumVGPRsForWavesPerEU: 25
; Occupancy: 16
; WaveLimiterHint : 0
; COMPUTE_PGM_RSRC2:SCRATCH_EN: 0
; COMPUTE_PGM_RSRC2:USER_SGPR: 15
; COMPUTE_PGM_RSRC2:TRAP_HANDLER: 0
; COMPUTE_PGM_RSRC2:TGID_X_EN: 1
; COMPUTE_PGM_RSRC2:TGID_Y_EN: 0
; COMPUTE_PGM_RSRC2:TGID_Z_EN: 0
; COMPUTE_PGM_RSRC2:TIDIG_COMP_CNT: 0
	.section	.text._ZN5aiter24add_rmsnorm_quant_kernelItDB8_Li64ELi8ELb1ELb1ELb0ELi1EEEvPT0_PT_PfS5_S5_S5_diiiiiiib,"axG",@progbits,_ZN5aiter24add_rmsnorm_quant_kernelItDB8_Li64ELi8ELb1ELb1ELb0ELi1EEEvPT0_PT_PfS5_S5_S5_diiiiiiib,comdat
	.protected	_ZN5aiter24add_rmsnorm_quant_kernelItDB8_Li64ELi8ELb1ELb1ELb0ELi1EEEvPT0_PT_PfS5_S5_S5_diiiiiiib ; -- Begin function _ZN5aiter24add_rmsnorm_quant_kernelItDB8_Li64ELi8ELb1ELb1ELb0ELi1EEEvPT0_PT_PfS5_S5_S5_diiiiiiib
	.globl	_ZN5aiter24add_rmsnorm_quant_kernelItDB8_Li64ELi8ELb1ELb1ELb0ELi1EEEvPT0_PT_PfS5_S5_S5_diiiiiiib
	.p2align	8
	.type	_ZN5aiter24add_rmsnorm_quant_kernelItDB8_Li64ELi8ELb1ELb1ELb0ELi1EEEvPT0_PT_PfS5_S5_S5_diiiiiiib,@function
_ZN5aiter24add_rmsnorm_quant_kernelItDB8_Li64ELi8ELb1ELb1ELb0ELi1EEEvPT0_PT_PfS5_S5_S5_diiiiiiib: ; @_ZN5aiter24add_rmsnorm_quant_kernelItDB8_Li64ELi8ELb1ELb1ELb0ELi1EEEvPT0_PT_PfS5_S5_S5_diiiiiiib
; %bb.0:
	s_mov_b32 s2, s15
	s_load_b256 s[12:19], s[0:1], 0x38
	s_mov_b32 s3, 0
	s_waitcnt lgkmcnt(0)
	s_ashr_i32 s5, s12, 31
	s_mov_b32 s4, s12
	s_delay_alu instid0(SALU_CYCLE_1) | instskip(NEXT) | instid1(VALU_DEP_1)
	v_cmp_ge_i64_e64 s4, s[2:3], s[4:5]
	s_and_b32 vcc_lo, exec_lo, s4
	s_cbranch_vccnz .LBB4_44
; %bb.1:
	s_clause 0x1
	s_load_b256 s[4:11], s[0:1], 0x0
	s_load_b256 s[20:27], s[0:1], 0x20
	s_ashr_i32 s1, s14, 31
	s_waitcnt lgkmcnt(0)
	s_mul_hi_u32 s26, s14, s2
	s_mul_i32 s1, s1, s2
	s_mul_i32 s0, s14, s2
	s_add_i32 s1, s26, s1
	s_mul_hi_u32 s26, s15, s2
	s_lshl_b64 s[0:1], s[0:1], 1
	v_lshlrev_b32_e32 v19, 4, v0
	s_mul_i32 s14, s15, s2
	s_mov_b32 s31, -1
	s_delay_alu instid0(SALU_CYCLE_1)
	s_mov_b32 s39, s31
	s_add_u32 s28, s10, s0
	s_addc_u32 s0, s11, s1
	s_add_i32 s1, s13, 1
	s_ashr_i32 s10, s15, 31
	s_lshr_b32 s11, s1, 31
	s_mul_i32 s10, s10, s2
	s_add_i32 s1, s1, s11
	s_and_b32 s29, s0, 0xffff
	s_lshl_b32 s0, s1, 1
	s_add_i32 s15, s26, s10
	s_and_b32 s30, s0, -4
	s_lshl_b64 s[0:1], s[14:15], 1
	s_and_b32 s37, s23, 0xffff
	buffer_load_b128 v[5:8], v19, s[28:31], 0 offen glc slc
	s_add_u32 s28, s20, s0
	s_addc_u32 s0, s21, s1
	s_mov_b32 s36, s22
	s_and_b32 s29, s0, 0xffff
	s_mov_b32 s38, s30
	buffer_load_b128 v[9:12], v19, s[28:31], 0 offen glc slc
	s_ashr_i32 s0, s16, 31
	s_mul_hi_u32 s1, s16, s2
	s_mul_i32 s10, s0, s2
	s_mul_i32 s0, s16, s2
	s_add_i32 s1, s1, s10
	s_delay_alu instid0(SALU_CYCLE_1) | instskip(NEXT) | instid1(SALU_CYCLE_1)
	s_lshl_b64 s[0:1], s[0:1], 1
	s_add_u32 s28, s6, s0
	s_addc_u32 s1, s7, s1
	s_delay_alu instid0(SALU_CYCLE_1)
	s_and_b32 s29, s1, 0xffff
	s_waitcnt vmcnt(1)
	v_lshrrev_b32_e32 v15, 16, v7
	v_and_b32_e32 v17, 0xffff, v7
	v_lshrrev_b32_e32 v14, 16, v6
	v_lshrrev_b32_e32 v18, 16, v8
	s_waitcnt vmcnt(0)
	v_and_b32_e32 v7, 0xffff, v9
	v_lshrrev_b32_e32 v16, 16, v9
	s_delay_alu instid0(VALU_DEP_2) | instskip(SKIP_2) | instid1(VALU_DEP_4)
	v_cvt_f32_u32_e32 v20, v7
	v_and_b32_e32 v13, 0xffff, v5
	v_lshrrev_b32_e32 v5, 16, v5
	v_cvt_f32_u32_e32 v9, v16
	s_delay_alu instid0(VALU_DEP_2) | instskip(NEXT) | instid1(VALU_DEP_1)
	v_cvt_f32_u32_e32 v5, v5
	v_dual_add_f32 v7, v5, v9 :: v_dual_and_b32 v6, 0xffff, v6
	s_delay_alu instid0(VALU_DEP_1) | instskip(SKIP_3) | instid1(VALU_DEP_2)
	v_cvt_f32_u32_e32 v5, v6
	v_and_b32_e32 v16, 0xffff, v8
	v_cvt_f32_u32_e32 v8, v13
	v_lshrrev_b32_e32 v6, 16, v10
	v_add_f32_e32 v8, v8, v20
	v_mul_f32_e32 v20, v7, v7
	buffer_load_b128 v[1:4], v19, s[36:39], 0 offen
	v_cvt_f32_u32_e32 v6, v6
	v_dual_fmac_f32 v20, v8, v8 :: v_dual_and_b32 v13, 0xffff, v10
	v_cvt_f32_u32_e32 v10, v14
	s_delay_alu instid0(VALU_DEP_2) | instskip(NEXT) | instid1(VALU_DEP_2)
	v_cvt_f32_u32_e32 v9, v13
	v_add_f32_e32 v10, v10, v6
	v_cvt_f32_u32_e32 v6, v15
	s_delay_alu instid0(VALU_DEP_3) | instskip(SKIP_1) | instid1(VALU_DEP_2)
	v_add_f32_e32 v9, v5, v9
	v_cvt_f32_u32_e32 v5, v17
	v_dual_fmac_f32 v20, v9, v9 :: v_dual_and_b32 v13, 0xffff, v11
	v_lshrrev_b32_e32 v11, 16, v11
	s_delay_alu instid0(VALU_DEP_2) | instskip(NEXT) | instid1(VALU_DEP_3)
	v_fmac_f32_e32 v20, v10, v10
	v_cvt_f32_u32_e32 v13, v13
	v_and_b32_e32 v14, 0xffff, v12
	s_delay_alu instid0(VALU_DEP_4) | instskip(NEXT) | instid1(VALU_DEP_3)
	v_cvt_f32_u32_e32 v15, v11
	v_add_f32_e32 v11, v5, v13
	v_cvt_f32_u32_e32 v5, v16
	v_lshrrev_b32_e32 v13, 16, v12
	v_cvt_f32_u32_e32 v14, v14
	v_add_f32_e32 v12, v6, v15
	v_fmac_f32_e32 v20, v11, v11
	v_cvt_f32_u32_e32 v6, v18
	v_cvt_f32_u32_e32 v15, v13
	v_add_f32_e32 v13, v5, v14
	v_perm_b32 v17, v12, v11, 0x7060302
	v_fmac_f32_e32 v20, v12, v12
	v_perm_b32 v16, v10, v9, 0x7060302
	v_add_f32_e32 v14, v6, v15
	v_perm_b32 v15, v7, v8, 0x7060302
	s_delay_alu instid0(VALU_DEP_4) | instskip(NEXT) | instid1(VALU_DEP_1)
	v_fmac_f32_e32 v20, v13, v13
	v_fmac_f32_e32 v20, v14, v14
	s_delay_alu instid0(VALU_DEP_1) | instskip(NEXT) | instid1(VALU_DEP_1)
	v_mov_b32_dpp v5, v20 quad_perm:[1,0,3,2] row_mask:0xf bank_mask:0xf
	v_dual_add_f32 v5, v20, v5 :: v_dual_and_b32 v20, 31, v0
	v_perm_b32 v18, v14, v13, 0x7060302
	s_delay_alu instid0(VALU_DEP_2) | instskip(NEXT) | instid1(VALU_DEP_3)
	v_mov_b32_dpp v6, v5 quad_perm:[2,3,0,1] row_mask:0xf bank_mask:0xf
	v_cmp_eq_u32_e64 s0, 31, v20
	buffer_store_b128 v[15:18], v19, s[28:31], 0 offen glc slc
	;;#ASMSTART
	s_nop 0
	;;#ASMEND
	v_add_f32_e32 v5, v5, v6
	s_delay_alu instid0(VALU_DEP_1) | instskip(NEXT) | instid1(VALU_DEP_1)
	v_mov_b32_dpp v6, v5 row_xmask:7 row_mask:0xf bank_mask:0xf
	v_add_f32_e32 v5, v5, v6
	s_delay_alu instid0(VALU_DEP_1)
	v_mov_b32_dpp v6, v5 row_xmask:15 row_mask:0xf bank_mask:0xf
	s_and_saveexec_b32 s1, s0
	s_cbranch_execz .LBB4_3
; %bb.2:
	s_delay_alu instid0(VALU_DEP_1) | instskip(SKIP_2) | instid1(VALU_DEP_2)
	v_add_f32_e32 v5, v5, v6
	s_mov_b32 s6, 0x76543210
	v_lshrrev_b32_e32 v6, 3, v0
	v_permlanex16_b32 v15, v5, s6, 0xfedcba98 op_sel:[1,1]
	s_delay_alu instid0(VALU_DEP_1)
	v_dual_add_f32 v5, v5, v15 :: v_dual_and_b32 v6, 0x7c, v6
	ds_store_b32 v6, v5 offset:8
.LBB4_3:
	s_or_b32 exec_lo, exec_lo, s1
	v_and_b32_e32 v5, 1, v0
	s_waitcnt vmcnt(0) lgkmcnt(0)
	s_waitcnt_vscnt null, 0x0
	s_barrier
	buffer_gl0_inv
	v_cvt_f32_i32_e32 v16, s13
	v_lshlrev_b32_e32 v6, 2, v5
	s_cmp_lg_u32 s18, 0
	ds_load_b32 v5, v6 offset:8
	s_waitcnt lgkmcnt(0)
	v_mov_b32_dpp v15, v5 quad_perm:[1,0,3,2] row_mask:0xf bank_mask:0xf
	s_delay_alu instid0(VALU_DEP_1) | instskip(NEXT) | instid1(VALU_DEP_1)
	v_add_f32_e32 v5, v5, v15
	v_div_scale_f32 v15, null, v16, v16, v5
	v_div_scale_f32 v19, vcc_lo, v5, v16, v5
	s_delay_alu instid0(VALU_DEP_2) | instskip(SKIP_2) | instid1(VALU_DEP_1)
	v_rcp_f32_e32 v17, v15
	s_waitcnt_depctr 0xfff
	v_fma_f32 v18, -v15, v17, 1.0
	v_fmac_f32_e32 v17, v18, v17
	s_delay_alu instid0(VALU_DEP_1) | instskip(NEXT) | instid1(VALU_DEP_1)
	v_mul_f32_e32 v18, v19, v17
	v_fma_f32 v20, -v15, v18, v19
	s_delay_alu instid0(VALU_DEP_1) | instskip(SKIP_1) | instid1(VALU_DEP_2)
	v_fmac_f32_e32 v18, v20, v17
	v_mov_b32_e32 v20, 0x2edbe6ff
	v_fma_f32 v15, -v15, v18, v19
	s_delay_alu instid0(VALU_DEP_1) | instskip(SKIP_2) | instid1(VALU_DEP_3)
	v_div_fmas_f32 v15, v15, v17, v18
	v_and_b32_e32 v18, 0xffff, v3
	v_lshrrev_b32_e32 v3, 16, v3
	v_div_fixup_f32 v5, v15, v16, v5
	s_delay_alu instid0(VALU_DEP_3) | instskip(NEXT) | instid1(VALU_DEP_3)
	v_cvt_f32_u32_e32 v18, v18
	v_cvt_f32_u32_e32 v3, v3
	s_delay_alu instid0(VALU_DEP_3) | instskip(NEXT) | instid1(VALU_DEP_1)
	v_cvt_f64_f32_e32 v[15:16], v5
	v_add_f64 v[15:16], v[15:16], s[24:25]
	s_delay_alu instid0(VALU_DEP_1) | instskip(SKIP_2) | instid1(VALU_DEP_2)
	v_cvt_f32_f64_e32 v5, v[15:16]
	v_and_b32_e32 v16, 0xffff, v1
	v_lshrrev_b32_e32 v1, 16, v1
	v_cvt_f32_u32_e32 v16, v16
	s_delay_alu instid0(VALU_DEP_2) | instskip(SKIP_2) | instid1(VALU_DEP_2)
	v_cvt_f32_u32_e32 v1, v1
	v_mul_f32_e32 v15, 0x4b800000, v5
	v_cmp_gt_f32_e32 vcc_lo, 0x800000, v5
	v_cndmask_b32_e32 v15, v5, v15, vcc_lo
	v_lshlrev_b32_e32 v5, 3, v0
	s_delay_alu instid0(VALU_DEP_2) | instskip(SKIP_2) | instid1(VALU_DEP_1)
	v_rsq_f32_e32 v15, v15
	s_waitcnt_depctr 0xfff
	v_mul_f32_e32 v21, 0x45800000, v15
	v_cndmask_b32_e32 v15, v15, v21, vcc_lo
	v_and_b32_e32 v17, 0xffff, v2
	v_lshrrev_b32_e32 v2, 16, v2
	s_delay_alu instid0(VALU_DEP_3) | instskip(NEXT) | instid1(VALU_DEP_2)
	v_mul_f32_e32 v10, v15, v10
	v_cvt_f32_u32_e32 v2, v2
	s_delay_alu instid0(VALU_DEP_1) | instskip(SKIP_2) | instid1(VALU_DEP_2)
	v_dual_mul_f32 v10, v10, v2 :: v_dual_and_b32 v19, 0xffff, v4
	v_lshrrev_b32_e32 v4, 16, v4
	v_mul_f32_e32 v7, v7, v15
	v_cvt_f32_u32_e32 v21, v4
	v_mul_f32_e32 v4, v8, v15
	v_mul_f32_e32 v8, v15, v9
	v_cvt_f32_u32_e32 v17, v17
	v_cvt_f32_u32_e32 v19, v19
	v_mul_f32_e32 v22, v15, v11
	v_mul_f32_e32 v23, v15, v12
	;; [unrolled: 1-line block ×3, first 2 shown]
	v_dual_mul_f32 v13, v15, v13 :: v_dual_mul_f32 v12, v4, v16
	v_dual_mul_f32 v14, v15, v14 :: v_dual_mul_f32 v9, v8, v17
	s_delay_alu instid0(VALU_DEP_4) | instskip(NEXT) | instid1(VALU_DEP_3)
	v_dual_mul_f32 v8, v22, v18 :: v_dual_mul_f32 v7, v23, v3
	v_and_b32_e32 v1, 0x7fffffff, v12
	s_delay_alu instid0(VALU_DEP_3)
	v_dual_mul_f32 v3, v14, v21 :: v_dual_and_b32 v2, 0x7fffffff, v11
	v_mul_f32_e32 v4, v13, v19
	;;#ASMSTART
	v_max3_f32 v1, v20, v1, v2

	;;#ASMEND
	v_and_b32_e32 v13, 0x7fffffff, v9
	v_and_b32_e32 v14, 0x7fffffff, v10
	;; [unrolled: 1-line block ×3, first 2 shown]
	;;#ASMSTART
	v_max3_f32 v1, v1, v13, v14

	;;#ASMEND
	v_and_b32_e32 v15, 0x7fffffff, v8
	v_and_b32_e32 v17, 0x7fffffff, v4
	;; [unrolled: 1-line block ×3, first 2 shown]
	;;#ASMSTART
	v_max3_f32 v1, v1, v15, v16

	;;#ASMEND
	;;#ASMSTART
	v_max3_f32 v13, v1, v17, v18

	;;#ASMEND
	s_cbranch_scc0 .LBB4_10
; %bb.4:
	s_ashr_i32 s11, s18, 31
	s_delay_alu instid0(SALU_CYCLE_1) | instskip(NEXT) | instid1(SALU_CYCLE_1)
	s_lshr_b32 s1, s11, 29
	s_add_i32 s1, s18, s1
	s_delay_alu instid0(SALU_CYCLE_1) | instskip(NEXT) | instid1(SALU_CYCLE_1)
	s_ashr_i32 s1, s1, 3
	s_cmp_lt_i32 s1, 8
	s_cbranch_scc1 .LBB4_11
; %bb.5:
	s_cmp_lt_i32 s1, 16
	s_cbranch_scc1 .LBB4_12
; %bb.6:
	;; [unrolled: 3-line block ×3, first 2 shown]
	v_mov_b32_e32 v1, v13
	s_cmp_eq_u32 s1, 32
	s_cbranch_scc0 .LBB4_9
; %bb.8:
	s_delay_alu instid0(VALU_DEP_1) | instskip(SKIP_1) | instid1(VALU_DEP_1)
	v_mov_b32_dpp v1, v13 quad_perm:[1,0,3,2] row_mask:0xf bank_mask:0xf
	s_mov_b32 s6, 0x76543210
	v_cmp_gt_f32_e32 vcc_lo, v13, v1
	v_cndmask_b32_e32 v1, v1, v13, vcc_lo
	s_delay_alu instid0(VALU_DEP_1) | instskip(NEXT) | instid1(VALU_DEP_1)
	v_mov_b32_dpp v2, v1 quad_perm:[2,3,0,1] row_mask:0xf bank_mask:0xf
	v_cmp_gt_f32_e32 vcc_lo, v1, v2
	v_cndmask_b32_e32 v1, v2, v1, vcc_lo
	s_delay_alu instid0(VALU_DEP_1) | instskip(NEXT) | instid1(VALU_DEP_1)
	v_mov_b32_dpp v2, v1 row_xmask:7 row_mask:0xf bank_mask:0xf
	v_cmp_gt_f32_e32 vcc_lo, v1, v2
	v_cndmask_b32_e32 v1, v2, v1, vcc_lo
	s_delay_alu instid0(VALU_DEP_1) | instskip(NEXT) | instid1(VALU_DEP_1)
	v_mov_b32_dpp v2, v1 row_xmask:15 row_mask:0xf bank_mask:0xf
	v_cmp_gt_f32_e32 vcc_lo, v1, v2
	v_cndmask_b32_e32 v1, v2, v1, vcc_lo
	s_delay_alu instid0(VALU_DEP_1) | instskip(NEXT) | instid1(VALU_DEP_1)
	v_permlanex16_b32 v2, v1, s6, 0xfedcba98 op_sel:[1,1]
	v_cmp_gt_f32_e32 vcc_lo, v1, v2
	v_cndmask_b32_e32 v1, v2, v1, vcc_lo
.LBB4_9:
	s_mov_b32 s6, 0
	s_branch .LBB4_14
.LBB4_10:
	s_mov_b32 s1, 0
                                        ; implicit-def: $vgpr14
                                        ; implicit-def: $vgpr1_vgpr2
	s_and_b32 vcc_lo, exec_lo, s31
	s_cbranch_vccnz .LBB4_38
	s_branch .LBB4_41
.LBB4_11:
                                        ; implicit-def: $vgpr1
	s_branch .LBB4_21
.LBB4_12:
                                        ; implicit-def: $vgpr1
	s_branch .LBB4_18
.LBB4_13:
	s_mov_b32 s6, -1
                                        ; implicit-def: $vgpr1
.LBB4_14:
	s_delay_alu instid0(SALU_CYCLE_1)
	s_and_not1_b32 vcc_lo, exec_lo, s6
	s_cbranch_vccnz .LBB4_17
; %bb.15:
	v_mov_b32_e32 v1, v13
	s_cmp_eq_u32 s1, 16
	s_cbranch_scc0 .LBB4_17
; %bb.16:
	s_delay_alu instid0(VALU_DEP_1) | instskip(NEXT) | instid1(VALU_DEP_1)
	v_mov_b32_dpp v1, v13 quad_perm:[1,0,3,2] row_mask:0xf bank_mask:0xf
	v_cmp_gt_f32_e32 vcc_lo, v13, v1
	v_cndmask_b32_e32 v1, v1, v13, vcc_lo
	s_delay_alu instid0(VALU_DEP_1) | instskip(NEXT) | instid1(VALU_DEP_1)
	v_mov_b32_dpp v2, v1 quad_perm:[2,3,0,1] row_mask:0xf bank_mask:0xf
	v_cmp_gt_f32_e32 vcc_lo, v1, v2
	v_cndmask_b32_e32 v1, v2, v1, vcc_lo
	s_delay_alu instid0(VALU_DEP_1) | instskip(NEXT) | instid1(VALU_DEP_1)
	v_mov_b32_dpp v2, v1 row_half_mirror row_mask:0xf bank_mask:0xf
	v_cmp_gt_f32_e32 vcc_lo, v1, v2
	v_cndmask_b32_e32 v1, v2, v1, vcc_lo
	s_delay_alu instid0(VALU_DEP_1) | instskip(NEXT) | instid1(VALU_DEP_1)
	v_mov_b32_dpp v2, v1 row_mirror row_mask:0xf bank_mask:0xf
	v_cmp_gt_f32_e32 vcc_lo, v1, v2
	v_cndmask_b32_e32 v1, v2, v1, vcc_lo
.LBB4_17:
	s_cbranch_execnz .LBB4_20
.LBB4_18:
	v_mov_b32_e32 v1, v13
	s_cmp_eq_u32 s1, 8
	s_cbranch_scc0 .LBB4_20
; %bb.19:
	s_delay_alu instid0(VALU_DEP_1) | instskip(NEXT) | instid1(VALU_DEP_1)
	v_mov_b32_dpp v1, v13 quad_perm:[1,0,3,2] row_mask:0xf bank_mask:0xf
	v_cmp_gt_f32_e32 vcc_lo, v13, v1
	v_cndmask_b32_e32 v1, v1, v13, vcc_lo
	s_delay_alu instid0(VALU_DEP_1) | instskip(NEXT) | instid1(VALU_DEP_1)
	v_mov_b32_dpp v2, v1 quad_perm:[2,3,0,1] row_mask:0xf bank_mask:0xf
	v_cmp_gt_f32_e32 vcc_lo, v1, v2
	v_cndmask_b32_e32 v1, v2, v1, vcc_lo
	s_delay_alu instid0(VALU_DEP_1) | instskip(NEXT) | instid1(VALU_DEP_1)
	v_mov_b32_dpp v2, v1 row_half_mirror row_mask:0xf bank_mask:0xf
	v_cmp_gt_f32_e32 vcc_lo, v1, v2
	v_cndmask_b32_e32 v1, v2, v1, vcc_lo
.LBB4_20:
	s_cbranch_execnz .LBB4_28
.LBB4_21:
	s_cmp_lt_i32 s1, 4
	s_cbranch_scc1 .LBB4_24
; %bb.22:
	v_mov_b32_e32 v1, v13
	s_cmp_eq_u32 s1, 4
	s_cbranch_scc0 .LBB4_25
; %bb.23:
	s_delay_alu instid0(VALU_DEP_1) | instskip(NEXT) | instid1(VALU_DEP_1)
	v_mov_b32_dpp v1, v13 quad_perm:[1,0,3,2] row_mask:0xf bank_mask:0xf
	v_cmp_gt_f32_e32 vcc_lo, v13, v1
	v_cndmask_b32_e32 v1, v1, v13, vcc_lo
	s_delay_alu instid0(VALU_DEP_1) | instskip(NEXT) | instid1(VALU_DEP_1)
	v_mov_b32_dpp v2, v1 quad_perm:[2,3,0,1] row_mask:0xf bank_mask:0xf
	v_cmp_gt_f32_e32 vcc_lo, v1, v2
	v_cndmask_b32_e32 v1, v2, v1, vcc_lo
	s_cbranch_execz .LBB4_26
	s_branch .LBB4_28
.LBB4_24:
                                        ; implicit-def: $vgpr1
	s_branch .LBB4_26
.LBB4_25:
	s_cbranch_execnz .LBB4_28
.LBB4_26:
	v_mov_b32_e32 v1, v13
	s_cmp_lg_u32 s1, 2
	s_cbranch_scc1 .LBB4_28
; %bb.27:
	s_delay_alu instid0(VALU_DEP_1) | instskip(NEXT) | instid1(VALU_DEP_1)
	v_mov_b32_dpp v1, v13 quad_perm:[1,0,3,2] row_mask:0xf bank_mask:0xf
	v_cmp_gt_f32_e32 vcc_lo, v13, v1
	v_cndmask_b32_e32 v1, v1, v13, vcc_lo
.LBB4_28:
	v_cvt_f32_u32_e32 v2, s1
	s_sub_i32 s6, 0, s1
	s_mov_b32 s31, 0
	s_delay_alu instid0(VALU_DEP_1) | instskip(SKIP_2) | instid1(VALU_DEP_1)
	v_rcp_iflag_f32_e32 v2, v2
	s_waitcnt_depctr 0xfff
	v_mul_f32_e32 v2, 0x4f7ffffe, v2
	v_cvt_u32_f32_e32 v2, v2
	s_delay_alu instid0(VALU_DEP_1) | instskip(NEXT) | instid1(VALU_DEP_1)
	v_mul_lo_u32 v14, s6, v2
	v_mul_hi_u32 v14, v2, v14
	s_delay_alu instid0(VALU_DEP_1) | instskip(NEXT) | instid1(VALU_DEP_1)
	v_add_nc_u32_e32 v2, v2, v14
	v_mul_hi_u32 v2, v0, v2
	s_delay_alu instid0(VALU_DEP_1) | instskip(NEXT) | instid1(VALU_DEP_1)
	v_mul_lo_u32 v14, v2, s1
	v_sub_nc_u32_e32 v14, v0, v14
	s_delay_alu instid0(VALU_DEP_1) | instskip(SKIP_1) | instid1(VALU_DEP_2)
	v_subrev_nc_u32_e32 v16, s1, v14
	v_cmp_le_u32_e32 vcc_lo, s1, v14
	v_dual_cndmask_b32 v14, v14, v16 :: v_dual_add_nc_u32 v15, 1, v2
	s_delay_alu instid0(VALU_DEP_1) | instskip(NEXT) | instid1(VALU_DEP_2)
	v_cndmask_b32_e32 v2, v2, v15, vcc_lo
	v_cmp_le_u32_e32 vcc_lo, s1, v14
	s_delay_alu instid0(VALU_DEP_2) | instskip(NEXT) | instid1(VALU_DEP_1)
	v_dual_mul_f32 v14, 0x3b124925, v1 :: v_dual_add_nc_u32 v15, 1, v2
	v_cndmask_b32_e32 v15, v2, v15, vcc_lo
	v_cmp_gt_u32_e32 vcc_lo, s13, v5
	s_delay_alu instid0(VALU_DEP_2) | instskip(NEXT) | instid1(VALU_DEP_1)
	v_mul_lo_u32 v2, v15, s1
	v_sub_nc_u32_e32 v2, v0, v2
	s_delay_alu instid0(VALU_DEP_1) | instskip(NEXT) | instid1(VALU_DEP_1)
	v_cmp_eq_u32_e64 s1, 0, v2
                                        ; implicit-def: $vgpr1_vgpr2
	s_and_b32 s6, s1, vcc_lo
	s_mov_b32 s1, 0
	s_and_saveexec_b32 s7, s6
	s_delay_alu instid0(SALU_CYCLE_1)
	s_xor_b32 s16, exec_lo, s7
	s_cbranch_execz .LBB4_37
; %bb.29:
	s_bitcmp0_b32 s19, 0
	s_mov_b32 s10, 0
	s_cbranch_scc0 .LBB4_34
; %bb.30:
	s_ashr_i32 s1, s13, 31
	s_mul_hi_u32 s7, s13, s2
	s_mul_i32 s1, s1, s2
	s_mul_i32 s6, s13, s2
	s_add_i32 s7, s7, s1
	s_mov_b32 s19, s11
	s_delay_alu instid0(SALU_CYCLE_1) | instskip(NEXT) | instid1(SALU_CYCLE_1)
	s_or_b64 s[14:15], s[6:7], s[18:19]
	s_mov_b32 s11, s15
	s_delay_alu instid0(SALU_CYCLE_1)
	s_cmp_lg_u64 s[10:11], 0
	s_cbranch_scc0 .LBB4_45
; %bb.31:
	s_add_u32 s14, s18, s19
	s_mov_b32 s10, s19
	s_mov_b32 s11, s19
	s_addc_u32 s15, s19, s19
	s_delay_alu instid0(SALU_CYCLE_1) | instskip(NEXT) | instid1(SALU_CYCLE_1)
	s_xor_b64 s[14:15], s[14:15], s[10:11]
	v_cvt_f32_u32_e32 v1, s14
	v_cvt_f32_u32_e32 v2, s15
	s_sub_u32 s20, 0, s14
	s_subb_u32 s21, 0, s15
	s_delay_alu instid0(VALU_DEP_1) | instskip(NEXT) | instid1(VALU_DEP_1)
	v_fmamk_f32 v1, v2, 0x4f800000, v1
	v_rcp_f32_e32 v1, v1
	s_waitcnt_depctr 0xfff
	v_mul_f32_e32 v1, 0x5f7ffffc, v1
	s_delay_alu instid0(VALU_DEP_1) | instskip(NEXT) | instid1(VALU_DEP_1)
	v_mul_f32_e32 v2, 0x2f800000, v1
	v_trunc_f32_e32 v2, v2
	s_delay_alu instid0(VALU_DEP_1) | instskip(SKIP_1) | instid1(VALU_DEP_2)
	v_fmamk_f32 v1, v2, 0xcf800000, v1
	v_cvt_u32_f32_e32 v2, v2
	v_cvt_u32_f32_e32 v1, v1
	s_delay_alu instid0(VALU_DEP_2) | instskip(NEXT) | instid1(VALU_DEP_2)
	v_readfirstlane_b32 s1, v2
	v_readfirstlane_b32 s19, v1
	s_delay_alu instid0(VALU_DEP_2) | instskip(NEXT) | instid1(VALU_DEP_1)
	s_mul_i32 s22, s20, s1
	s_mul_hi_u32 s24, s20, s19
	s_mul_i32 s23, s21, s19
	s_add_i32 s22, s24, s22
	s_mul_i32 s25, s20, s19
	s_add_i32 s22, s22, s23
	s_mul_hi_u32 s24, s19, s25
	s_mul_hi_u32 s26, s1, s25
	s_mul_i32 s23, s1, s25
	s_mul_hi_u32 s25, s19, s22
	s_mul_i32 s19, s19, s22
	s_mul_hi_u32 s27, s1, s22
	s_add_u32 s19, s24, s19
	s_addc_u32 s24, 0, s25
	s_add_u32 s19, s19, s23
	s_mul_i32 s22, s1, s22
	s_addc_u32 s19, s24, s26
	s_addc_u32 s23, s27, 0
	s_add_u32 s19, s19, s22
	s_addc_u32 s22, 0, s23
	v_add_co_u32 v1, s19, v1, s19
	s_delay_alu instid0(VALU_DEP_1) | instskip(SKIP_1) | instid1(VALU_DEP_1)
	s_cmp_lg_u32 s19, 0
	s_addc_u32 s1, s1, s22
	v_readfirstlane_b32 s19, v1
	s_mul_i32 s22, s20, s1
	s_delay_alu instid0(VALU_DEP_1)
	s_mul_hi_u32 s23, s20, s19
	s_mul_i32 s21, s21, s19
	s_add_i32 s22, s23, s22
	s_mul_i32 s20, s20, s19
	s_add_i32 s22, s22, s21
	s_mul_hi_u32 s23, s1, s20
	s_mul_i32 s24, s1, s20
	s_mul_hi_u32 s20, s19, s20
	s_mul_hi_u32 s25, s19, s22
	s_mul_i32 s19, s19, s22
	s_mul_hi_u32 s21, s1, s22
	s_add_u32 s19, s20, s19
	s_addc_u32 s20, 0, s25
	s_add_u32 s19, s19, s24
	s_mul_i32 s22, s1, s22
	s_addc_u32 s19, s20, s23
	s_addc_u32 s20, s21, 0
	s_add_u32 s19, s19, s22
	s_addc_u32 s20, 0, s20
	v_add_co_u32 v1, s19, v1, s19
	s_delay_alu instid0(VALU_DEP_1) | instskip(SKIP_2) | instid1(SALU_CYCLE_1)
	s_cmp_lg_u32 s19, 0
	s_addc_u32 s1, s1, s20
	s_ashr_i32 s20, s7, 31
	s_add_u32 s22, s6, s20
	s_addc_u32 s23, s7, s20
	v_readfirstlane_b32 s7, v1
	s_mov_b32 s21, s20
	s_delay_alu instid0(SALU_CYCLE_1) | instskip(NEXT) | instid1(SALU_CYCLE_1)
	s_xor_b64 s[22:23], s[22:23], s[20:21]
	s_mul_i32 s24, s22, s1
	s_delay_alu instid0(VALU_DEP_1)
	s_mul_hi_u32 s25, s22, s7
	s_mul_hi_u32 s19, s22, s1
	;; [unrolled: 1-line block ×3, first 2 shown]
	s_mul_i32 s7, s23, s7
	s_add_u32 s24, s25, s24
	s_addc_u32 s19, 0, s19
	s_mul_hi_u32 s26, s23, s1
	s_add_u32 s7, s24, s7
	s_mul_i32 s1, s23, s1
	s_addc_u32 s7, s19, s27
	s_addc_u32 s19, s26, 0
	s_add_u32 s7, s7, s1
	s_addc_u32 s19, 0, s19
	s_mul_i32 s26, s14, s7
	s_mul_hi_u32 s1, s14, s7
	s_mul_i32 s25, s14, s19
	v_sub_co_u32 v1, s22, s22, s26
	s_mul_i32 s24, s15, s7
	s_add_i32 s1, s1, s25
	s_delay_alu instid0(SALU_CYCLE_1) | instskip(NEXT) | instid1(VALU_DEP_1)
	s_add_i32 s1, s1, s24
	v_sub_co_u32 v2, s25, v1, s14
	s_sub_i32 s24, s23, s1
	s_cmp_lg_u32 s22, 0
	s_subb_u32 s24, s24, s15
	s_cmp_lg_u32 s25, 0
	v_cmp_le_u32_e32 vcc_lo, s14, v2
	s_subb_u32 s24, s24, 0
	s_delay_alu instid0(SALU_CYCLE_1)
	s_cmp_ge_u32 s24, s15
	v_cndmask_b32_e64 v2, 0, -1, vcc_lo
	s_cselect_b32 s25, -1, 0
	s_cmp_eq_u32 s24, s15
	s_cselect_b32 vcc_lo, -1, 0
	s_add_u32 s24, s7, 1
	v_cndmask_b32_e32 v2, s25, v2, vcc_lo
	s_addc_u32 s25, s19, 0
	s_add_u32 s26, s7, 2
	s_addc_u32 s27, s19, 0
	s_cmp_lg_u32 s22, 0
	v_cmp_le_u32_e32 vcc_lo, s14, v1
	s_subb_u32 s1, s23, s1
	v_mov_b32_e32 v16, s26
	s_cmp_ge_u32 s1, s15
	v_cndmask_b32_e64 v1, 0, -1, vcc_lo
	s_cselect_b32 s14, -1, 0
	s_cmp_eq_u32 s1, s15
	v_cmp_ne_u32_e32 vcc_lo, 0, v2
	v_mov_b32_e32 v2, s27
	s_cselect_b32 s1, -1, 0
	s_xor_b64 s[10:11], s[20:21], s[10:11]
	v_cndmask_b32_e64 v1, s14, v1, s1
	v_cndmask_b32_e32 v16, s24, v16, vcc_lo
	v_cndmask_b32_e32 v2, s25, v2, vcc_lo
	s_delay_alu instid0(VALU_DEP_3) | instskip(NEXT) | instid1(VALU_DEP_2)
	v_cmp_ne_u32_e32 vcc_lo, 0, v1
	v_cndmask_b32_e32 v1, s19, v2, vcc_lo
	s_delay_alu instid0(VALU_DEP_4) | instskip(NEXT) | instid1(VALU_DEP_2)
	v_cndmask_b32_e32 v2, s7, v16, vcc_lo
	v_xor_b32_e32 v16, s11, v1
	s_delay_alu instid0(VALU_DEP_2) | instskip(NEXT) | instid1(VALU_DEP_1)
	v_xor_b32_e32 v2, s10, v2
	v_sub_co_u32 v1, vcc_lo, v2, s10
	s_delay_alu instid0(VALU_DEP_3)
	v_subrev_co_ci_u32_e32 v2, vcc_lo, s11, v16, vcc_lo
	s_cbranch_execnz .LBB4_33
.LBB4_32:
	v_cvt_f32_u32_e32 v1, s18
	s_sub_i32 s7, 0, s18
	s_delay_alu instid0(VALU_DEP_1) | instskip(SKIP_2) | instid1(VALU_DEP_1)
	v_rcp_iflag_f32_e32 v1, v1
	s_waitcnt_depctr 0xfff
	v_mul_f32_e32 v1, 0x4f7ffffe, v1
	v_cvt_u32_f32_e32 v1, v1
	s_delay_alu instid0(VALU_DEP_1) | instskip(NEXT) | instid1(VALU_DEP_1)
	v_readfirstlane_b32 s1, v1
	s_mul_i32 s7, s7, s1
	s_delay_alu instid0(SALU_CYCLE_1) | instskip(NEXT) | instid1(SALU_CYCLE_1)
	s_mul_hi_u32 s7, s1, s7
	s_add_i32 s1, s1, s7
	s_delay_alu instid0(SALU_CYCLE_1) | instskip(NEXT) | instid1(SALU_CYCLE_1)
	s_mul_hi_u32 s1, s6, s1
	s_mul_i32 s7, s1, s18
	s_delay_alu instid0(SALU_CYCLE_1)
	s_sub_i32 s6, s6, s7
	s_add_i32 s7, s1, 1
	s_sub_i32 s10, s6, s18
	s_cmp_ge_u32 s6, s18
	s_cselect_b32 s1, s7, s1
	s_cselect_b32 s6, s10, s6
	s_add_i32 s10, s1, 1
	s_cmp_ge_u32 s6, s18
	s_mov_b32 s7, 0
	s_cselect_b32 s6, s10, s1
	s_delay_alu instid0(SALU_CYCLE_1)
	v_dual_mov_b32 v1, s6 :: v_dual_mov_b32 v2, s7
.LBB4_33:
	s_delay_alu instid0(VALU_DEP_1) | instskip(NEXT) | instid1(VALU_DEP_2)
	v_add_co_u32 v1, vcc_lo, v1, v15
	v_add_co_ci_u32_e32 v2, vcc_lo, 0, v2, vcc_lo
	s_branch .LBB4_36
.LBB4_34:
                                        ; implicit-def: $vgpr1_vgpr2
	s_cbranch_execz .LBB4_36
; %bb.35:
	v_mul_lo_u32 v1, v15, s12
	s_delay_alu instid0(VALU_DEP_1) | instskip(SKIP_1) | instid1(VALU_DEP_2)
	v_ashrrev_i32_e32 v2, 31, v1
	v_add_co_u32 v1, vcc_lo, v1, s2
	v_add_co_ci_u32_e32 v2, vcc_lo, 0, v2, vcc_lo
.LBB4_36:
	s_mov_b32 s1, exec_lo
.LBB4_37:
	s_or_b32 exec_lo, exec_lo, s16
	s_delay_alu instid0(SALU_CYCLE_1)
	s_and_b32 vcc_lo, exec_lo, s31
	s_cbranch_vccz .LBB4_41
.LBB4_38:
	v_mov_b32_dpp v1, v13 quad_perm:[1,0,3,2] row_mask:0xf bank_mask:0xf
	s_delay_alu instid0(VALU_DEP_1) | instskip(SKIP_1) | instid1(VALU_DEP_1)
	v_cmp_gt_f32_e32 vcc_lo, v13, v1
	v_cndmask_b32_e32 v1, v1, v13, vcc_lo
	v_mov_b32_dpp v2, v1 quad_perm:[2,3,0,1] row_mask:0xf bank_mask:0xf
	s_delay_alu instid0(VALU_DEP_1) | instskip(SKIP_1) | instid1(VALU_DEP_1)
	v_cmp_gt_f32_e32 vcc_lo, v1, v2
	v_cndmask_b32_e32 v1, v2, v1, vcc_lo
	v_mov_b32_dpp v2, v1 row_xmask:7 row_mask:0xf bank_mask:0xf
	s_delay_alu instid0(VALU_DEP_1) | instskip(SKIP_1) | instid1(VALU_DEP_1)
	v_cmp_gt_f32_e32 vcc_lo, v1, v2
	v_cndmask_b32_e32 v1, v2, v1, vcc_lo
	v_mov_b32_dpp v2, v1 row_xmask:15 row_mask:0xf bank_mask:0xf
	s_delay_alu instid0(VALU_DEP_1)
	v_cmp_gt_f32_e32 vcc_lo, v1, v2
	s_and_saveexec_b32 s1, s0
	s_cbranch_execz .LBB4_40
; %bb.39:
	v_cndmask_b32_e32 v1, v2, v1, vcc_lo
	v_lshrrev_b32_e32 v2, 3, v0
	s_mov_b32 s0, 0x76543210
	s_delay_alu instid0(VALU_DEP_1) | instskip(NEXT) | instid1(VALU_DEP_3)
	v_and_b32_e32 v2, 0x7c, v2
	v_permlanex16_b32 v13, v1, s0, 0xfedcba98 op_sel:[1,1]
	s_delay_alu instid0(VALU_DEP_1)
	v_cmp_gt_f32_e32 vcc_lo, v1, v13
	v_cndmask_b32_e32 v1, v13, v1, vcc_lo
	ds_store_b32 v2, v1
.LBB4_40:
	s_or_b32 exec_lo, exec_lo, s1
	s_waitcnt lgkmcnt(0)
	s_barrier
	buffer_gl0_inv
	ds_load_b32 v1, v6
	v_cmp_eq_u32_e64 s1, 0, v0
	s_waitcnt lgkmcnt(0)
	v_mov_b32_dpp v2, v1 quad_perm:[1,0,3,2] row_mask:0xf bank_mask:0xf
	s_delay_alu instid0(VALU_DEP_1) | instskip(SKIP_1) | instid1(VALU_DEP_1)
	v_cmp_gt_f32_e32 vcc_lo, v1, v2
	v_cndmask_b32_e32 v1, v2, v1, vcc_lo
	v_dual_mul_f32 v14, 0x3b124925, v1 :: v_dual_mov_b32 v1, s2
	v_mov_b32_e32 v2, s3
.LBB4_41:
	s_and_saveexec_b32 s0, s1
	s_cbranch_execz .LBB4_43
; %bb.42:
	s_delay_alu instid0(VALU_DEP_1) | instskip(NEXT) | instid1(VALU_DEP_1)
	v_lshlrev_b64 v[0:1], 2, v[1:2]
	v_add_co_u32 v0, vcc_lo, s8, v0
	s_delay_alu instid0(VALU_DEP_2)
	v_add_co_ci_u32_e32 v1, vcc_lo, s9, v1, vcc_lo
	global_store_b32 v[0:1], v14, off
.LBB4_43:
	s_or_b32 exec_lo, exec_lo, s0
	;;#ASMSTART
	v_rcp_f32 v0, v14
	;;#ASMEND
	v_dual_mul_f32 v1, v12, v0 :: v_dual_mov_b32 v6, 0xc3e00000
	v_dual_mul_f32 v2, v11, v0 :: v_dual_mov_b32 v11, 0x43e00000
	v_mul_f32_e32 v9, v9, v0
	v_mul_f32_e32 v10, v10, v0
	;;#ASMSTART
	v_med3_f32 v1, v1, v6, v11
v_med3_f32 v2, v2, v6, v11
v_cvt_pk_fp8_f32 v12, v1, v2
	;;#ASMEND
	;;#ASMSTART
	v_med3_f32 v9, v9, v6, v11
v_med3_f32 v10, v10, v6, v11
v_cvt_pk_fp8_f32 v1, v9, v10
	;;#ASMEND
	v_perm_b32 v2, v1, v12, 0x5040100
	v_and_b32_e32 v1, 0xffffff00, v1
	s_add_i32 s0, s13, 3
	v_mul_f32_e32 v7, v7, v0
	s_ashr_i32 s7, s0, 31
	v_lshrrev_b32_e32 v9, 16, v2
	v_mul_f32_e32 v8, v8, v0
	s_ashr_i32 s1, s17, 31
	s_lshr_b32 s7, s7, 30
	s_mul_hi_u32 s3, s17, s2
	v_and_b32_e32 v9, 0xff, v9
	s_add_i32 s0, s0, s7
	s_mul_i32 s1, s1, s2
	s_mul_i32 s6, s17, s2
	s_and_b32 s2, s0, -4
	v_or_b32_e32 v1, v9, v1
	v_mul_f32_e32 v4, v4, v0
	v_mul_f32_e32 v0, v3, v0
	;;#ASMSTART
	v_med3_f32 v8, v8, v6, v11
v_med3_f32 v7, v7, v6, v11
v_cvt_pk_fp8_f32 v3, v8, v7
	;;#ASMEND
	s_add_i32 s3, s3, s1
	v_lshlrev_b32_e32 v1, 16, v1
	;;#ASMSTART
	v_med3_f32 v4, v4, v6, v11
v_med3_f32 v0, v0, v6, v11
v_cvt_pk_fp8_f32 v6, v4, v0
	;;#ASMEND
	v_lshlrev_b32_e32 v4, 16, v6
	s_add_u32 s0, s4, s6
	s_addc_u32 s1, s5, s3
	v_and_or_b32 v0, 0xffff, v2, v1
	s_and_b32 s1, s1, 0xffff
	v_and_or_b32 v1, 0xffff, v3, v4
	s_mov_b32 s3, -1
	buffer_store_b64 v[0:1], v5, s[0:3], 0 offen
	;;#ASMSTART
	s_nop 0
	;;#ASMEND
.LBB4_44:
	s_nop 0
	s_sendmsg sendmsg(MSG_DEALLOC_VGPRS)
	s_endpgm
.LBB4_45:
                                        ; implicit-def: $vgpr1_vgpr2
	s_branch .LBB4_32
	.section	.rodata,"a",@progbits
	.p2align	6, 0x0
	.amdhsa_kernel _ZN5aiter24add_rmsnorm_quant_kernelItDB8_Li64ELi8ELb1ELb1ELb0ELi1EEEvPT0_PT_PfS5_S5_S5_diiiiiiib
		.amdhsa_group_segment_fixed_size 16
		.amdhsa_private_segment_fixed_size 0
		.amdhsa_kernarg_size 88
		.amdhsa_user_sgpr_count 15
		.amdhsa_user_sgpr_dispatch_ptr 0
		.amdhsa_user_sgpr_queue_ptr 0
		.amdhsa_user_sgpr_kernarg_segment_ptr 1
		.amdhsa_user_sgpr_dispatch_id 0
		.amdhsa_user_sgpr_private_segment_size 0
		.amdhsa_wavefront_size32 1
		.amdhsa_uses_dynamic_stack 0
		.amdhsa_enable_private_segment 0
		.amdhsa_system_sgpr_workgroup_id_x 1
		.amdhsa_system_sgpr_workgroup_id_y 0
		.amdhsa_system_sgpr_workgroup_id_z 0
		.amdhsa_system_sgpr_workgroup_info 0
		.amdhsa_system_vgpr_workitem_id 0
		.amdhsa_next_free_vgpr 24
		.amdhsa_next_free_sgpr 40
		.amdhsa_reserve_vcc 1
		.amdhsa_float_round_mode_32 0
		.amdhsa_float_round_mode_16_64 0
		.amdhsa_float_denorm_mode_32 3
		.amdhsa_float_denorm_mode_16_64 3
		.amdhsa_dx10_clamp 1
		.amdhsa_ieee_mode 1
		.amdhsa_fp16_overflow 0
		.amdhsa_workgroup_processor_mode 1
		.amdhsa_memory_ordered 1
		.amdhsa_forward_progress 0
		.amdhsa_shared_vgpr_count 0
		.amdhsa_exception_fp_ieee_invalid_op 0
		.amdhsa_exception_fp_denorm_src 0
		.amdhsa_exception_fp_ieee_div_zero 0
		.amdhsa_exception_fp_ieee_overflow 0
		.amdhsa_exception_fp_ieee_underflow 0
		.amdhsa_exception_fp_ieee_inexact 0
		.amdhsa_exception_int_div_zero 0
	.end_amdhsa_kernel
	.section	.text._ZN5aiter24add_rmsnorm_quant_kernelItDB8_Li64ELi8ELb1ELb1ELb0ELi1EEEvPT0_PT_PfS5_S5_S5_diiiiiiib,"axG",@progbits,_ZN5aiter24add_rmsnorm_quant_kernelItDB8_Li64ELi8ELb1ELb1ELb0ELi1EEEvPT0_PT_PfS5_S5_S5_diiiiiiib,comdat
.Lfunc_end4:
	.size	_ZN5aiter24add_rmsnorm_quant_kernelItDB8_Li64ELi8ELb1ELb1ELb0ELi1EEEvPT0_PT_PfS5_S5_S5_diiiiiiib, .Lfunc_end4-_ZN5aiter24add_rmsnorm_quant_kernelItDB8_Li64ELi8ELb1ELb1ELb0ELi1EEEvPT0_PT_PfS5_S5_S5_diiiiiiib
                                        ; -- End function
	.section	.AMDGPU.csdata,"",@progbits
; Kernel info:
; codeLenInByte = 3660
; NumSgprs: 42
; NumVgprs: 24
; ScratchSize: 0
; MemoryBound: 0
; FloatMode: 240
; IeeeMode: 1
; LDSByteSize: 16 bytes/workgroup (compile time only)
; SGPRBlocks: 5
; VGPRBlocks: 2
; NumSGPRsForWavesPerEU: 42
; NumVGPRsForWavesPerEU: 24
; Occupancy: 16
; WaveLimiterHint : 0
; COMPUTE_PGM_RSRC2:SCRATCH_EN: 0
; COMPUTE_PGM_RSRC2:USER_SGPR: 15
; COMPUTE_PGM_RSRC2:TRAP_HANDLER: 0
; COMPUTE_PGM_RSRC2:TGID_X_EN: 1
; COMPUTE_PGM_RSRC2:TGID_Y_EN: 0
; COMPUTE_PGM_RSRC2:TGID_Z_EN: 0
; COMPUTE_PGM_RSRC2:TIDIG_COMP_CNT: 0
	.section	.text._ZN5aiter24add_rmsnorm_quant_kernelIDF16_DB8_Li128ELi8ELb1ELb1ELb1ELi1EEEvPT0_PT_PfS5_S5_S5_diiiiiiib,"axG",@progbits,_ZN5aiter24add_rmsnorm_quant_kernelIDF16_DB8_Li128ELi8ELb1ELb1ELb1ELi1EEEvPT0_PT_PfS5_S5_S5_diiiiiiib,comdat
	.protected	_ZN5aiter24add_rmsnorm_quant_kernelIDF16_DB8_Li128ELi8ELb1ELb1ELb1ELi1EEEvPT0_PT_PfS5_S5_S5_diiiiiiib ; -- Begin function _ZN5aiter24add_rmsnorm_quant_kernelIDF16_DB8_Li128ELi8ELb1ELb1ELb1ELi1EEEvPT0_PT_PfS5_S5_S5_diiiiiiib
	.globl	_ZN5aiter24add_rmsnorm_quant_kernelIDF16_DB8_Li128ELi8ELb1ELb1ELb1ELi1EEEvPT0_PT_PfS5_S5_S5_diiiiiiib
	.p2align	8
	.type	_ZN5aiter24add_rmsnorm_quant_kernelIDF16_DB8_Li128ELi8ELb1ELb1ELb1ELi1EEEvPT0_PT_PfS5_S5_S5_diiiiiiib,@function
_ZN5aiter24add_rmsnorm_quant_kernelIDF16_DB8_Li128ELi8ELb1ELb1ELb1ELi1EEEvPT0_PT_PfS5_S5_S5_diiiiiiib: ; @_ZN5aiter24add_rmsnorm_quant_kernelIDF16_DB8_Li128ELi8ELb1ELb1ELb1ELi1EEEvPT0_PT_PfS5_S5_S5_diiiiiiib
; %bb.0:
	s_mov_b32 s2, s15
	s_load_b256 s[12:19], s[0:1], 0x38
	s_mov_b32 s3, 0
	s_waitcnt lgkmcnt(0)
	s_ashr_i32 s5, s12, 31
	s_mov_b32 s4, s12
	s_delay_alu instid0(SALU_CYCLE_1) | instskip(NEXT) | instid1(VALU_DEP_1)
	v_cmp_ge_i64_e64 s4, s[2:3], s[4:5]
	s_and_b32 vcc_lo, exec_lo, s4
	s_cbranch_vccnz .LBB5_44
; %bb.1:
	s_clause 0x1
	s_load_b256 s[4:11], s[0:1], 0x0
	s_load_b256 s[20:27], s[0:1], 0x20
	s_ashr_i32 s1, s14, 31
	s_waitcnt lgkmcnt(0)
	s_mul_hi_u32 s26, s14, s2
	s_mul_i32 s1, s1, s2
	s_mul_i32 s0, s14, s2
	s_add_i32 s1, s26, s1
	s_mul_hi_u32 s26, s15, s2
	s_lshl_b64 s[0:1], s[0:1], 1
	v_lshlrev_b32_e32 v19, 4, v0
	s_mul_i32 s14, s15, s2
	s_mov_b32 s31, -1
	v_and_b32_e32 v20, 31, v0
	s_mov_b32 s39, s31
	s_add_u32 s28, s10, s0
	s_addc_u32 s0, s11, s1
	s_add_i32 s1, s13, 1
	s_ashr_i32 s10, s15, 31
	s_lshr_b32 s11, s1, 31
	s_mul_i32 s10, s10, s2
	s_add_i32 s1, s1, s11
	s_and_b32 s29, s0, 0xffff
	s_lshl_b32 s0, s1, 1
	s_add_i32 s15, s26, s10
	s_and_b32 s30, s0, -4
	s_lshl_b64 s[0:1], s[14:15], 1
	s_and_b32 s37, s23, 0xffff
	buffer_load_b128 v[9:12], v19, s[28:31], 0 offen glc slc
	s_add_u32 s28, s20, s0
	s_addc_u32 s0, s21, s1
	s_mov_b32 s36, s22
	s_and_b32 s29, s0, 0xffff
	s_mov_b32 s38, s30
	buffer_load_b128 v[13:16], v19, s[28:31], 0 offen glc slc
	s_ashr_i32 s0, s16, 31
	s_mul_hi_u32 s1, s16, s2
	s_mul_i32 s10, s0, s2
	s_mul_i32 s0, s16, s2
	s_add_i32 s1, s1, s10
	s_delay_alu instid0(SALU_CYCLE_1) | instskip(NEXT) | instid1(SALU_CYCLE_1)
	s_lshl_b64 s[0:1], s[0:1], 1
	s_add_u32 s28, s6, s0
	s_addc_u32 s1, s7, s1
	v_cmp_eq_u32_e64 s0, 31, v20
	s_and_b32 s29, s1, 0xffff
	s_waitcnt vmcnt(1)
	v_cvt_f32_f16_e32 v8, v9
	v_lshrrev_b32_e32 v5, 16, v9
	v_cvt_f32_f16_e32 v9, v10
	s_waitcnt vmcnt(0)
	v_lshrrev_b32_e32 v6, 16, v13
	v_cvt_f32_f16_e32 v13, v13
	v_cvt_f32_f16_e32 v5, v5
	s_delay_alu instid0(VALU_DEP_3) | instskip(NEXT) | instid1(VALU_DEP_3)
	v_cvt_f32_f16_e32 v6, v6
	v_add_f32_e32 v8, v8, v13
	buffer_load_b128 v[1:4], v19, s[36:39], 0 offen
	v_cvt_f32_f16_e32 v13, v11
	v_add_f32_e32 v7, v5, v6
	v_lshrrev_b32_e32 v5, 16, v10
	v_cvt_f32_f16_e32 v6, v14
	v_lshrrev_b32_e32 v10, 16, v14
	v_lshrrev_b32_e32 v14, 16, v15
	v_cvt_f16_f32_e32 v24, v7
	v_cvt_f32_f16_e32 v5, v5
	v_add_f32_e32 v9, v9, v6
	v_cvt_f32_f16_e32 v10, v10
	v_mul_f32_e32 v17, v7, v7
	v_lshrrev_b32_e32 v6, 16, v11
	v_cvt_f32_f16_e32 v11, v15
	v_cvt_f32_f16_e32 v14, v14
	v_add_f32_e32 v10, v5, v10
	v_cvt_f32_f16_e32 v15, v16
	v_cvt_f32_f16_e32 v6, v6
	v_fmac_f32_e32 v17, v8, v8
	v_add_f32_e32 v11, v13, v11
	v_lshrrev_b32_e32 v13, 16, v12
	v_lshrrev_b32_e32 v16, 16, v16
	v_cvt_f32_f16_e32 v5, v12
	v_add_f32_e32 v12, v6, v14
	v_cvt_f16_f32_e32 v23, v10
	v_cvt_f32_f16_e32 v6, v13
	v_cvt_f32_f16_e32 v14, v16
	v_fmac_f32_e32 v17, v9, v9
	v_add_f32_e32 v13, v5, v15
	v_cvt_f16_f32_e32 v15, v9
	v_cvt_f16_f32_e32 v16, v11
	v_add_f32_e32 v14, v6, v14
	v_fmac_f32_e32 v17, v10, v10
	v_cvt_f16_f32_e32 v22, v12
	s_delay_alu instid0(VALU_DEP_3) | instskip(NEXT) | instid1(VALU_DEP_3)
	v_cvt_f16_f32_e32 v21, v14
	v_fmac_f32_e32 v17, v11, v11
	s_delay_alu instid0(VALU_DEP_1) | instskip(NEXT) | instid1(VALU_DEP_1)
	v_fmac_f32_e32 v17, v12, v12
	v_fmac_f32_e32 v17, v13, v13
	s_delay_alu instid0(VALU_DEP_1) | instskip(NEXT) | instid1(VALU_DEP_1)
	v_fmac_f32_e32 v17, v14, v14
	v_mov_b32_dpp v5, v17 quad_perm:[1,0,3,2] row_mask:0xf bank_mask:0xf
	s_delay_alu instid0(VALU_DEP_1) | instskip(SKIP_1) | instid1(VALU_DEP_2)
	v_add_f32_e32 v5, v17, v5
	v_cvt_f16_f32_e32 v17, v13
	v_mov_b32_dpp v6, v5 quad_perm:[2,3,0,1] row_mask:0xf bank_mask:0xf
	s_delay_alu instid0(VALU_DEP_1) | instskip(SKIP_1) | instid1(VALU_DEP_2)
	v_add_f32_e32 v5, v5, v6
	v_cvt_f16_f32_e32 v6, v8
	v_mov_b32_dpp v18, v5 row_xmask:7 row_mask:0xf bank_mask:0xf
	s_delay_alu instid0(VALU_DEP_1)
	v_add_f32_e32 v5, v5, v18
	v_pack_b32_f16 v18, v17, v21
	v_pack_b32_f16 v17, v16, v22
	;; [unrolled: 1-line block ×4, first 2 shown]
	v_mov_b32_dpp v6, v5 row_xmask:15 row_mask:0xf bank_mask:0xf
	buffer_store_b128 v[15:18], v19, s[28:31], 0 offen glc slc
	;;#ASMSTART
	s_nop 0
	;;#ASMEND
	s_and_saveexec_b32 s1, s0
	s_cbranch_execz .LBB5_3
; %bb.2:
	v_add_f32_e32 v5, v5, v6
	s_mov_b32 s6, 0x76543210
	v_lshrrev_b32_e32 v6, 3, v0
	s_delay_alu instid0(VALU_DEP_2) | instskip(NEXT) | instid1(VALU_DEP_1)
	v_permlanex16_b32 v15, v5, s6, 0xfedcba98 op_sel:[1,1]
	v_dual_add_f32 v5, v5, v15 :: v_dual_and_b32 v6, 0x7c, v6
	ds_store_b32 v6, v5 offset:16
.LBB5_3:
	s_or_b32 exec_lo, exec_lo, s1
	v_and_b32_e32 v5, 3, v0
	s_waitcnt vmcnt(0) lgkmcnt(0)
	s_waitcnt_vscnt null, 0x0
	s_barrier
	buffer_gl0_inv
	v_cvt_f32_i32_e32 v16, s13
	v_lshlrev_b32_e32 v6, 2, v5
	s_cmp_lg_u32 s18, 0
	ds_load_b32 v5, v6 offset:16
	s_waitcnt lgkmcnt(0)
	v_mov_b32_dpp v15, v5 quad_perm:[1,0,3,2] row_mask:0xf bank_mask:0xf
	s_delay_alu instid0(VALU_DEP_1) | instskip(NEXT) | instid1(VALU_DEP_1)
	v_add_f32_e32 v5, v5, v15
	v_mov_b32_dpp v15, v5 quad_perm:[2,3,0,1] row_mask:0xf bank_mask:0xf
	s_delay_alu instid0(VALU_DEP_1) | instskip(NEXT) | instid1(VALU_DEP_1)
	v_add_f32_e32 v5, v5, v15
	v_div_scale_f32 v15, null, v16, v16, v5
	v_div_scale_f32 v19, vcc_lo, v5, v16, v5
	s_delay_alu instid0(VALU_DEP_2) | instskip(SKIP_2) | instid1(VALU_DEP_1)
	v_rcp_f32_e32 v17, v15
	s_waitcnt_depctr 0xfff
	v_fma_f32 v18, -v15, v17, 1.0
	v_fmac_f32_e32 v17, v18, v17
	s_delay_alu instid0(VALU_DEP_1) | instskip(NEXT) | instid1(VALU_DEP_1)
	v_mul_f32_e32 v18, v19, v17
	v_fma_f32 v20, -v15, v18, v19
	s_delay_alu instid0(VALU_DEP_1) | instskip(SKIP_2) | instid1(VALU_DEP_3)
	v_fmac_f32_e32 v18, v20, v17
	v_cvt_f32_f16_e32 v20, v4
	v_lshrrev_b32_e32 v4, 16, v4
	v_fma_f32 v15, -v15, v18, v19
	s_delay_alu instid0(VALU_DEP_1)
	v_div_fmas_f32 v15, v15, v17, v18
	v_cvt_f32_f16_e32 v17, v2
	v_lshrrev_b32_e32 v2, 16, v2
	v_cvt_f32_f16_e32 v18, v3
	v_lshrrev_b32_e32 v3, 16, v3
	v_div_fixup_f32 v5, v15, v16, v5
	s_delay_alu instid0(VALU_DEP_4) | instskip(NEXT) | instid1(VALU_DEP_3)
	v_cvt_f32_f16_e32 v2, v2
	v_cvt_f32_f16_e32 v3, v3
	s_delay_alu instid0(VALU_DEP_3) | instskip(NEXT) | instid1(VALU_DEP_1)
	v_cvt_f64_f32_e32 v[15:16], v5
	v_add_f64 v[15:16], v[15:16], s[24:25]
	s_delay_alu instid0(VALU_DEP_1) | instskip(SKIP_2) | instid1(VALU_DEP_1)
	v_cvt_f32_f64_e32 v5, v[15:16]
	v_cvt_f32_f16_e32 v16, v1
	v_lshrrev_b32_e32 v1, 16, v1
	v_cvt_f32_f16_e32 v1, v1
	s_delay_alu instid0(VALU_DEP_4) | instskip(SKIP_1) | instid1(VALU_DEP_2)
	v_mul_f32_e32 v15, 0x4b800000, v5
	v_cmp_gt_f32_e32 vcc_lo, 0x800000, v5
	v_cndmask_b32_e32 v5, v5, v15, vcc_lo
	s_delay_alu instid0(VALU_DEP_1) | instskip(SKIP_2) | instid1(VALU_DEP_1)
	v_rsq_f32_e32 v15, v5
	s_waitcnt_depctr 0xfff
	v_mul_f32_e32 v19, 0x45800000, v15
	v_cndmask_b32_e32 v15, v15, v19, vcc_lo
	v_cvt_f32_f16_e32 v19, v4
	s_delay_alu instid0(VALU_DEP_2) | instskip(SKIP_1) | instid1(VALU_DEP_2)
	v_mul_f32_e32 v4, v8, v15
	v_mul_f32_e32 v13, v13, v15
	v_dual_mul_f32 v22, v11, v15 :: v_dual_mul_f32 v11, v4, v16
	s_delay_alu instid0(VALU_DEP_2) | instskip(SKIP_4) | instid1(VALU_DEP_4)
	v_dual_mul_f32 v4, v13, v20 :: v_dual_mov_b32 v21, 0x2edbe6ff
	v_mul_f32_e32 v10, v10, v15
	v_mul_f32_e32 v7, v7, v15
	v_dual_mul_f32 v8, v9, v15 :: v_dual_lshlrev_b32 v5, 3, v0
	v_mul_f32_e32 v14, v14, v15
	v_dual_mul_f32 v10, v10, v2 :: v_dual_mul_f32 v23, v12, v15
	s_delay_alu instid0(VALU_DEP_4) | instskip(NEXT) | instid1(VALU_DEP_4)
	v_mul_f32_e32 v12, v7, v1
	v_dual_mul_f32 v9, v8, v17 :: v_dual_mul_f32 v8, v22, v18
	v_and_b32_e32 v1, 0x7fffffff, v11
	s_delay_alu instid0(VALU_DEP_4)
	v_mul_f32_e32 v7, v23, v3
	v_dual_mul_f32 v3, v14, v19 :: v_dual_and_b32 v14, 0x7fffffff, v10
	v_and_b32_e32 v2, 0x7fffffff, v12
	;;#ASMSTART
	v_max3_f32 v1, v21, v1, v2

	;;#ASMEND
	v_and_b32_e32 v13, 0x7fffffff, v9
	;;#ASMSTART
	v_max3_f32 v1, v1, v13, v14

	;;#ASMEND
	v_and_b32_e32 v15, 0x7fffffff, v8
	v_and_b32_e32 v16, 0x7fffffff, v7
	;; [unrolled: 1-line block ×4, first 2 shown]
	;;#ASMSTART
	v_max3_f32 v1, v1, v15, v16

	;;#ASMEND
	;;#ASMSTART
	v_max3_f32 v13, v1, v17, v18

	;;#ASMEND
	s_cbranch_scc0 .LBB5_10
; %bb.4:
	s_ashr_i32 s11, s18, 31
	s_delay_alu instid0(SALU_CYCLE_1) | instskip(NEXT) | instid1(SALU_CYCLE_1)
	s_lshr_b32 s1, s11, 29
	s_add_i32 s1, s18, s1
	s_delay_alu instid0(SALU_CYCLE_1) | instskip(NEXT) | instid1(SALU_CYCLE_1)
	s_ashr_i32 s1, s1, 3
	s_cmp_lt_i32 s1, 8
	s_cbranch_scc1 .LBB5_11
; %bb.5:
	s_cmp_lt_i32 s1, 16
	s_cbranch_scc1 .LBB5_12
; %bb.6:
	;; [unrolled: 3-line block ×3, first 2 shown]
	v_mov_b32_e32 v1, v13
	s_cmp_eq_u32 s1, 32
	s_cbranch_scc0 .LBB5_9
; %bb.8:
	s_delay_alu instid0(VALU_DEP_1) | instskip(SKIP_1) | instid1(VALU_DEP_1)
	v_mov_b32_dpp v1, v13 quad_perm:[1,0,3,2] row_mask:0xf bank_mask:0xf
	s_mov_b32 s6, 0x76543210
	v_cmp_gt_f32_e32 vcc_lo, v13, v1
	v_cndmask_b32_e32 v1, v1, v13, vcc_lo
	s_delay_alu instid0(VALU_DEP_1) | instskip(NEXT) | instid1(VALU_DEP_1)
	v_mov_b32_dpp v2, v1 quad_perm:[2,3,0,1] row_mask:0xf bank_mask:0xf
	v_cmp_gt_f32_e32 vcc_lo, v1, v2
	v_cndmask_b32_e32 v1, v2, v1, vcc_lo
	s_delay_alu instid0(VALU_DEP_1) | instskip(NEXT) | instid1(VALU_DEP_1)
	v_mov_b32_dpp v2, v1 row_xmask:7 row_mask:0xf bank_mask:0xf
	v_cmp_gt_f32_e32 vcc_lo, v1, v2
	v_cndmask_b32_e32 v1, v2, v1, vcc_lo
	s_delay_alu instid0(VALU_DEP_1) | instskip(NEXT) | instid1(VALU_DEP_1)
	v_mov_b32_dpp v2, v1 row_xmask:15 row_mask:0xf bank_mask:0xf
	v_cmp_gt_f32_e32 vcc_lo, v1, v2
	v_cndmask_b32_e32 v1, v2, v1, vcc_lo
	s_delay_alu instid0(VALU_DEP_1) | instskip(NEXT) | instid1(VALU_DEP_1)
	v_permlanex16_b32 v2, v1, s6, 0xfedcba98 op_sel:[1,1]
	v_cmp_gt_f32_e32 vcc_lo, v1, v2
	v_cndmask_b32_e32 v1, v2, v1, vcc_lo
.LBB5_9:
	s_mov_b32 s6, 0
	s_branch .LBB5_14
.LBB5_10:
	s_mov_b32 s1, 0
                                        ; implicit-def: $vgpr14
                                        ; implicit-def: $vgpr1_vgpr2
	s_and_b32 vcc_lo, exec_lo, s31
	s_cbranch_vccnz .LBB5_38
	s_branch .LBB5_41
.LBB5_11:
                                        ; implicit-def: $vgpr1
	s_branch .LBB5_21
.LBB5_12:
                                        ; implicit-def: $vgpr1
	s_branch .LBB5_18
.LBB5_13:
	s_mov_b32 s6, -1
                                        ; implicit-def: $vgpr1
.LBB5_14:
	s_delay_alu instid0(SALU_CYCLE_1)
	s_and_not1_b32 vcc_lo, exec_lo, s6
	s_cbranch_vccnz .LBB5_17
; %bb.15:
	v_mov_b32_e32 v1, v13
	s_cmp_eq_u32 s1, 16
	s_cbranch_scc0 .LBB5_17
; %bb.16:
	s_delay_alu instid0(VALU_DEP_1) | instskip(NEXT) | instid1(VALU_DEP_1)
	v_mov_b32_dpp v1, v13 quad_perm:[1,0,3,2] row_mask:0xf bank_mask:0xf
	v_cmp_gt_f32_e32 vcc_lo, v13, v1
	v_cndmask_b32_e32 v1, v1, v13, vcc_lo
	s_delay_alu instid0(VALU_DEP_1) | instskip(NEXT) | instid1(VALU_DEP_1)
	v_mov_b32_dpp v2, v1 quad_perm:[2,3,0,1] row_mask:0xf bank_mask:0xf
	v_cmp_gt_f32_e32 vcc_lo, v1, v2
	v_cndmask_b32_e32 v1, v2, v1, vcc_lo
	s_delay_alu instid0(VALU_DEP_1) | instskip(NEXT) | instid1(VALU_DEP_1)
	v_mov_b32_dpp v2, v1 row_half_mirror row_mask:0xf bank_mask:0xf
	v_cmp_gt_f32_e32 vcc_lo, v1, v2
	v_cndmask_b32_e32 v1, v2, v1, vcc_lo
	s_delay_alu instid0(VALU_DEP_1) | instskip(NEXT) | instid1(VALU_DEP_1)
	v_mov_b32_dpp v2, v1 row_mirror row_mask:0xf bank_mask:0xf
	v_cmp_gt_f32_e32 vcc_lo, v1, v2
	v_cndmask_b32_e32 v1, v2, v1, vcc_lo
.LBB5_17:
	s_cbranch_execnz .LBB5_20
.LBB5_18:
	v_mov_b32_e32 v1, v13
	s_cmp_eq_u32 s1, 8
	s_cbranch_scc0 .LBB5_20
; %bb.19:
	s_delay_alu instid0(VALU_DEP_1) | instskip(NEXT) | instid1(VALU_DEP_1)
	v_mov_b32_dpp v1, v13 quad_perm:[1,0,3,2] row_mask:0xf bank_mask:0xf
	v_cmp_gt_f32_e32 vcc_lo, v13, v1
	v_cndmask_b32_e32 v1, v1, v13, vcc_lo
	s_delay_alu instid0(VALU_DEP_1) | instskip(NEXT) | instid1(VALU_DEP_1)
	v_mov_b32_dpp v2, v1 quad_perm:[2,3,0,1] row_mask:0xf bank_mask:0xf
	v_cmp_gt_f32_e32 vcc_lo, v1, v2
	v_cndmask_b32_e32 v1, v2, v1, vcc_lo
	s_delay_alu instid0(VALU_DEP_1) | instskip(NEXT) | instid1(VALU_DEP_1)
	v_mov_b32_dpp v2, v1 row_half_mirror row_mask:0xf bank_mask:0xf
	v_cmp_gt_f32_e32 vcc_lo, v1, v2
	v_cndmask_b32_e32 v1, v2, v1, vcc_lo
.LBB5_20:
	s_cbranch_execnz .LBB5_28
.LBB5_21:
	s_cmp_lt_i32 s1, 4
	s_cbranch_scc1 .LBB5_24
; %bb.22:
	v_mov_b32_e32 v1, v13
	s_cmp_eq_u32 s1, 4
	s_cbranch_scc0 .LBB5_25
; %bb.23:
	s_delay_alu instid0(VALU_DEP_1) | instskip(NEXT) | instid1(VALU_DEP_1)
	v_mov_b32_dpp v1, v13 quad_perm:[1,0,3,2] row_mask:0xf bank_mask:0xf
	v_cmp_gt_f32_e32 vcc_lo, v13, v1
	v_cndmask_b32_e32 v1, v1, v13, vcc_lo
	s_delay_alu instid0(VALU_DEP_1) | instskip(NEXT) | instid1(VALU_DEP_1)
	v_mov_b32_dpp v2, v1 quad_perm:[2,3,0,1] row_mask:0xf bank_mask:0xf
	v_cmp_gt_f32_e32 vcc_lo, v1, v2
	v_cndmask_b32_e32 v1, v2, v1, vcc_lo
	s_cbranch_execz .LBB5_26
	s_branch .LBB5_28
.LBB5_24:
                                        ; implicit-def: $vgpr1
	s_branch .LBB5_26
.LBB5_25:
	s_cbranch_execnz .LBB5_28
.LBB5_26:
	v_mov_b32_e32 v1, v13
	s_cmp_lg_u32 s1, 2
	s_cbranch_scc1 .LBB5_28
; %bb.27:
	s_delay_alu instid0(VALU_DEP_1) | instskip(NEXT) | instid1(VALU_DEP_1)
	v_mov_b32_dpp v1, v13 quad_perm:[1,0,3,2] row_mask:0xf bank_mask:0xf
	v_cmp_gt_f32_e32 vcc_lo, v13, v1
	v_cndmask_b32_e32 v1, v1, v13, vcc_lo
.LBB5_28:
	v_cvt_f32_u32_e32 v2, s1
	s_sub_i32 s6, 0, s1
	s_mov_b32 s31, 0
	s_delay_alu instid0(VALU_DEP_1) | instskip(SKIP_2) | instid1(VALU_DEP_1)
	v_rcp_iflag_f32_e32 v2, v2
	s_waitcnt_depctr 0xfff
	v_mul_f32_e32 v2, 0x4f7ffffe, v2
	v_cvt_u32_f32_e32 v2, v2
	s_delay_alu instid0(VALU_DEP_1) | instskip(NEXT) | instid1(VALU_DEP_1)
	v_mul_lo_u32 v14, s6, v2
	v_mul_hi_u32 v14, v2, v14
	s_delay_alu instid0(VALU_DEP_1) | instskip(NEXT) | instid1(VALU_DEP_1)
	v_add_nc_u32_e32 v2, v2, v14
	v_mul_hi_u32 v2, v0, v2
	s_delay_alu instid0(VALU_DEP_1) | instskip(NEXT) | instid1(VALU_DEP_1)
	v_mul_lo_u32 v14, v2, s1
	v_sub_nc_u32_e32 v14, v0, v14
	s_delay_alu instid0(VALU_DEP_1) | instskip(SKIP_1) | instid1(VALU_DEP_2)
	v_subrev_nc_u32_e32 v16, s1, v14
	v_cmp_le_u32_e32 vcc_lo, s1, v14
	v_dual_cndmask_b32 v14, v14, v16 :: v_dual_add_nc_u32 v15, 1, v2
	s_delay_alu instid0(VALU_DEP_1) | instskip(NEXT) | instid1(VALU_DEP_2)
	v_cndmask_b32_e32 v2, v2, v15, vcc_lo
	v_cmp_le_u32_e32 vcc_lo, s1, v14
	s_delay_alu instid0(VALU_DEP_2) | instskip(NEXT) | instid1(VALU_DEP_1)
	v_dual_mul_f32 v14, 0x3b124925, v1 :: v_dual_add_nc_u32 v15, 1, v2
	v_cndmask_b32_e32 v15, v2, v15, vcc_lo
	v_cmp_gt_u32_e32 vcc_lo, s13, v5
	s_delay_alu instid0(VALU_DEP_2) | instskip(NEXT) | instid1(VALU_DEP_1)
	v_mul_lo_u32 v2, v15, s1
	v_sub_nc_u32_e32 v2, v0, v2
	s_delay_alu instid0(VALU_DEP_1) | instskip(NEXT) | instid1(VALU_DEP_1)
	v_cmp_eq_u32_e64 s1, 0, v2
                                        ; implicit-def: $vgpr1_vgpr2
	s_and_b32 s6, s1, vcc_lo
	s_mov_b32 s1, 0
	s_and_saveexec_b32 s7, s6
	s_delay_alu instid0(SALU_CYCLE_1)
	s_xor_b32 s16, exec_lo, s7
	s_cbranch_execz .LBB5_37
; %bb.29:
	s_bitcmp0_b32 s19, 0
	s_mov_b32 s10, 0
	s_cbranch_scc0 .LBB5_34
; %bb.30:
	s_ashr_i32 s1, s13, 31
	s_mul_hi_u32 s7, s13, s2
	s_mul_i32 s1, s1, s2
	s_mul_i32 s6, s13, s2
	s_add_i32 s7, s7, s1
	s_mov_b32 s19, s11
	s_delay_alu instid0(SALU_CYCLE_1) | instskip(NEXT) | instid1(SALU_CYCLE_1)
	s_or_b64 s[14:15], s[6:7], s[18:19]
	s_mov_b32 s11, s15
	s_delay_alu instid0(SALU_CYCLE_1)
	s_cmp_lg_u64 s[10:11], 0
	s_cbranch_scc0 .LBB5_45
; %bb.31:
	s_add_u32 s14, s18, s19
	s_mov_b32 s10, s19
	s_mov_b32 s11, s19
	s_addc_u32 s15, s19, s19
	s_delay_alu instid0(SALU_CYCLE_1) | instskip(NEXT) | instid1(SALU_CYCLE_1)
	s_xor_b64 s[14:15], s[14:15], s[10:11]
	v_cvt_f32_u32_e32 v1, s14
	v_cvt_f32_u32_e32 v2, s15
	s_sub_u32 s20, 0, s14
	s_subb_u32 s21, 0, s15
	s_delay_alu instid0(VALU_DEP_1) | instskip(NEXT) | instid1(VALU_DEP_1)
	v_fmamk_f32 v1, v2, 0x4f800000, v1
	v_rcp_f32_e32 v1, v1
	s_waitcnt_depctr 0xfff
	v_mul_f32_e32 v1, 0x5f7ffffc, v1
	s_delay_alu instid0(VALU_DEP_1) | instskip(NEXT) | instid1(VALU_DEP_1)
	v_mul_f32_e32 v2, 0x2f800000, v1
	v_trunc_f32_e32 v2, v2
	s_delay_alu instid0(VALU_DEP_1) | instskip(SKIP_1) | instid1(VALU_DEP_2)
	v_fmamk_f32 v1, v2, 0xcf800000, v1
	v_cvt_u32_f32_e32 v2, v2
	v_cvt_u32_f32_e32 v1, v1
	s_delay_alu instid0(VALU_DEP_2) | instskip(NEXT) | instid1(VALU_DEP_2)
	v_readfirstlane_b32 s1, v2
	v_readfirstlane_b32 s19, v1
	s_delay_alu instid0(VALU_DEP_2) | instskip(NEXT) | instid1(VALU_DEP_1)
	s_mul_i32 s22, s20, s1
	s_mul_hi_u32 s24, s20, s19
	s_mul_i32 s23, s21, s19
	s_add_i32 s22, s24, s22
	s_mul_i32 s25, s20, s19
	s_add_i32 s22, s22, s23
	s_mul_hi_u32 s24, s19, s25
	s_mul_hi_u32 s26, s1, s25
	s_mul_i32 s23, s1, s25
	s_mul_hi_u32 s25, s19, s22
	s_mul_i32 s19, s19, s22
	s_mul_hi_u32 s27, s1, s22
	s_add_u32 s19, s24, s19
	s_addc_u32 s24, 0, s25
	s_add_u32 s19, s19, s23
	s_mul_i32 s22, s1, s22
	s_addc_u32 s19, s24, s26
	s_addc_u32 s23, s27, 0
	s_add_u32 s19, s19, s22
	s_addc_u32 s22, 0, s23
	v_add_co_u32 v1, s19, v1, s19
	s_delay_alu instid0(VALU_DEP_1) | instskip(SKIP_1) | instid1(VALU_DEP_1)
	s_cmp_lg_u32 s19, 0
	s_addc_u32 s1, s1, s22
	v_readfirstlane_b32 s19, v1
	s_mul_i32 s22, s20, s1
	s_delay_alu instid0(VALU_DEP_1)
	s_mul_hi_u32 s23, s20, s19
	s_mul_i32 s21, s21, s19
	s_add_i32 s22, s23, s22
	s_mul_i32 s20, s20, s19
	s_add_i32 s22, s22, s21
	s_mul_hi_u32 s23, s1, s20
	s_mul_i32 s24, s1, s20
	s_mul_hi_u32 s20, s19, s20
	s_mul_hi_u32 s25, s19, s22
	s_mul_i32 s19, s19, s22
	s_mul_hi_u32 s21, s1, s22
	s_add_u32 s19, s20, s19
	s_addc_u32 s20, 0, s25
	s_add_u32 s19, s19, s24
	s_mul_i32 s22, s1, s22
	s_addc_u32 s19, s20, s23
	s_addc_u32 s20, s21, 0
	s_add_u32 s19, s19, s22
	s_addc_u32 s20, 0, s20
	v_add_co_u32 v1, s19, v1, s19
	s_delay_alu instid0(VALU_DEP_1) | instskip(SKIP_2) | instid1(SALU_CYCLE_1)
	s_cmp_lg_u32 s19, 0
	s_addc_u32 s1, s1, s20
	s_ashr_i32 s20, s7, 31
	s_add_u32 s22, s6, s20
	s_addc_u32 s23, s7, s20
	v_readfirstlane_b32 s7, v1
	s_mov_b32 s21, s20
	s_delay_alu instid0(SALU_CYCLE_1) | instskip(NEXT) | instid1(SALU_CYCLE_1)
	s_xor_b64 s[22:23], s[22:23], s[20:21]
	s_mul_i32 s24, s22, s1
	s_delay_alu instid0(VALU_DEP_1)
	s_mul_hi_u32 s25, s22, s7
	s_mul_hi_u32 s19, s22, s1
	;; [unrolled: 1-line block ×3, first 2 shown]
	s_mul_i32 s7, s23, s7
	s_add_u32 s24, s25, s24
	s_addc_u32 s19, 0, s19
	s_mul_hi_u32 s26, s23, s1
	s_add_u32 s7, s24, s7
	s_mul_i32 s1, s23, s1
	s_addc_u32 s7, s19, s27
	s_addc_u32 s19, s26, 0
	s_add_u32 s7, s7, s1
	s_addc_u32 s19, 0, s19
	s_mul_i32 s26, s14, s7
	s_mul_hi_u32 s1, s14, s7
	s_mul_i32 s25, s14, s19
	v_sub_co_u32 v1, s22, s22, s26
	s_mul_i32 s24, s15, s7
	s_add_i32 s1, s1, s25
	s_delay_alu instid0(SALU_CYCLE_1) | instskip(NEXT) | instid1(VALU_DEP_1)
	s_add_i32 s1, s1, s24
	v_sub_co_u32 v2, s25, v1, s14
	s_sub_i32 s24, s23, s1
	s_cmp_lg_u32 s22, 0
	s_subb_u32 s24, s24, s15
	s_cmp_lg_u32 s25, 0
	v_cmp_le_u32_e32 vcc_lo, s14, v2
	s_subb_u32 s24, s24, 0
	s_delay_alu instid0(SALU_CYCLE_1)
	s_cmp_ge_u32 s24, s15
	v_cndmask_b32_e64 v2, 0, -1, vcc_lo
	s_cselect_b32 s25, -1, 0
	s_cmp_eq_u32 s24, s15
	s_cselect_b32 vcc_lo, -1, 0
	s_add_u32 s24, s7, 1
	v_cndmask_b32_e32 v2, s25, v2, vcc_lo
	s_addc_u32 s25, s19, 0
	s_add_u32 s26, s7, 2
	s_addc_u32 s27, s19, 0
	s_cmp_lg_u32 s22, 0
	v_cmp_le_u32_e32 vcc_lo, s14, v1
	s_subb_u32 s1, s23, s1
	v_mov_b32_e32 v16, s26
	s_cmp_ge_u32 s1, s15
	v_cndmask_b32_e64 v1, 0, -1, vcc_lo
	s_cselect_b32 s14, -1, 0
	s_cmp_eq_u32 s1, s15
	v_cmp_ne_u32_e32 vcc_lo, 0, v2
	v_mov_b32_e32 v2, s27
	s_cselect_b32 s1, -1, 0
	s_xor_b64 s[10:11], s[20:21], s[10:11]
	v_cndmask_b32_e64 v1, s14, v1, s1
	v_cndmask_b32_e32 v16, s24, v16, vcc_lo
	v_cndmask_b32_e32 v2, s25, v2, vcc_lo
	s_delay_alu instid0(VALU_DEP_3) | instskip(NEXT) | instid1(VALU_DEP_2)
	v_cmp_ne_u32_e32 vcc_lo, 0, v1
	v_cndmask_b32_e32 v1, s19, v2, vcc_lo
	s_delay_alu instid0(VALU_DEP_4) | instskip(NEXT) | instid1(VALU_DEP_2)
	v_cndmask_b32_e32 v2, s7, v16, vcc_lo
	v_xor_b32_e32 v16, s11, v1
	s_delay_alu instid0(VALU_DEP_2) | instskip(NEXT) | instid1(VALU_DEP_1)
	v_xor_b32_e32 v2, s10, v2
	v_sub_co_u32 v1, vcc_lo, v2, s10
	s_delay_alu instid0(VALU_DEP_3)
	v_subrev_co_ci_u32_e32 v2, vcc_lo, s11, v16, vcc_lo
	s_cbranch_execnz .LBB5_33
.LBB5_32:
	v_cvt_f32_u32_e32 v1, s18
	s_sub_i32 s7, 0, s18
	s_delay_alu instid0(VALU_DEP_1) | instskip(SKIP_2) | instid1(VALU_DEP_1)
	v_rcp_iflag_f32_e32 v1, v1
	s_waitcnt_depctr 0xfff
	v_mul_f32_e32 v1, 0x4f7ffffe, v1
	v_cvt_u32_f32_e32 v1, v1
	s_delay_alu instid0(VALU_DEP_1) | instskip(NEXT) | instid1(VALU_DEP_1)
	v_readfirstlane_b32 s1, v1
	s_mul_i32 s7, s7, s1
	s_delay_alu instid0(SALU_CYCLE_1) | instskip(NEXT) | instid1(SALU_CYCLE_1)
	s_mul_hi_u32 s7, s1, s7
	s_add_i32 s1, s1, s7
	s_delay_alu instid0(SALU_CYCLE_1) | instskip(NEXT) | instid1(SALU_CYCLE_1)
	s_mul_hi_u32 s1, s6, s1
	s_mul_i32 s7, s1, s18
	s_delay_alu instid0(SALU_CYCLE_1)
	s_sub_i32 s6, s6, s7
	s_add_i32 s7, s1, 1
	s_sub_i32 s10, s6, s18
	s_cmp_ge_u32 s6, s18
	s_cselect_b32 s1, s7, s1
	s_cselect_b32 s6, s10, s6
	s_add_i32 s10, s1, 1
	s_cmp_ge_u32 s6, s18
	s_mov_b32 s7, 0
	s_cselect_b32 s6, s10, s1
	s_delay_alu instid0(SALU_CYCLE_1)
	v_dual_mov_b32 v1, s6 :: v_dual_mov_b32 v2, s7
.LBB5_33:
	s_delay_alu instid0(VALU_DEP_1) | instskip(NEXT) | instid1(VALU_DEP_2)
	v_add_co_u32 v1, vcc_lo, v1, v15
	v_add_co_ci_u32_e32 v2, vcc_lo, 0, v2, vcc_lo
	s_branch .LBB5_36
.LBB5_34:
                                        ; implicit-def: $vgpr1_vgpr2
	s_cbranch_execz .LBB5_36
; %bb.35:
	v_mul_lo_u32 v1, v15, s12
	s_delay_alu instid0(VALU_DEP_1) | instskip(SKIP_1) | instid1(VALU_DEP_2)
	v_ashrrev_i32_e32 v2, 31, v1
	v_add_co_u32 v1, vcc_lo, v1, s2
	v_add_co_ci_u32_e32 v2, vcc_lo, 0, v2, vcc_lo
.LBB5_36:
	s_mov_b32 s1, exec_lo
.LBB5_37:
	s_or_b32 exec_lo, exec_lo, s16
	s_delay_alu instid0(SALU_CYCLE_1)
	s_and_b32 vcc_lo, exec_lo, s31
	s_cbranch_vccz .LBB5_41
.LBB5_38:
	v_mov_b32_dpp v1, v13 quad_perm:[1,0,3,2] row_mask:0xf bank_mask:0xf
	s_delay_alu instid0(VALU_DEP_1) | instskip(SKIP_1) | instid1(VALU_DEP_1)
	v_cmp_gt_f32_e32 vcc_lo, v13, v1
	v_cndmask_b32_e32 v1, v1, v13, vcc_lo
	v_mov_b32_dpp v2, v1 quad_perm:[2,3,0,1] row_mask:0xf bank_mask:0xf
	s_delay_alu instid0(VALU_DEP_1) | instskip(SKIP_1) | instid1(VALU_DEP_1)
	v_cmp_gt_f32_e32 vcc_lo, v1, v2
	v_cndmask_b32_e32 v1, v2, v1, vcc_lo
	v_mov_b32_dpp v2, v1 row_xmask:7 row_mask:0xf bank_mask:0xf
	s_delay_alu instid0(VALU_DEP_1) | instskip(SKIP_1) | instid1(VALU_DEP_1)
	v_cmp_gt_f32_e32 vcc_lo, v1, v2
	v_cndmask_b32_e32 v1, v2, v1, vcc_lo
	v_mov_b32_dpp v2, v1 row_xmask:15 row_mask:0xf bank_mask:0xf
	s_delay_alu instid0(VALU_DEP_1)
	v_cmp_gt_f32_e32 vcc_lo, v1, v2
	s_and_saveexec_b32 s1, s0
	s_cbranch_execz .LBB5_40
; %bb.39:
	v_cndmask_b32_e32 v1, v2, v1, vcc_lo
	v_lshrrev_b32_e32 v2, 3, v0
	s_mov_b32 s0, 0x76543210
	s_delay_alu instid0(VALU_DEP_1) | instskip(NEXT) | instid1(VALU_DEP_3)
	v_and_b32_e32 v2, 0x7c, v2
	v_permlanex16_b32 v13, v1, s0, 0xfedcba98 op_sel:[1,1]
	s_delay_alu instid0(VALU_DEP_1)
	v_cmp_gt_f32_e32 vcc_lo, v1, v13
	v_cndmask_b32_e32 v1, v13, v1, vcc_lo
	ds_store_b32 v2, v1
.LBB5_40:
	s_or_b32 exec_lo, exec_lo, s1
	s_waitcnt lgkmcnt(0)
	s_barrier
	buffer_gl0_inv
	ds_load_b32 v1, v6
	v_cmp_eq_u32_e64 s1, 0, v0
	s_waitcnt lgkmcnt(0)
	v_mov_b32_dpp v2, v1 quad_perm:[1,0,3,2] row_mask:0xf bank_mask:0xf
	s_delay_alu instid0(VALU_DEP_1) | instskip(SKIP_1) | instid1(VALU_DEP_1)
	v_cmp_gt_f32_e32 vcc_lo, v1, v2
	v_cndmask_b32_e32 v1, v2, v1, vcc_lo
	v_mov_b32_dpp v2, v1 quad_perm:[2,3,0,1] row_mask:0xf bank_mask:0xf
	s_delay_alu instid0(VALU_DEP_1) | instskip(SKIP_1) | instid1(VALU_DEP_1)
	v_cmp_gt_f32_e32 vcc_lo, v1, v2
	v_cndmask_b32_e32 v1, v2, v1, vcc_lo
	v_dual_mul_f32 v14, 0x3b124925, v1 :: v_dual_mov_b32 v1, s2
	v_mov_b32_e32 v2, s3
.LBB5_41:
	s_and_saveexec_b32 s0, s1
	s_cbranch_execz .LBB5_43
; %bb.42:
	s_delay_alu instid0(VALU_DEP_1) | instskip(NEXT) | instid1(VALU_DEP_1)
	v_lshlrev_b64 v[0:1], 2, v[1:2]
	v_add_co_u32 v0, vcc_lo, s8, v0
	s_delay_alu instid0(VALU_DEP_2)
	v_add_co_ci_u32_e32 v1, vcc_lo, s9, v1, vcc_lo
	global_store_b32 v[0:1], v14, off
.LBB5_43:
	s_or_b32 exec_lo, exec_lo, s0
	;;#ASMSTART
	v_rcp_f32 v0, v14
	;;#ASMEND
	v_dual_mul_f32 v1, v11, v0 :: v_dual_mov_b32 v6, 0xc3e00000
	v_dual_mul_f32 v2, v12, v0 :: v_dual_mov_b32 v11, 0x43e00000
	v_mul_f32_e32 v9, v9, v0
	v_mul_f32_e32 v10, v10, v0
	;;#ASMSTART
	v_med3_f32 v1, v1, v6, v11
v_med3_f32 v2, v2, v6, v11
v_cvt_pk_fp8_f32 v12, v1, v2
	;;#ASMEND
	;;#ASMSTART
	v_med3_f32 v9, v9, v6, v11
v_med3_f32 v10, v10, v6, v11
v_cvt_pk_fp8_f32 v1, v9, v10
	;;#ASMEND
	v_perm_b32 v2, v1, v12, 0x5040100
	v_and_b32_e32 v1, 0xffffff00, v1
	s_add_i32 s0, s13, 3
	v_mul_f32_e32 v7, v7, v0
	s_ashr_i32 s7, s0, 31
	v_lshrrev_b32_e32 v9, 16, v2
	v_mul_f32_e32 v8, v8, v0
	s_ashr_i32 s1, s17, 31
	s_lshr_b32 s7, s7, 30
	s_mul_hi_u32 s3, s17, s2
	v_and_b32_e32 v9, 0xff, v9
	s_add_i32 s0, s0, s7
	s_mul_i32 s1, s1, s2
	s_mul_i32 s6, s17, s2
	s_and_b32 s2, s0, -4
	v_or_b32_e32 v1, v9, v1
	v_mul_f32_e32 v4, v4, v0
	v_mul_f32_e32 v0, v3, v0
	;;#ASMSTART
	v_med3_f32 v8, v8, v6, v11
v_med3_f32 v7, v7, v6, v11
v_cvt_pk_fp8_f32 v3, v8, v7
	;;#ASMEND
	s_add_i32 s3, s3, s1
	v_lshlrev_b32_e32 v1, 16, v1
	;;#ASMSTART
	v_med3_f32 v4, v4, v6, v11
v_med3_f32 v0, v0, v6, v11
v_cvt_pk_fp8_f32 v6, v4, v0
	;;#ASMEND
	v_lshlrev_b32_e32 v4, 16, v6
	s_add_u32 s0, s4, s6
	s_addc_u32 s1, s5, s3
	v_and_or_b32 v0, 0xffff, v2, v1
	s_and_b32 s1, s1, 0xffff
	v_and_or_b32 v1, 0xffff, v3, v4
	s_mov_b32 s3, -1
	buffer_store_b64 v[0:1], v5, s[0:3], 0 offen
	;;#ASMSTART
	s_nop 0
	;;#ASMEND
.LBB5_44:
	s_nop 0
	s_sendmsg sendmsg(MSG_DEALLOC_VGPRS)
	s_endpgm
.LBB5_45:
                                        ; implicit-def: $vgpr1_vgpr2
	s_branch .LBB5_32
	.section	.rodata,"a",@progbits
	.p2align	6, 0x0
	.amdhsa_kernel _ZN5aiter24add_rmsnorm_quant_kernelIDF16_DB8_Li128ELi8ELb1ELb1ELb1ELi1EEEvPT0_PT_PfS5_S5_S5_diiiiiiib
		.amdhsa_group_segment_fixed_size 32
		.amdhsa_private_segment_fixed_size 0
		.amdhsa_kernarg_size 88
		.amdhsa_user_sgpr_count 15
		.amdhsa_user_sgpr_dispatch_ptr 0
		.amdhsa_user_sgpr_queue_ptr 0
		.amdhsa_user_sgpr_kernarg_segment_ptr 1
		.amdhsa_user_sgpr_dispatch_id 0
		.amdhsa_user_sgpr_private_segment_size 0
		.amdhsa_wavefront_size32 1
		.amdhsa_uses_dynamic_stack 0
		.amdhsa_enable_private_segment 0
		.amdhsa_system_sgpr_workgroup_id_x 1
		.amdhsa_system_sgpr_workgroup_id_y 0
		.amdhsa_system_sgpr_workgroup_id_z 0
		.amdhsa_system_sgpr_workgroup_info 0
		.amdhsa_system_vgpr_workitem_id 0
		.amdhsa_next_free_vgpr 25
		.amdhsa_next_free_sgpr 40
		.amdhsa_reserve_vcc 1
		.amdhsa_float_round_mode_32 0
		.amdhsa_float_round_mode_16_64 0
		.amdhsa_float_denorm_mode_32 3
		.amdhsa_float_denorm_mode_16_64 3
		.amdhsa_dx10_clamp 1
		.amdhsa_ieee_mode 1
		.amdhsa_fp16_overflow 0
		.amdhsa_workgroup_processor_mode 1
		.amdhsa_memory_ordered 1
		.amdhsa_forward_progress 0
		.amdhsa_shared_vgpr_count 0
		.amdhsa_exception_fp_ieee_invalid_op 0
		.amdhsa_exception_fp_denorm_src 0
		.amdhsa_exception_fp_ieee_div_zero 0
		.amdhsa_exception_fp_ieee_overflow 0
		.amdhsa_exception_fp_ieee_underflow 0
		.amdhsa_exception_fp_ieee_inexact 0
		.amdhsa_exception_int_div_zero 0
	.end_amdhsa_kernel
	.section	.text._ZN5aiter24add_rmsnorm_quant_kernelIDF16_DB8_Li128ELi8ELb1ELb1ELb1ELi1EEEvPT0_PT_PfS5_S5_S5_diiiiiiib,"axG",@progbits,_ZN5aiter24add_rmsnorm_quant_kernelIDF16_DB8_Li128ELi8ELb1ELb1ELb1ELi1EEEvPT0_PT_PfS5_S5_S5_diiiiiiib,comdat
.Lfunc_end5:
	.size	_ZN5aiter24add_rmsnorm_quant_kernelIDF16_DB8_Li128ELi8ELb1ELb1ELb1ELi1EEEvPT0_PT_PfS5_S5_S5_diiiiiiib, .Lfunc_end5-_ZN5aiter24add_rmsnorm_quant_kernelIDF16_DB8_Li128ELi8ELb1ELb1ELb1ELi1EEEvPT0_PT_PfS5_S5_S5_diiiiiiib
                                        ; -- End function
	.section	.AMDGPU.csdata,"",@progbits
; Kernel info:
; codeLenInByte = 3584
; NumSgprs: 42
; NumVgprs: 25
; ScratchSize: 0
; MemoryBound: 0
; FloatMode: 240
; IeeeMode: 1
; LDSByteSize: 32 bytes/workgroup (compile time only)
; SGPRBlocks: 5
; VGPRBlocks: 3
; NumSGPRsForWavesPerEU: 42
; NumVGPRsForWavesPerEU: 25
; Occupancy: 16
; WaveLimiterHint : 0
; COMPUTE_PGM_RSRC2:SCRATCH_EN: 0
; COMPUTE_PGM_RSRC2:USER_SGPR: 15
; COMPUTE_PGM_RSRC2:TRAP_HANDLER: 0
; COMPUTE_PGM_RSRC2:TGID_X_EN: 1
; COMPUTE_PGM_RSRC2:TGID_Y_EN: 0
; COMPUTE_PGM_RSRC2:TGID_Z_EN: 0
; COMPUTE_PGM_RSRC2:TIDIG_COMP_CNT: 0
	.section	.text._ZN5aiter24add_rmsnorm_quant_kernelItDB8_Li128ELi8ELb1ELb1ELb1ELi1EEEvPT0_PT_PfS5_S5_S5_diiiiiiib,"axG",@progbits,_ZN5aiter24add_rmsnorm_quant_kernelItDB8_Li128ELi8ELb1ELb1ELb1ELi1EEEvPT0_PT_PfS5_S5_S5_diiiiiiib,comdat
	.protected	_ZN5aiter24add_rmsnorm_quant_kernelItDB8_Li128ELi8ELb1ELb1ELb1ELi1EEEvPT0_PT_PfS5_S5_S5_diiiiiiib ; -- Begin function _ZN5aiter24add_rmsnorm_quant_kernelItDB8_Li128ELi8ELb1ELb1ELb1ELi1EEEvPT0_PT_PfS5_S5_S5_diiiiiiib
	.globl	_ZN5aiter24add_rmsnorm_quant_kernelItDB8_Li128ELi8ELb1ELb1ELb1ELi1EEEvPT0_PT_PfS5_S5_S5_diiiiiiib
	.p2align	8
	.type	_ZN5aiter24add_rmsnorm_quant_kernelItDB8_Li128ELi8ELb1ELb1ELb1ELi1EEEvPT0_PT_PfS5_S5_S5_diiiiiiib,@function
_ZN5aiter24add_rmsnorm_quant_kernelItDB8_Li128ELi8ELb1ELb1ELb1ELi1EEEvPT0_PT_PfS5_S5_S5_diiiiiiib: ; @_ZN5aiter24add_rmsnorm_quant_kernelItDB8_Li128ELi8ELb1ELb1ELb1ELi1EEEvPT0_PT_PfS5_S5_S5_diiiiiiib
; %bb.0:
	s_mov_b32 s2, s15
	s_load_b256 s[12:19], s[0:1], 0x38
	s_mov_b32 s3, 0
	s_waitcnt lgkmcnt(0)
	s_ashr_i32 s5, s12, 31
	s_mov_b32 s4, s12
	s_delay_alu instid0(SALU_CYCLE_1) | instskip(NEXT) | instid1(VALU_DEP_1)
	v_cmp_ge_i64_e64 s4, s[2:3], s[4:5]
	s_and_b32 vcc_lo, exec_lo, s4
	s_cbranch_vccnz .LBB6_44
; %bb.1:
	s_clause 0x1
	s_load_b256 s[4:11], s[0:1], 0x0
	s_load_b256 s[20:27], s[0:1], 0x20
	s_ashr_i32 s1, s14, 31
	s_waitcnt lgkmcnt(0)
	s_mul_hi_u32 s26, s14, s2
	s_mul_i32 s1, s1, s2
	s_mul_i32 s0, s14, s2
	s_add_i32 s1, s26, s1
	s_mul_hi_u32 s26, s15, s2
	s_lshl_b64 s[0:1], s[0:1], 1
	v_lshlrev_b32_e32 v19, 4, v0
	s_mul_i32 s14, s15, s2
	s_mov_b32 s31, -1
	s_delay_alu instid0(SALU_CYCLE_1)
	s_mov_b32 s39, s31
	s_add_u32 s28, s10, s0
	s_addc_u32 s0, s11, s1
	s_add_i32 s1, s13, 1
	s_ashr_i32 s10, s15, 31
	s_lshr_b32 s11, s1, 31
	s_mul_i32 s10, s10, s2
	s_add_i32 s1, s1, s11
	s_and_b32 s29, s0, 0xffff
	s_lshl_b32 s0, s1, 1
	s_add_i32 s15, s26, s10
	s_and_b32 s30, s0, -4
	s_lshl_b64 s[0:1], s[14:15], 1
	s_and_b32 s37, s23, 0xffff
	buffer_load_b128 v[5:8], v19, s[28:31], 0 offen glc slc
	s_add_u32 s28, s20, s0
	s_addc_u32 s0, s21, s1
	s_mov_b32 s36, s22
	s_and_b32 s29, s0, 0xffff
	s_mov_b32 s38, s30
	buffer_load_b128 v[9:12], v19, s[28:31], 0 offen glc slc
	s_ashr_i32 s0, s16, 31
	s_mul_hi_u32 s1, s16, s2
	s_mul_i32 s10, s0, s2
	s_mul_i32 s0, s16, s2
	s_add_i32 s1, s1, s10
	s_delay_alu instid0(SALU_CYCLE_1) | instskip(NEXT) | instid1(SALU_CYCLE_1)
	s_lshl_b64 s[0:1], s[0:1], 1
	s_add_u32 s28, s6, s0
	s_addc_u32 s1, s7, s1
	s_delay_alu instid0(SALU_CYCLE_1)
	s_and_b32 s29, s1, 0xffff
	s_waitcnt vmcnt(1)
	v_lshrrev_b32_e32 v15, 16, v7
	v_and_b32_e32 v17, 0xffff, v7
	v_lshrrev_b32_e32 v14, 16, v6
	v_lshrrev_b32_e32 v18, 16, v8
	s_waitcnt vmcnt(0)
	v_and_b32_e32 v7, 0xffff, v9
	v_lshrrev_b32_e32 v16, 16, v9
	s_delay_alu instid0(VALU_DEP_2) | instskip(SKIP_2) | instid1(VALU_DEP_4)
	v_cvt_f32_u32_e32 v20, v7
	v_and_b32_e32 v13, 0xffff, v5
	v_lshrrev_b32_e32 v5, 16, v5
	v_cvt_f32_u32_e32 v9, v16
	s_delay_alu instid0(VALU_DEP_2) | instskip(NEXT) | instid1(VALU_DEP_1)
	v_cvt_f32_u32_e32 v5, v5
	v_dual_add_f32 v7, v5, v9 :: v_dual_and_b32 v6, 0xffff, v6
	s_delay_alu instid0(VALU_DEP_1) | instskip(SKIP_3) | instid1(VALU_DEP_2)
	v_cvt_f32_u32_e32 v5, v6
	v_and_b32_e32 v16, 0xffff, v8
	v_cvt_f32_u32_e32 v8, v13
	v_lshrrev_b32_e32 v6, 16, v10
	v_add_f32_e32 v8, v8, v20
	v_mul_f32_e32 v20, v7, v7
	buffer_load_b128 v[1:4], v19, s[36:39], 0 offen
	v_cvt_f32_u32_e32 v6, v6
	v_dual_fmac_f32 v20, v8, v8 :: v_dual_and_b32 v13, 0xffff, v10
	v_cvt_f32_u32_e32 v10, v14
	s_delay_alu instid0(VALU_DEP_2) | instskip(NEXT) | instid1(VALU_DEP_2)
	v_cvt_f32_u32_e32 v9, v13
	v_add_f32_e32 v10, v10, v6
	v_cvt_f32_u32_e32 v6, v15
	s_delay_alu instid0(VALU_DEP_3) | instskip(SKIP_1) | instid1(VALU_DEP_2)
	v_add_f32_e32 v9, v5, v9
	v_cvt_f32_u32_e32 v5, v17
	v_dual_fmac_f32 v20, v9, v9 :: v_dual_and_b32 v13, 0xffff, v11
	v_lshrrev_b32_e32 v11, 16, v11
	s_delay_alu instid0(VALU_DEP_2) | instskip(NEXT) | instid1(VALU_DEP_3)
	v_fmac_f32_e32 v20, v10, v10
	v_cvt_f32_u32_e32 v13, v13
	v_and_b32_e32 v14, 0xffff, v12
	s_delay_alu instid0(VALU_DEP_4) | instskip(NEXT) | instid1(VALU_DEP_3)
	v_cvt_f32_u32_e32 v15, v11
	v_add_f32_e32 v11, v5, v13
	v_cvt_f32_u32_e32 v5, v16
	v_lshrrev_b32_e32 v13, 16, v12
	v_cvt_f32_u32_e32 v14, v14
	v_add_f32_e32 v12, v6, v15
	v_fmac_f32_e32 v20, v11, v11
	v_cvt_f32_u32_e32 v6, v18
	v_cvt_f32_u32_e32 v15, v13
	v_add_f32_e32 v13, v5, v14
	v_perm_b32 v17, v12, v11, 0x7060302
	v_fmac_f32_e32 v20, v12, v12
	v_perm_b32 v16, v10, v9, 0x7060302
	v_add_f32_e32 v14, v6, v15
	v_perm_b32 v15, v7, v8, 0x7060302
	s_delay_alu instid0(VALU_DEP_4) | instskip(NEXT) | instid1(VALU_DEP_1)
	v_fmac_f32_e32 v20, v13, v13
	v_fmac_f32_e32 v20, v14, v14
	s_delay_alu instid0(VALU_DEP_1) | instskip(NEXT) | instid1(VALU_DEP_1)
	v_mov_b32_dpp v5, v20 quad_perm:[1,0,3,2] row_mask:0xf bank_mask:0xf
	v_dual_add_f32 v5, v20, v5 :: v_dual_and_b32 v20, 31, v0
	v_perm_b32 v18, v14, v13, 0x7060302
	s_delay_alu instid0(VALU_DEP_2) | instskip(NEXT) | instid1(VALU_DEP_3)
	v_mov_b32_dpp v6, v5 quad_perm:[2,3,0,1] row_mask:0xf bank_mask:0xf
	v_cmp_eq_u32_e64 s0, 31, v20
	buffer_store_b128 v[15:18], v19, s[28:31], 0 offen glc slc
	;;#ASMSTART
	s_nop 0
	;;#ASMEND
	v_add_f32_e32 v5, v5, v6
	s_delay_alu instid0(VALU_DEP_1) | instskip(NEXT) | instid1(VALU_DEP_1)
	v_mov_b32_dpp v6, v5 row_xmask:7 row_mask:0xf bank_mask:0xf
	v_add_f32_e32 v5, v5, v6
	s_delay_alu instid0(VALU_DEP_1)
	v_mov_b32_dpp v6, v5 row_xmask:15 row_mask:0xf bank_mask:0xf
	s_and_saveexec_b32 s1, s0
	s_cbranch_execz .LBB6_3
; %bb.2:
	s_delay_alu instid0(VALU_DEP_1) | instskip(SKIP_2) | instid1(VALU_DEP_2)
	v_add_f32_e32 v5, v5, v6
	s_mov_b32 s6, 0x76543210
	v_lshrrev_b32_e32 v6, 3, v0
	v_permlanex16_b32 v15, v5, s6, 0xfedcba98 op_sel:[1,1]
	s_delay_alu instid0(VALU_DEP_1)
	v_dual_add_f32 v5, v5, v15 :: v_dual_and_b32 v6, 0x7c, v6
	ds_store_b32 v6, v5 offset:16
.LBB6_3:
	s_or_b32 exec_lo, exec_lo, s1
	v_and_b32_e32 v5, 3, v0
	s_waitcnt vmcnt(0) lgkmcnt(0)
	s_waitcnt_vscnt null, 0x0
	s_barrier
	buffer_gl0_inv
	v_cvt_f32_i32_e32 v16, s13
	v_lshlrev_b32_e32 v6, 2, v5
	s_cmp_lg_u32 s18, 0
	ds_load_b32 v5, v6 offset:16
	s_waitcnt lgkmcnt(0)
	v_mov_b32_dpp v15, v5 quad_perm:[1,0,3,2] row_mask:0xf bank_mask:0xf
	s_delay_alu instid0(VALU_DEP_1) | instskip(NEXT) | instid1(VALU_DEP_1)
	v_add_f32_e32 v5, v5, v15
	v_mov_b32_dpp v15, v5 quad_perm:[2,3,0,1] row_mask:0xf bank_mask:0xf
	s_delay_alu instid0(VALU_DEP_1) | instskip(NEXT) | instid1(VALU_DEP_1)
	v_add_f32_e32 v5, v5, v15
	v_div_scale_f32 v15, null, v16, v16, v5
	v_div_scale_f32 v19, vcc_lo, v5, v16, v5
	s_delay_alu instid0(VALU_DEP_2) | instskip(SKIP_2) | instid1(VALU_DEP_1)
	v_rcp_f32_e32 v17, v15
	s_waitcnt_depctr 0xfff
	v_fma_f32 v18, -v15, v17, 1.0
	v_fmac_f32_e32 v17, v18, v17
	s_delay_alu instid0(VALU_DEP_1) | instskip(NEXT) | instid1(VALU_DEP_1)
	v_mul_f32_e32 v18, v19, v17
	v_fma_f32 v20, -v15, v18, v19
	s_delay_alu instid0(VALU_DEP_1) | instskip(SKIP_1) | instid1(VALU_DEP_2)
	v_fmac_f32_e32 v18, v20, v17
	v_mov_b32_e32 v20, 0x2edbe6ff
	v_fma_f32 v15, -v15, v18, v19
	s_delay_alu instid0(VALU_DEP_1) | instskip(SKIP_2) | instid1(VALU_DEP_3)
	v_div_fmas_f32 v15, v15, v17, v18
	v_and_b32_e32 v18, 0xffff, v3
	v_lshrrev_b32_e32 v3, 16, v3
	v_div_fixup_f32 v5, v15, v16, v5
	s_delay_alu instid0(VALU_DEP_3) | instskip(NEXT) | instid1(VALU_DEP_3)
	v_cvt_f32_u32_e32 v18, v18
	v_cvt_f32_u32_e32 v3, v3
	s_delay_alu instid0(VALU_DEP_3) | instskip(NEXT) | instid1(VALU_DEP_1)
	v_cvt_f64_f32_e32 v[15:16], v5
	v_add_f64 v[15:16], v[15:16], s[24:25]
	s_delay_alu instid0(VALU_DEP_1) | instskip(SKIP_2) | instid1(VALU_DEP_2)
	v_cvt_f32_f64_e32 v5, v[15:16]
	v_and_b32_e32 v16, 0xffff, v1
	v_lshrrev_b32_e32 v1, 16, v1
	v_cvt_f32_u32_e32 v16, v16
	s_delay_alu instid0(VALU_DEP_2) | instskip(SKIP_2) | instid1(VALU_DEP_2)
	v_cvt_f32_u32_e32 v1, v1
	v_mul_f32_e32 v15, 0x4b800000, v5
	v_cmp_gt_f32_e32 vcc_lo, 0x800000, v5
	v_cndmask_b32_e32 v15, v5, v15, vcc_lo
	s_delay_alu instid0(VALU_DEP_1) | instskip(SKIP_2) | instid1(VALU_DEP_1)
	v_rsq_f32_e32 v15, v15
	s_waitcnt_depctr 0xfff
	v_mul_f32_e32 v21, 0x45800000, v15
	v_cndmask_b32_e32 v15, v15, v21, vcc_lo
	v_and_b32_e32 v17, 0xffff, v2
	v_lshrrev_b32_e32 v2, 16, v2
	v_and_b32_e32 v19, 0xffff, v4
	v_lshrrev_b32_e32 v4, 16, v4
	v_mul_f32_e32 v10, v15, v10
	s_delay_alu instid0(VALU_DEP_4) | instskip(NEXT) | instid1(VALU_DEP_4)
	v_cvt_f32_u32_e32 v2, v2
	v_cvt_f32_u32_e32 v19, v19
	s_delay_alu instid0(VALU_DEP_4) | instskip(NEXT) | instid1(VALU_DEP_3)
	v_cvt_f32_u32_e32 v21, v4
	v_dual_mul_f32 v10, v10, v2 :: v_dual_mul_f32 v7, v7, v15
	v_dual_mul_f32 v4, v8, v15 :: v_dual_lshlrev_b32 v5, 3, v0
	v_mul_f32_e32 v8, v15, v9
	v_cvt_f32_u32_e32 v17, v17
	v_mul_f32_e32 v22, v15, v11
	v_mul_f32_e32 v23, v15, v12
	;; [unrolled: 1-line block ×4, first 2 shown]
	v_dual_mul_f32 v13, v15, v13 :: v_dual_mul_f32 v12, v4, v16
	v_dual_mul_f32 v9, v8, v17 :: v_dual_mul_f32 v8, v22, v18
	s_delay_alu instid0(VALU_DEP_3) | instskip(SKIP_1) | instid1(VALU_DEP_4)
	v_and_b32_e32 v2, 0x7fffffff, v11
	v_mul_f32_e32 v7, v23, v3
	v_dual_mul_f32 v4, v13, v19 :: v_dual_mul_f32 v3, v14, v21
	v_and_b32_e32 v1, 0x7fffffff, v12
	;;#ASMSTART
	v_max3_f32 v1, v20, v1, v2

	;;#ASMEND
	v_and_b32_e32 v13, 0x7fffffff, v9
	v_and_b32_e32 v14, 0x7fffffff, v10
	;; [unrolled: 1-line block ×3, first 2 shown]
	;;#ASMSTART
	v_max3_f32 v1, v1, v13, v14

	;;#ASMEND
	v_and_b32_e32 v15, 0x7fffffff, v8
	v_and_b32_e32 v17, 0x7fffffff, v4
	;; [unrolled: 1-line block ×3, first 2 shown]
	;;#ASMSTART
	v_max3_f32 v1, v1, v15, v16

	;;#ASMEND
	;;#ASMSTART
	v_max3_f32 v13, v1, v17, v18

	;;#ASMEND
	s_cbranch_scc0 .LBB6_10
; %bb.4:
	s_ashr_i32 s11, s18, 31
	s_delay_alu instid0(SALU_CYCLE_1) | instskip(NEXT) | instid1(SALU_CYCLE_1)
	s_lshr_b32 s1, s11, 29
	s_add_i32 s1, s18, s1
	s_delay_alu instid0(SALU_CYCLE_1) | instskip(NEXT) | instid1(SALU_CYCLE_1)
	s_ashr_i32 s1, s1, 3
	s_cmp_lt_i32 s1, 8
	s_cbranch_scc1 .LBB6_11
; %bb.5:
	s_cmp_lt_i32 s1, 16
	s_cbranch_scc1 .LBB6_12
; %bb.6:
	;; [unrolled: 3-line block ×3, first 2 shown]
	v_mov_b32_e32 v1, v13
	s_cmp_eq_u32 s1, 32
	s_cbranch_scc0 .LBB6_9
; %bb.8:
	s_delay_alu instid0(VALU_DEP_1) | instskip(SKIP_1) | instid1(VALU_DEP_1)
	v_mov_b32_dpp v1, v13 quad_perm:[1,0,3,2] row_mask:0xf bank_mask:0xf
	s_mov_b32 s6, 0x76543210
	v_cmp_gt_f32_e32 vcc_lo, v13, v1
	v_cndmask_b32_e32 v1, v1, v13, vcc_lo
	s_delay_alu instid0(VALU_DEP_1) | instskip(NEXT) | instid1(VALU_DEP_1)
	v_mov_b32_dpp v2, v1 quad_perm:[2,3,0,1] row_mask:0xf bank_mask:0xf
	v_cmp_gt_f32_e32 vcc_lo, v1, v2
	v_cndmask_b32_e32 v1, v2, v1, vcc_lo
	s_delay_alu instid0(VALU_DEP_1) | instskip(NEXT) | instid1(VALU_DEP_1)
	v_mov_b32_dpp v2, v1 row_xmask:7 row_mask:0xf bank_mask:0xf
	v_cmp_gt_f32_e32 vcc_lo, v1, v2
	v_cndmask_b32_e32 v1, v2, v1, vcc_lo
	s_delay_alu instid0(VALU_DEP_1) | instskip(NEXT) | instid1(VALU_DEP_1)
	v_mov_b32_dpp v2, v1 row_xmask:15 row_mask:0xf bank_mask:0xf
	v_cmp_gt_f32_e32 vcc_lo, v1, v2
	v_cndmask_b32_e32 v1, v2, v1, vcc_lo
	s_delay_alu instid0(VALU_DEP_1) | instskip(NEXT) | instid1(VALU_DEP_1)
	v_permlanex16_b32 v2, v1, s6, 0xfedcba98 op_sel:[1,1]
	v_cmp_gt_f32_e32 vcc_lo, v1, v2
	v_cndmask_b32_e32 v1, v2, v1, vcc_lo
.LBB6_9:
	s_mov_b32 s6, 0
	s_branch .LBB6_14
.LBB6_10:
	s_mov_b32 s1, 0
                                        ; implicit-def: $vgpr14
                                        ; implicit-def: $vgpr1_vgpr2
	s_and_b32 vcc_lo, exec_lo, s31
	s_cbranch_vccnz .LBB6_38
	s_branch .LBB6_41
.LBB6_11:
                                        ; implicit-def: $vgpr1
	s_branch .LBB6_21
.LBB6_12:
                                        ; implicit-def: $vgpr1
	s_branch .LBB6_18
.LBB6_13:
	s_mov_b32 s6, -1
                                        ; implicit-def: $vgpr1
.LBB6_14:
	s_delay_alu instid0(SALU_CYCLE_1)
	s_and_not1_b32 vcc_lo, exec_lo, s6
	s_cbranch_vccnz .LBB6_17
; %bb.15:
	v_mov_b32_e32 v1, v13
	s_cmp_eq_u32 s1, 16
	s_cbranch_scc0 .LBB6_17
; %bb.16:
	s_delay_alu instid0(VALU_DEP_1) | instskip(NEXT) | instid1(VALU_DEP_1)
	v_mov_b32_dpp v1, v13 quad_perm:[1,0,3,2] row_mask:0xf bank_mask:0xf
	v_cmp_gt_f32_e32 vcc_lo, v13, v1
	v_cndmask_b32_e32 v1, v1, v13, vcc_lo
	s_delay_alu instid0(VALU_DEP_1) | instskip(NEXT) | instid1(VALU_DEP_1)
	v_mov_b32_dpp v2, v1 quad_perm:[2,3,0,1] row_mask:0xf bank_mask:0xf
	v_cmp_gt_f32_e32 vcc_lo, v1, v2
	v_cndmask_b32_e32 v1, v2, v1, vcc_lo
	s_delay_alu instid0(VALU_DEP_1) | instskip(NEXT) | instid1(VALU_DEP_1)
	v_mov_b32_dpp v2, v1 row_half_mirror row_mask:0xf bank_mask:0xf
	v_cmp_gt_f32_e32 vcc_lo, v1, v2
	v_cndmask_b32_e32 v1, v2, v1, vcc_lo
	s_delay_alu instid0(VALU_DEP_1) | instskip(NEXT) | instid1(VALU_DEP_1)
	v_mov_b32_dpp v2, v1 row_mirror row_mask:0xf bank_mask:0xf
	v_cmp_gt_f32_e32 vcc_lo, v1, v2
	v_cndmask_b32_e32 v1, v2, v1, vcc_lo
.LBB6_17:
	s_cbranch_execnz .LBB6_20
.LBB6_18:
	v_mov_b32_e32 v1, v13
	s_cmp_eq_u32 s1, 8
	s_cbranch_scc0 .LBB6_20
; %bb.19:
	s_delay_alu instid0(VALU_DEP_1) | instskip(NEXT) | instid1(VALU_DEP_1)
	v_mov_b32_dpp v1, v13 quad_perm:[1,0,3,2] row_mask:0xf bank_mask:0xf
	v_cmp_gt_f32_e32 vcc_lo, v13, v1
	v_cndmask_b32_e32 v1, v1, v13, vcc_lo
	s_delay_alu instid0(VALU_DEP_1) | instskip(NEXT) | instid1(VALU_DEP_1)
	v_mov_b32_dpp v2, v1 quad_perm:[2,3,0,1] row_mask:0xf bank_mask:0xf
	v_cmp_gt_f32_e32 vcc_lo, v1, v2
	v_cndmask_b32_e32 v1, v2, v1, vcc_lo
	s_delay_alu instid0(VALU_DEP_1) | instskip(NEXT) | instid1(VALU_DEP_1)
	v_mov_b32_dpp v2, v1 row_half_mirror row_mask:0xf bank_mask:0xf
	v_cmp_gt_f32_e32 vcc_lo, v1, v2
	v_cndmask_b32_e32 v1, v2, v1, vcc_lo
.LBB6_20:
	s_cbranch_execnz .LBB6_28
.LBB6_21:
	s_cmp_lt_i32 s1, 4
	s_cbranch_scc1 .LBB6_24
; %bb.22:
	v_mov_b32_e32 v1, v13
	s_cmp_eq_u32 s1, 4
	s_cbranch_scc0 .LBB6_25
; %bb.23:
	s_delay_alu instid0(VALU_DEP_1) | instskip(NEXT) | instid1(VALU_DEP_1)
	v_mov_b32_dpp v1, v13 quad_perm:[1,0,3,2] row_mask:0xf bank_mask:0xf
	v_cmp_gt_f32_e32 vcc_lo, v13, v1
	v_cndmask_b32_e32 v1, v1, v13, vcc_lo
	s_delay_alu instid0(VALU_DEP_1) | instskip(NEXT) | instid1(VALU_DEP_1)
	v_mov_b32_dpp v2, v1 quad_perm:[2,3,0,1] row_mask:0xf bank_mask:0xf
	v_cmp_gt_f32_e32 vcc_lo, v1, v2
	v_cndmask_b32_e32 v1, v2, v1, vcc_lo
	s_cbranch_execz .LBB6_26
	s_branch .LBB6_28
.LBB6_24:
                                        ; implicit-def: $vgpr1
	s_branch .LBB6_26
.LBB6_25:
	s_cbranch_execnz .LBB6_28
.LBB6_26:
	v_mov_b32_e32 v1, v13
	s_cmp_lg_u32 s1, 2
	s_cbranch_scc1 .LBB6_28
; %bb.27:
	s_delay_alu instid0(VALU_DEP_1) | instskip(NEXT) | instid1(VALU_DEP_1)
	v_mov_b32_dpp v1, v13 quad_perm:[1,0,3,2] row_mask:0xf bank_mask:0xf
	v_cmp_gt_f32_e32 vcc_lo, v13, v1
	v_cndmask_b32_e32 v1, v1, v13, vcc_lo
.LBB6_28:
	v_cvt_f32_u32_e32 v2, s1
	s_sub_i32 s6, 0, s1
	s_mov_b32 s31, 0
	s_delay_alu instid0(VALU_DEP_1) | instskip(SKIP_2) | instid1(VALU_DEP_1)
	v_rcp_iflag_f32_e32 v2, v2
	s_waitcnt_depctr 0xfff
	v_mul_f32_e32 v2, 0x4f7ffffe, v2
	v_cvt_u32_f32_e32 v2, v2
	s_delay_alu instid0(VALU_DEP_1) | instskip(NEXT) | instid1(VALU_DEP_1)
	v_mul_lo_u32 v14, s6, v2
	v_mul_hi_u32 v14, v2, v14
	s_delay_alu instid0(VALU_DEP_1) | instskip(NEXT) | instid1(VALU_DEP_1)
	v_add_nc_u32_e32 v2, v2, v14
	v_mul_hi_u32 v2, v0, v2
	s_delay_alu instid0(VALU_DEP_1) | instskip(NEXT) | instid1(VALU_DEP_1)
	v_mul_lo_u32 v14, v2, s1
	v_sub_nc_u32_e32 v14, v0, v14
	s_delay_alu instid0(VALU_DEP_1) | instskip(SKIP_1) | instid1(VALU_DEP_2)
	v_subrev_nc_u32_e32 v16, s1, v14
	v_cmp_le_u32_e32 vcc_lo, s1, v14
	v_dual_cndmask_b32 v14, v14, v16 :: v_dual_add_nc_u32 v15, 1, v2
	s_delay_alu instid0(VALU_DEP_1) | instskip(NEXT) | instid1(VALU_DEP_2)
	v_cndmask_b32_e32 v2, v2, v15, vcc_lo
	v_cmp_le_u32_e32 vcc_lo, s1, v14
	s_delay_alu instid0(VALU_DEP_2) | instskip(NEXT) | instid1(VALU_DEP_1)
	v_dual_mul_f32 v14, 0x3b124925, v1 :: v_dual_add_nc_u32 v15, 1, v2
	v_cndmask_b32_e32 v15, v2, v15, vcc_lo
	v_cmp_gt_u32_e32 vcc_lo, s13, v5
	s_delay_alu instid0(VALU_DEP_2) | instskip(NEXT) | instid1(VALU_DEP_1)
	v_mul_lo_u32 v2, v15, s1
	v_sub_nc_u32_e32 v2, v0, v2
	s_delay_alu instid0(VALU_DEP_1) | instskip(NEXT) | instid1(VALU_DEP_1)
	v_cmp_eq_u32_e64 s1, 0, v2
                                        ; implicit-def: $vgpr1_vgpr2
	s_and_b32 s6, s1, vcc_lo
	s_mov_b32 s1, 0
	s_and_saveexec_b32 s7, s6
	s_delay_alu instid0(SALU_CYCLE_1)
	s_xor_b32 s16, exec_lo, s7
	s_cbranch_execz .LBB6_37
; %bb.29:
	s_bitcmp0_b32 s19, 0
	s_mov_b32 s10, 0
	s_cbranch_scc0 .LBB6_34
; %bb.30:
	s_ashr_i32 s1, s13, 31
	s_mul_hi_u32 s7, s13, s2
	s_mul_i32 s1, s1, s2
	s_mul_i32 s6, s13, s2
	s_add_i32 s7, s7, s1
	s_mov_b32 s19, s11
	s_delay_alu instid0(SALU_CYCLE_1) | instskip(NEXT) | instid1(SALU_CYCLE_1)
	s_or_b64 s[14:15], s[6:7], s[18:19]
	s_mov_b32 s11, s15
	s_delay_alu instid0(SALU_CYCLE_1)
	s_cmp_lg_u64 s[10:11], 0
	s_cbranch_scc0 .LBB6_45
; %bb.31:
	s_add_u32 s14, s18, s19
	s_mov_b32 s10, s19
	s_mov_b32 s11, s19
	s_addc_u32 s15, s19, s19
	s_delay_alu instid0(SALU_CYCLE_1) | instskip(NEXT) | instid1(SALU_CYCLE_1)
	s_xor_b64 s[14:15], s[14:15], s[10:11]
	v_cvt_f32_u32_e32 v1, s14
	v_cvt_f32_u32_e32 v2, s15
	s_sub_u32 s20, 0, s14
	s_subb_u32 s21, 0, s15
	s_delay_alu instid0(VALU_DEP_1) | instskip(NEXT) | instid1(VALU_DEP_1)
	v_fmamk_f32 v1, v2, 0x4f800000, v1
	v_rcp_f32_e32 v1, v1
	s_waitcnt_depctr 0xfff
	v_mul_f32_e32 v1, 0x5f7ffffc, v1
	s_delay_alu instid0(VALU_DEP_1) | instskip(NEXT) | instid1(VALU_DEP_1)
	v_mul_f32_e32 v2, 0x2f800000, v1
	v_trunc_f32_e32 v2, v2
	s_delay_alu instid0(VALU_DEP_1) | instskip(SKIP_1) | instid1(VALU_DEP_2)
	v_fmamk_f32 v1, v2, 0xcf800000, v1
	v_cvt_u32_f32_e32 v2, v2
	v_cvt_u32_f32_e32 v1, v1
	s_delay_alu instid0(VALU_DEP_2) | instskip(NEXT) | instid1(VALU_DEP_2)
	v_readfirstlane_b32 s1, v2
	v_readfirstlane_b32 s19, v1
	s_delay_alu instid0(VALU_DEP_2) | instskip(NEXT) | instid1(VALU_DEP_1)
	s_mul_i32 s22, s20, s1
	s_mul_hi_u32 s24, s20, s19
	s_mul_i32 s23, s21, s19
	s_add_i32 s22, s24, s22
	s_mul_i32 s25, s20, s19
	s_add_i32 s22, s22, s23
	s_mul_hi_u32 s24, s19, s25
	s_mul_hi_u32 s26, s1, s25
	s_mul_i32 s23, s1, s25
	s_mul_hi_u32 s25, s19, s22
	s_mul_i32 s19, s19, s22
	s_mul_hi_u32 s27, s1, s22
	s_add_u32 s19, s24, s19
	s_addc_u32 s24, 0, s25
	s_add_u32 s19, s19, s23
	s_mul_i32 s22, s1, s22
	s_addc_u32 s19, s24, s26
	s_addc_u32 s23, s27, 0
	s_add_u32 s19, s19, s22
	s_addc_u32 s22, 0, s23
	v_add_co_u32 v1, s19, v1, s19
	s_delay_alu instid0(VALU_DEP_1) | instskip(SKIP_1) | instid1(VALU_DEP_1)
	s_cmp_lg_u32 s19, 0
	s_addc_u32 s1, s1, s22
	v_readfirstlane_b32 s19, v1
	s_mul_i32 s22, s20, s1
	s_delay_alu instid0(VALU_DEP_1)
	s_mul_hi_u32 s23, s20, s19
	s_mul_i32 s21, s21, s19
	s_add_i32 s22, s23, s22
	s_mul_i32 s20, s20, s19
	s_add_i32 s22, s22, s21
	s_mul_hi_u32 s23, s1, s20
	s_mul_i32 s24, s1, s20
	s_mul_hi_u32 s20, s19, s20
	s_mul_hi_u32 s25, s19, s22
	s_mul_i32 s19, s19, s22
	s_mul_hi_u32 s21, s1, s22
	s_add_u32 s19, s20, s19
	s_addc_u32 s20, 0, s25
	s_add_u32 s19, s19, s24
	s_mul_i32 s22, s1, s22
	s_addc_u32 s19, s20, s23
	s_addc_u32 s20, s21, 0
	s_add_u32 s19, s19, s22
	s_addc_u32 s20, 0, s20
	v_add_co_u32 v1, s19, v1, s19
	s_delay_alu instid0(VALU_DEP_1) | instskip(SKIP_2) | instid1(SALU_CYCLE_1)
	s_cmp_lg_u32 s19, 0
	s_addc_u32 s1, s1, s20
	s_ashr_i32 s20, s7, 31
	s_add_u32 s22, s6, s20
	s_addc_u32 s23, s7, s20
	v_readfirstlane_b32 s7, v1
	s_mov_b32 s21, s20
	s_delay_alu instid0(SALU_CYCLE_1) | instskip(NEXT) | instid1(SALU_CYCLE_1)
	s_xor_b64 s[22:23], s[22:23], s[20:21]
	s_mul_i32 s24, s22, s1
	s_delay_alu instid0(VALU_DEP_1)
	s_mul_hi_u32 s25, s22, s7
	s_mul_hi_u32 s19, s22, s1
	;; [unrolled: 1-line block ×3, first 2 shown]
	s_mul_i32 s7, s23, s7
	s_add_u32 s24, s25, s24
	s_addc_u32 s19, 0, s19
	s_mul_hi_u32 s26, s23, s1
	s_add_u32 s7, s24, s7
	s_mul_i32 s1, s23, s1
	s_addc_u32 s7, s19, s27
	s_addc_u32 s19, s26, 0
	s_add_u32 s7, s7, s1
	s_addc_u32 s19, 0, s19
	s_mul_i32 s26, s14, s7
	s_mul_hi_u32 s1, s14, s7
	s_mul_i32 s25, s14, s19
	v_sub_co_u32 v1, s22, s22, s26
	s_mul_i32 s24, s15, s7
	s_add_i32 s1, s1, s25
	s_delay_alu instid0(SALU_CYCLE_1) | instskip(NEXT) | instid1(VALU_DEP_1)
	s_add_i32 s1, s1, s24
	v_sub_co_u32 v2, s25, v1, s14
	s_sub_i32 s24, s23, s1
	s_cmp_lg_u32 s22, 0
	s_subb_u32 s24, s24, s15
	s_cmp_lg_u32 s25, 0
	v_cmp_le_u32_e32 vcc_lo, s14, v2
	s_subb_u32 s24, s24, 0
	s_delay_alu instid0(SALU_CYCLE_1)
	s_cmp_ge_u32 s24, s15
	v_cndmask_b32_e64 v2, 0, -1, vcc_lo
	s_cselect_b32 s25, -1, 0
	s_cmp_eq_u32 s24, s15
	s_cselect_b32 vcc_lo, -1, 0
	s_add_u32 s24, s7, 1
	v_cndmask_b32_e32 v2, s25, v2, vcc_lo
	s_addc_u32 s25, s19, 0
	s_add_u32 s26, s7, 2
	s_addc_u32 s27, s19, 0
	s_cmp_lg_u32 s22, 0
	v_cmp_le_u32_e32 vcc_lo, s14, v1
	s_subb_u32 s1, s23, s1
	v_mov_b32_e32 v16, s26
	s_cmp_ge_u32 s1, s15
	v_cndmask_b32_e64 v1, 0, -1, vcc_lo
	s_cselect_b32 s14, -1, 0
	s_cmp_eq_u32 s1, s15
	v_cmp_ne_u32_e32 vcc_lo, 0, v2
	v_mov_b32_e32 v2, s27
	s_cselect_b32 s1, -1, 0
	s_xor_b64 s[10:11], s[20:21], s[10:11]
	v_cndmask_b32_e64 v1, s14, v1, s1
	v_cndmask_b32_e32 v16, s24, v16, vcc_lo
	v_cndmask_b32_e32 v2, s25, v2, vcc_lo
	s_delay_alu instid0(VALU_DEP_3) | instskip(NEXT) | instid1(VALU_DEP_2)
	v_cmp_ne_u32_e32 vcc_lo, 0, v1
	v_cndmask_b32_e32 v1, s19, v2, vcc_lo
	s_delay_alu instid0(VALU_DEP_4) | instskip(NEXT) | instid1(VALU_DEP_2)
	v_cndmask_b32_e32 v2, s7, v16, vcc_lo
	v_xor_b32_e32 v16, s11, v1
	s_delay_alu instid0(VALU_DEP_2) | instskip(NEXT) | instid1(VALU_DEP_1)
	v_xor_b32_e32 v2, s10, v2
	v_sub_co_u32 v1, vcc_lo, v2, s10
	s_delay_alu instid0(VALU_DEP_3)
	v_subrev_co_ci_u32_e32 v2, vcc_lo, s11, v16, vcc_lo
	s_cbranch_execnz .LBB6_33
.LBB6_32:
	v_cvt_f32_u32_e32 v1, s18
	s_sub_i32 s7, 0, s18
	s_delay_alu instid0(VALU_DEP_1) | instskip(SKIP_2) | instid1(VALU_DEP_1)
	v_rcp_iflag_f32_e32 v1, v1
	s_waitcnt_depctr 0xfff
	v_mul_f32_e32 v1, 0x4f7ffffe, v1
	v_cvt_u32_f32_e32 v1, v1
	s_delay_alu instid0(VALU_DEP_1) | instskip(NEXT) | instid1(VALU_DEP_1)
	v_readfirstlane_b32 s1, v1
	s_mul_i32 s7, s7, s1
	s_delay_alu instid0(SALU_CYCLE_1) | instskip(NEXT) | instid1(SALU_CYCLE_1)
	s_mul_hi_u32 s7, s1, s7
	s_add_i32 s1, s1, s7
	s_delay_alu instid0(SALU_CYCLE_1) | instskip(NEXT) | instid1(SALU_CYCLE_1)
	s_mul_hi_u32 s1, s6, s1
	s_mul_i32 s7, s1, s18
	s_delay_alu instid0(SALU_CYCLE_1)
	s_sub_i32 s6, s6, s7
	s_add_i32 s7, s1, 1
	s_sub_i32 s10, s6, s18
	s_cmp_ge_u32 s6, s18
	s_cselect_b32 s1, s7, s1
	s_cselect_b32 s6, s10, s6
	s_add_i32 s10, s1, 1
	s_cmp_ge_u32 s6, s18
	s_mov_b32 s7, 0
	s_cselect_b32 s6, s10, s1
	s_delay_alu instid0(SALU_CYCLE_1)
	v_dual_mov_b32 v1, s6 :: v_dual_mov_b32 v2, s7
.LBB6_33:
	s_delay_alu instid0(VALU_DEP_1) | instskip(NEXT) | instid1(VALU_DEP_2)
	v_add_co_u32 v1, vcc_lo, v1, v15
	v_add_co_ci_u32_e32 v2, vcc_lo, 0, v2, vcc_lo
	s_branch .LBB6_36
.LBB6_34:
                                        ; implicit-def: $vgpr1_vgpr2
	s_cbranch_execz .LBB6_36
; %bb.35:
	v_mul_lo_u32 v1, v15, s12
	s_delay_alu instid0(VALU_DEP_1) | instskip(SKIP_1) | instid1(VALU_DEP_2)
	v_ashrrev_i32_e32 v2, 31, v1
	v_add_co_u32 v1, vcc_lo, v1, s2
	v_add_co_ci_u32_e32 v2, vcc_lo, 0, v2, vcc_lo
.LBB6_36:
	s_mov_b32 s1, exec_lo
.LBB6_37:
	s_or_b32 exec_lo, exec_lo, s16
	s_delay_alu instid0(SALU_CYCLE_1)
	s_and_b32 vcc_lo, exec_lo, s31
	s_cbranch_vccz .LBB6_41
.LBB6_38:
	v_mov_b32_dpp v1, v13 quad_perm:[1,0,3,2] row_mask:0xf bank_mask:0xf
	s_delay_alu instid0(VALU_DEP_1) | instskip(SKIP_1) | instid1(VALU_DEP_1)
	v_cmp_gt_f32_e32 vcc_lo, v13, v1
	v_cndmask_b32_e32 v1, v1, v13, vcc_lo
	v_mov_b32_dpp v2, v1 quad_perm:[2,3,0,1] row_mask:0xf bank_mask:0xf
	s_delay_alu instid0(VALU_DEP_1) | instskip(SKIP_1) | instid1(VALU_DEP_1)
	v_cmp_gt_f32_e32 vcc_lo, v1, v2
	v_cndmask_b32_e32 v1, v2, v1, vcc_lo
	v_mov_b32_dpp v2, v1 row_xmask:7 row_mask:0xf bank_mask:0xf
	s_delay_alu instid0(VALU_DEP_1) | instskip(SKIP_1) | instid1(VALU_DEP_1)
	v_cmp_gt_f32_e32 vcc_lo, v1, v2
	v_cndmask_b32_e32 v1, v2, v1, vcc_lo
	v_mov_b32_dpp v2, v1 row_xmask:15 row_mask:0xf bank_mask:0xf
	s_delay_alu instid0(VALU_DEP_1)
	v_cmp_gt_f32_e32 vcc_lo, v1, v2
	s_and_saveexec_b32 s1, s0
	s_cbranch_execz .LBB6_40
; %bb.39:
	v_cndmask_b32_e32 v1, v2, v1, vcc_lo
	v_lshrrev_b32_e32 v2, 3, v0
	s_mov_b32 s0, 0x76543210
	s_delay_alu instid0(VALU_DEP_1) | instskip(NEXT) | instid1(VALU_DEP_3)
	v_and_b32_e32 v2, 0x7c, v2
	v_permlanex16_b32 v13, v1, s0, 0xfedcba98 op_sel:[1,1]
	s_delay_alu instid0(VALU_DEP_1)
	v_cmp_gt_f32_e32 vcc_lo, v1, v13
	v_cndmask_b32_e32 v1, v13, v1, vcc_lo
	ds_store_b32 v2, v1
.LBB6_40:
	s_or_b32 exec_lo, exec_lo, s1
	s_waitcnt lgkmcnt(0)
	s_barrier
	buffer_gl0_inv
	ds_load_b32 v1, v6
	v_cmp_eq_u32_e64 s1, 0, v0
	s_waitcnt lgkmcnt(0)
	v_mov_b32_dpp v2, v1 quad_perm:[1,0,3,2] row_mask:0xf bank_mask:0xf
	s_delay_alu instid0(VALU_DEP_1) | instskip(SKIP_1) | instid1(VALU_DEP_1)
	v_cmp_gt_f32_e32 vcc_lo, v1, v2
	v_cndmask_b32_e32 v1, v2, v1, vcc_lo
	v_mov_b32_dpp v2, v1 quad_perm:[2,3,0,1] row_mask:0xf bank_mask:0xf
	s_delay_alu instid0(VALU_DEP_1) | instskip(SKIP_1) | instid1(VALU_DEP_1)
	v_cmp_gt_f32_e32 vcc_lo, v1, v2
	v_cndmask_b32_e32 v1, v2, v1, vcc_lo
	v_dual_mul_f32 v14, 0x3b124925, v1 :: v_dual_mov_b32 v1, s2
	v_mov_b32_e32 v2, s3
.LBB6_41:
	s_and_saveexec_b32 s0, s1
	s_cbranch_execz .LBB6_43
; %bb.42:
	s_delay_alu instid0(VALU_DEP_1) | instskip(NEXT) | instid1(VALU_DEP_1)
	v_lshlrev_b64 v[0:1], 2, v[1:2]
	v_add_co_u32 v0, vcc_lo, s8, v0
	s_delay_alu instid0(VALU_DEP_2)
	v_add_co_ci_u32_e32 v1, vcc_lo, s9, v1, vcc_lo
	global_store_b32 v[0:1], v14, off
.LBB6_43:
	s_or_b32 exec_lo, exec_lo, s0
	;;#ASMSTART
	v_rcp_f32 v0, v14
	;;#ASMEND
	v_dual_mul_f32 v1, v12, v0 :: v_dual_mov_b32 v6, 0xc3e00000
	v_dual_mul_f32 v2, v11, v0 :: v_dual_mov_b32 v11, 0x43e00000
	v_mul_f32_e32 v9, v9, v0
	v_mul_f32_e32 v10, v10, v0
	;;#ASMSTART
	v_med3_f32 v1, v1, v6, v11
v_med3_f32 v2, v2, v6, v11
v_cvt_pk_fp8_f32 v12, v1, v2
	;;#ASMEND
	;;#ASMSTART
	v_med3_f32 v9, v9, v6, v11
v_med3_f32 v10, v10, v6, v11
v_cvt_pk_fp8_f32 v1, v9, v10
	;;#ASMEND
	v_perm_b32 v2, v1, v12, 0x5040100
	v_and_b32_e32 v1, 0xffffff00, v1
	s_add_i32 s0, s13, 3
	v_mul_f32_e32 v7, v7, v0
	s_ashr_i32 s7, s0, 31
	v_lshrrev_b32_e32 v9, 16, v2
	v_mul_f32_e32 v8, v8, v0
	s_ashr_i32 s1, s17, 31
	s_lshr_b32 s7, s7, 30
	s_mul_hi_u32 s3, s17, s2
	v_and_b32_e32 v9, 0xff, v9
	s_add_i32 s0, s0, s7
	s_mul_i32 s1, s1, s2
	s_mul_i32 s6, s17, s2
	s_and_b32 s2, s0, -4
	v_or_b32_e32 v1, v9, v1
	v_mul_f32_e32 v4, v4, v0
	v_mul_f32_e32 v0, v3, v0
	;;#ASMSTART
	v_med3_f32 v8, v8, v6, v11
v_med3_f32 v7, v7, v6, v11
v_cvt_pk_fp8_f32 v3, v8, v7
	;;#ASMEND
	s_add_i32 s3, s3, s1
	v_lshlrev_b32_e32 v1, 16, v1
	;;#ASMSTART
	v_med3_f32 v4, v4, v6, v11
v_med3_f32 v0, v0, v6, v11
v_cvt_pk_fp8_f32 v6, v4, v0
	;;#ASMEND
	v_lshlrev_b32_e32 v4, 16, v6
	s_add_u32 s0, s4, s6
	s_addc_u32 s1, s5, s3
	v_and_or_b32 v0, 0xffff, v2, v1
	s_and_b32 s1, s1, 0xffff
	v_and_or_b32 v1, 0xffff, v3, v4
	s_mov_b32 s3, -1
	buffer_store_b64 v[0:1], v5, s[0:3], 0 offen
	;;#ASMSTART
	s_nop 0
	;;#ASMEND
.LBB6_44:
	s_nop 0
	s_sendmsg sendmsg(MSG_DEALLOC_VGPRS)
	s_endpgm
.LBB6_45:
                                        ; implicit-def: $vgpr1_vgpr2
	s_branch .LBB6_32
	.section	.rodata,"a",@progbits
	.p2align	6, 0x0
	.amdhsa_kernel _ZN5aiter24add_rmsnorm_quant_kernelItDB8_Li128ELi8ELb1ELb1ELb1ELi1EEEvPT0_PT_PfS5_S5_S5_diiiiiiib
		.amdhsa_group_segment_fixed_size 32
		.amdhsa_private_segment_fixed_size 0
		.amdhsa_kernarg_size 88
		.amdhsa_user_sgpr_count 15
		.amdhsa_user_sgpr_dispatch_ptr 0
		.amdhsa_user_sgpr_queue_ptr 0
		.amdhsa_user_sgpr_kernarg_segment_ptr 1
		.amdhsa_user_sgpr_dispatch_id 0
		.amdhsa_user_sgpr_private_segment_size 0
		.amdhsa_wavefront_size32 1
		.amdhsa_uses_dynamic_stack 0
		.amdhsa_enable_private_segment 0
		.amdhsa_system_sgpr_workgroup_id_x 1
		.amdhsa_system_sgpr_workgroup_id_y 0
		.amdhsa_system_sgpr_workgroup_id_z 0
		.amdhsa_system_sgpr_workgroup_info 0
		.amdhsa_system_vgpr_workitem_id 0
		.amdhsa_next_free_vgpr 24
		.amdhsa_next_free_sgpr 40
		.amdhsa_reserve_vcc 1
		.amdhsa_float_round_mode_32 0
		.amdhsa_float_round_mode_16_64 0
		.amdhsa_float_denorm_mode_32 3
		.amdhsa_float_denorm_mode_16_64 3
		.amdhsa_dx10_clamp 1
		.amdhsa_ieee_mode 1
		.amdhsa_fp16_overflow 0
		.amdhsa_workgroup_processor_mode 1
		.amdhsa_memory_ordered 1
		.amdhsa_forward_progress 0
		.amdhsa_shared_vgpr_count 0
		.amdhsa_exception_fp_ieee_invalid_op 0
		.amdhsa_exception_fp_denorm_src 0
		.amdhsa_exception_fp_ieee_div_zero 0
		.amdhsa_exception_fp_ieee_overflow 0
		.amdhsa_exception_fp_ieee_underflow 0
		.amdhsa_exception_fp_ieee_inexact 0
		.amdhsa_exception_int_div_zero 0
	.end_amdhsa_kernel
	.section	.text._ZN5aiter24add_rmsnorm_quant_kernelItDB8_Li128ELi8ELb1ELb1ELb1ELi1EEEvPT0_PT_PfS5_S5_S5_diiiiiiib,"axG",@progbits,_ZN5aiter24add_rmsnorm_quant_kernelItDB8_Li128ELi8ELb1ELb1ELb1ELi1EEEvPT0_PT_PfS5_S5_S5_diiiiiiib,comdat
.Lfunc_end6:
	.size	_ZN5aiter24add_rmsnorm_quant_kernelItDB8_Li128ELi8ELb1ELb1ELb1ELi1EEEvPT0_PT_PfS5_S5_S5_diiiiiiib, .Lfunc_end6-_ZN5aiter24add_rmsnorm_quant_kernelItDB8_Li128ELi8ELb1ELb1ELb1ELi1EEEvPT0_PT_PfS5_S5_S5_diiiiiiib
                                        ; -- End function
	.section	.AMDGPU.csdata,"",@progbits
; Kernel info:
; codeLenInByte = 3692
; NumSgprs: 42
; NumVgprs: 24
; ScratchSize: 0
; MemoryBound: 0
; FloatMode: 240
; IeeeMode: 1
; LDSByteSize: 32 bytes/workgroup (compile time only)
; SGPRBlocks: 5
; VGPRBlocks: 2
; NumSGPRsForWavesPerEU: 42
; NumVGPRsForWavesPerEU: 24
; Occupancy: 16
; WaveLimiterHint : 0
; COMPUTE_PGM_RSRC2:SCRATCH_EN: 0
; COMPUTE_PGM_RSRC2:USER_SGPR: 15
; COMPUTE_PGM_RSRC2:TRAP_HANDLER: 0
; COMPUTE_PGM_RSRC2:TGID_X_EN: 1
; COMPUTE_PGM_RSRC2:TGID_Y_EN: 0
; COMPUTE_PGM_RSRC2:TGID_Z_EN: 0
; COMPUTE_PGM_RSRC2:TIDIG_COMP_CNT: 0
	.section	.text._ZN5aiter24add_rmsnorm_quant_kernelIDF16_DB8_Li128ELi8ELb1ELb1ELb0ELi1EEEvPT0_PT_PfS5_S5_S5_diiiiiiib,"axG",@progbits,_ZN5aiter24add_rmsnorm_quant_kernelIDF16_DB8_Li128ELi8ELb1ELb1ELb0ELi1EEEvPT0_PT_PfS5_S5_S5_diiiiiiib,comdat
	.protected	_ZN5aiter24add_rmsnorm_quant_kernelIDF16_DB8_Li128ELi8ELb1ELb1ELb0ELi1EEEvPT0_PT_PfS5_S5_S5_diiiiiiib ; -- Begin function _ZN5aiter24add_rmsnorm_quant_kernelIDF16_DB8_Li128ELi8ELb1ELb1ELb0ELi1EEEvPT0_PT_PfS5_S5_S5_diiiiiiib
	.globl	_ZN5aiter24add_rmsnorm_quant_kernelIDF16_DB8_Li128ELi8ELb1ELb1ELb0ELi1EEEvPT0_PT_PfS5_S5_S5_diiiiiiib
	.p2align	8
	.type	_ZN5aiter24add_rmsnorm_quant_kernelIDF16_DB8_Li128ELi8ELb1ELb1ELb0ELi1EEEvPT0_PT_PfS5_S5_S5_diiiiiiib,@function
_ZN5aiter24add_rmsnorm_quant_kernelIDF16_DB8_Li128ELi8ELb1ELb1ELb0ELi1EEEvPT0_PT_PfS5_S5_S5_diiiiiiib: ; @_ZN5aiter24add_rmsnorm_quant_kernelIDF16_DB8_Li128ELi8ELb1ELb1ELb0ELi1EEEvPT0_PT_PfS5_S5_S5_diiiiiiib
; %bb.0:
	s_mov_b32 s2, s15
	s_load_b256 s[12:19], s[0:1], 0x38
	s_mov_b32 s3, 0
	s_waitcnt lgkmcnt(0)
	s_ashr_i32 s5, s12, 31
	s_mov_b32 s4, s12
	s_delay_alu instid0(SALU_CYCLE_1) | instskip(NEXT) | instid1(VALU_DEP_1)
	v_cmp_ge_i64_e64 s4, s[2:3], s[4:5]
	s_and_b32 vcc_lo, exec_lo, s4
	s_cbranch_vccnz .LBB7_44
; %bb.1:
	s_clause 0x1
	s_load_b256 s[4:11], s[0:1], 0x0
	s_load_b256 s[20:27], s[0:1], 0x20
	s_ashr_i32 s1, s14, 31
	s_waitcnt lgkmcnt(0)
	s_mul_hi_u32 s26, s14, s2
	s_mul_i32 s1, s1, s2
	s_mul_i32 s0, s14, s2
	s_add_i32 s1, s26, s1
	s_mul_hi_u32 s26, s15, s2
	s_lshl_b64 s[0:1], s[0:1], 1
	v_lshlrev_b32_e32 v19, 4, v0
	s_mul_i32 s14, s15, s2
	s_mov_b32 s31, -1
	v_and_b32_e32 v20, 31, v0
	s_mov_b32 s39, s31
	s_add_u32 s28, s10, s0
	s_addc_u32 s0, s11, s1
	s_add_i32 s1, s13, 1
	s_ashr_i32 s10, s15, 31
	s_lshr_b32 s11, s1, 31
	s_mul_i32 s10, s10, s2
	s_add_i32 s1, s1, s11
	s_and_b32 s29, s0, 0xffff
	s_lshl_b32 s0, s1, 1
	s_add_i32 s15, s26, s10
	s_and_b32 s30, s0, -4
	s_lshl_b64 s[0:1], s[14:15], 1
	s_and_b32 s37, s23, 0xffff
	buffer_load_b128 v[9:12], v19, s[28:31], 0 offen glc slc
	s_add_u32 s28, s20, s0
	s_addc_u32 s0, s21, s1
	s_mov_b32 s36, s22
	s_and_b32 s29, s0, 0xffff
	s_mov_b32 s38, s30
	buffer_load_b128 v[13:16], v19, s[28:31], 0 offen glc slc
	s_ashr_i32 s0, s16, 31
	s_mul_hi_u32 s1, s16, s2
	s_mul_i32 s10, s0, s2
	s_mul_i32 s0, s16, s2
	s_add_i32 s1, s1, s10
	s_delay_alu instid0(SALU_CYCLE_1) | instskip(NEXT) | instid1(SALU_CYCLE_1)
	s_lshl_b64 s[0:1], s[0:1], 1
	s_add_u32 s28, s6, s0
	s_addc_u32 s1, s7, s1
	v_cmp_eq_u32_e64 s0, 31, v20
	s_and_b32 s29, s1, 0xffff
	s_waitcnt vmcnt(1)
	v_cvt_f32_f16_e32 v8, v9
	v_lshrrev_b32_e32 v5, 16, v9
	v_cvt_f32_f16_e32 v9, v10
	s_waitcnt vmcnt(0)
	v_lshrrev_b32_e32 v6, 16, v13
	v_cvt_f32_f16_e32 v13, v13
	v_cvt_f32_f16_e32 v5, v5
	s_delay_alu instid0(VALU_DEP_3) | instskip(NEXT) | instid1(VALU_DEP_3)
	v_cvt_f32_f16_e32 v6, v6
	v_add_f32_e32 v8, v8, v13
	buffer_load_b128 v[1:4], v19, s[36:39], 0 offen
	v_cvt_f32_f16_e32 v13, v11
	v_add_f32_e32 v7, v5, v6
	v_lshrrev_b32_e32 v5, 16, v10
	v_cvt_f32_f16_e32 v6, v14
	v_lshrrev_b32_e32 v10, 16, v14
	v_lshrrev_b32_e32 v14, 16, v15
	v_cvt_f16_f32_e32 v24, v7
	v_cvt_f32_f16_e32 v5, v5
	v_add_f32_e32 v9, v9, v6
	v_cvt_f32_f16_e32 v10, v10
	v_mul_f32_e32 v17, v7, v7
	v_lshrrev_b32_e32 v6, 16, v11
	v_cvt_f32_f16_e32 v11, v15
	v_cvt_f32_f16_e32 v14, v14
	v_add_f32_e32 v10, v5, v10
	v_cvt_f32_f16_e32 v15, v16
	v_cvt_f32_f16_e32 v6, v6
	v_fmac_f32_e32 v17, v8, v8
	v_add_f32_e32 v11, v13, v11
	v_lshrrev_b32_e32 v13, 16, v12
	v_lshrrev_b32_e32 v16, 16, v16
	v_cvt_f32_f16_e32 v5, v12
	v_add_f32_e32 v12, v6, v14
	v_cvt_f16_f32_e32 v23, v10
	v_cvt_f32_f16_e32 v6, v13
	v_cvt_f32_f16_e32 v14, v16
	v_fmac_f32_e32 v17, v9, v9
	v_add_f32_e32 v13, v5, v15
	v_cvt_f16_f32_e32 v15, v9
	v_cvt_f16_f32_e32 v16, v11
	v_add_f32_e32 v14, v6, v14
	v_fmac_f32_e32 v17, v10, v10
	v_cvt_f16_f32_e32 v22, v12
	s_delay_alu instid0(VALU_DEP_3) | instskip(NEXT) | instid1(VALU_DEP_3)
	v_cvt_f16_f32_e32 v21, v14
	v_fmac_f32_e32 v17, v11, v11
	s_delay_alu instid0(VALU_DEP_1) | instskip(NEXT) | instid1(VALU_DEP_1)
	v_fmac_f32_e32 v17, v12, v12
	v_fmac_f32_e32 v17, v13, v13
	s_delay_alu instid0(VALU_DEP_1) | instskip(NEXT) | instid1(VALU_DEP_1)
	v_fmac_f32_e32 v17, v14, v14
	v_mov_b32_dpp v5, v17 quad_perm:[1,0,3,2] row_mask:0xf bank_mask:0xf
	s_delay_alu instid0(VALU_DEP_1) | instskip(SKIP_1) | instid1(VALU_DEP_2)
	v_add_f32_e32 v5, v17, v5
	v_cvt_f16_f32_e32 v17, v13
	v_mov_b32_dpp v6, v5 quad_perm:[2,3,0,1] row_mask:0xf bank_mask:0xf
	s_delay_alu instid0(VALU_DEP_1) | instskip(SKIP_1) | instid1(VALU_DEP_2)
	v_add_f32_e32 v5, v5, v6
	v_cvt_f16_f32_e32 v6, v8
	v_mov_b32_dpp v18, v5 row_xmask:7 row_mask:0xf bank_mask:0xf
	s_delay_alu instid0(VALU_DEP_1)
	v_add_f32_e32 v5, v5, v18
	v_pack_b32_f16 v18, v17, v21
	v_pack_b32_f16 v17, v16, v22
	;; [unrolled: 1-line block ×4, first 2 shown]
	v_mov_b32_dpp v6, v5 row_xmask:15 row_mask:0xf bank_mask:0xf
	buffer_store_b128 v[15:18], v19, s[28:31], 0 offen glc slc
	;;#ASMSTART
	s_nop 0
	;;#ASMEND
	s_and_saveexec_b32 s1, s0
	s_cbranch_execz .LBB7_3
; %bb.2:
	v_add_f32_e32 v5, v5, v6
	s_mov_b32 s6, 0x76543210
	v_lshrrev_b32_e32 v6, 3, v0
	s_delay_alu instid0(VALU_DEP_2) | instskip(NEXT) | instid1(VALU_DEP_1)
	v_permlanex16_b32 v15, v5, s6, 0xfedcba98 op_sel:[1,1]
	v_dual_add_f32 v5, v5, v15 :: v_dual_and_b32 v6, 0x7c, v6
	ds_store_b32 v6, v5 offset:16
.LBB7_3:
	s_or_b32 exec_lo, exec_lo, s1
	v_and_b32_e32 v5, 3, v0
	s_waitcnt vmcnt(0) lgkmcnt(0)
	s_waitcnt_vscnt null, 0x0
	s_barrier
	buffer_gl0_inv
	v_cvt_f32_i32_e32 v16, s13
	v_lshlrev_b32_e32 v6, 2, v5
	s_cmp_lg_u32 s18, 0
	ds_load_b32 v5, v6 offset:16
	s_waitcnt lgkmcnt(0)
	v_mov_b32_dpp v15, v5 quad_perm:[1,0,3,2] row_mask:0xf bank_mask:0xf
	s_delay_alu instid0(VALU_DEP_1) | instskip(NEXT) | instid1(VALU_DEP_1)
	v_add_f32_e32 v5, v5, v15
	v_mov_b32_dpp v15, v5 quad_perm:[2,3,0,1] row_mask:0xf bank_mask:0xf
	s_delay_alu instid0(VALU_DEP_1) | instskip(NEXT) | instid1(VALU_DEP_1)
	v_add_f32_e32 v5, v5, v15
	v_div_scale_f32 v15, null, v16, v16, v5
	v_div_scale_f32 v19, vcc_lo, v5, v16, v5
	s_delay_alu instid0(VALU_DEP_2) | instskip(SKIP_2) | instid1(VALU_DEP_1)
	v_rcp_f32_e32 v17, v15
	s_waitcnt_depctr 0xfff
	v_fma_f32 v18, -v15, v17, 1.0
	v_fmac_f32_e32 v17, v18, v17
	s_delay_alu instid0(VALU_DEP_1) | instskip(NEXT) | instid1(VALU_DEP_1)
	v_mul_f32_e32 v18, v19, v17
	v_fma_f32 v20, -v15, v18, v19
	s_delay_alu instid0(VALU_DEP_1) | instskip(SKIP_2) | instid1(VALU_DEP_3)
	v_fmac_f32_e32 v18, v20, v17
	v_cvt_f32_f16_e32 v20, v4
	v_lshrrev_b32_e32 v4, 16, v4
	v_fma_f32 v15, -v15, v18, v19
	s_delay_alu instid0(VALU_DEP_1)
	v_div_fmas_f32 v15, v15, v17, v18
	v_cvt_f32_f16_e32 v17, v2
	v_lshrrev_b32_e32 v2, 16, v2
	v_cvt_f32_f16_e32 v18, v3
	v_lshrrev_b32_e32 v3, 16, v3
	v_div_fixup_f32 v5, v15, v16, v5
	s_delay_alu instid0(VALU_DEP_4) | instskip(NEXT) | instid1(VALU_DEP_3)
	v_cvt_f32_f16_e32 v2, v2
	v_cvt_f32_f16_e32 v3, v3
	s_delay_alu instid0(VALU_DEP_3) | instskip(NEXT) | instid1(VALU_DEP_1)
	v_cvt_f64_f32_e32 v[15:16], v5
	v_add_f64 v[15:16], v[15:16], s[24:25]
	s_delay_alu instid0(VALU_DEP_1) | instskip(SKIP_2) | instid1(VALU_DEP_1)
	v_cvt_f32_f64_e32 v5, v[15:16]
	v_cvt_f32_f16_e32 v16, v1
	v_lshrrev_b32_e32 v1, 16, v1
	v_cvt_f32_f16_e32 v1, v1
	s_delay_alu instid0(VALU_DEP_4) | instskip(SKIP_1) | instid1(VALU_DEP_2)
	v_mul_f32_e32 v15, 0x4b800000, v5
	v_cmp_gt_f32_e32 vcc_lo, 0x800000, v5
	v_cndmask_b32_e32 v5, v5, v15, vcc_lo
	s_delay_alu instid0(VALU_DEP_1) | instskip(SKIP_2) | instid1(VALU_DEP_1)
	v_rsq_f32_e32 v15, v5
	s_waitcnt_depctr 0xfff
	v_mul_f32_e32 v19, 0x45800000, v15
	v_cndmask_b32_e32 v15, v15, v19, vcc_lo
	v_cvt_f32_f16_e32 v19, v4
	s_delay_alu instid0(VALU_DEP_2) | instskip(SKIP_1) | instid1(VALU_DEP_2)
	v_mul_f32_e32 v4, v8, v15
	v_mul_f32_e32 v13, v13, v15
	v_dual_mul_f32 v22, v11, v15 :: v_dual_mul_f32 v11, v4, v16
	s_delay_alu instid0(VALU_DEP_2) | instskip(SKIP_4) | instid1(VALU_DEP_4)
	v_dual_mul_f32 v4, v13, v20 :: v_dual_mov_b32 v21, 0x2edbe6ff
	v_mul_f32_e32 v10, v10, v15
	v_mul_f32_e32 v7, v7, v15
	v_dual_mul_f32 v8, v9, v15 :: v_dual_lshlrev_b32 v5, 3, v0
	v_mul_f32_e32 v14, v14, v15
	v_dual_mul_f32 v10, v10, v2 :: v_dual_mul_f32 v23, v12, v15
	s_delay_alu instid0(VALU_DEP_4) | instskip(NEXT) | instid1(VALU_DEP_4)
	v_mul_f32_e32 v12, v7, v1
	v_dual_mul_f32 v9, v8, v17 :: v_dual_mul_f32 v8, v22, v18
	v_and_b32_e32 v1, 0x7fffffff, v11
	s_delay_alu instid0(VALU_DEP_4)
	v_mul_f32_e32 v7, v23, v3
	v_dual_mul_f32 v3, v14, v19 :: v_dual_and_b32 v14, 0x7fffffff, v10
	v_and_b32_e32 v2, 0x7fffffff, v12
	;;#ASMSTART
	v_max3_f32 v1, v21, v1, v2

	;;#ASMEND
	v_and_b32_e32 v13, 0x7fffffff, v9
	;;#ASMSTART
	v_max3_f32 v1, v1, v13, v14

	;;#ASMEND
	v_and_b32_e32 v15, 0x7fffffff, v8
	v_and_b32_e32 v16, 0x7fffffff, v7
	;; [unrolled: 1-line block ×4, first 2 shown]
	;;#ASMSTART
	v_max3_f32 v1, v1, v15, v16

	;;#ASMEND
	;;#ASMSTART
	v_max3_f32 v13, v1, v17, v18

	;;#ASMEND
	s_cbranch_scc0 .LBB7_10
; %bb.4:
	s_ashr_i32 s11, s18, 31
	s_delay_alu instid0(SALU_CYCLE_1) | instskip(NEXT) | instid1(SALU_CYCLE_1)
	s_lshr_b32 s1, s11, 29
	s_add_i32 s1, s18, s1
	s_delay_alu instid0(SALU_CYCLE_1) | instskip(NEXT) | instid1(SALU_CYCLE_1)
	s_ashr_i32 s1, s1, 3
	s_cmp_lt_i32 s1, 8
	s_cbranch_scc1 .LBB7_11
; %bb.5:
	s_cmp_lt_i32 s1, 16
	s_cbranch_scc1 .LBB7_12
; %bb.6:
	;; [unrolled: 3-line block ×3, first 2 shown]
	v_mov_b32_e32 v1, v13
	s_cmp_eq_u32 s1, 32
	s_cbranch_scc0 .LBB7_9
; %bb.8:
	s_delay_alu instid0(VALU_DEP_1) | instskip(SKIP_1) | instid1(VALU_DEP_1)
	v_mov_b32_dpp v1, v13 quad_perm:[1,0,3,2] row_mask:0xf bank_mask:0xf
	s_mov_b32 s6, 0x76543210
	v_cmp_gt_f32_e32 vcc_lo, v13, v1
	v_cndmask_b32_e32 v1, v1, v13, vcc_lo
	s_delay_alu instid0(VALU_DEP_1) | instskip(NEXT) | instid1(VALU_DEP_1)
	v_mov_b32_dpp v2, v1 quad_perm:[2,3,0,1] row_mask:0xf bank_mask:0xf
	v_cmp_gt_f32_e32 vcc_lo, v1, v2
	v_cndmask_b32_e32 v1, v2, v1, vcc_lo
	s_delay_alu instid0(VALU_DEP_1) | instskip(NEXT) | instid1(VALU_DEP_1)
	v_mov_b32_dpp v2, v1 row_xmask:7 row_mask:0xf bank_mask:0xf
	v_cmp_gt_f32_e32 vcc_lo, v1, v2
	v_cndmask_b32_e32 v1, v2, v1, vcc_lo
	s_delay_alu instid0(VALU_DEP_1) | instskip(NEXT) | instid1(VALU_DEP_1)
	v_mov_b32_dpp v2, v1 row_xmask:15 row_mask:0xf bank_mask:0xf
	v_cmp_gt_f32_e32 vcc_lo, v1, v2
	v_cndmask_b32_e32 v1, v2, v1, vcc_lo
	s_delay_alu instid0(VALU_DEP_1) | instskip(NEXT) | instid1(VALU_DEP_1)
	v_permlanex16_b32 v2, v1, s6, 0xfedcba98 op_sel:[1,1]
	v_cmp_gt_f32_e32 vcc_lo, v1, v2
	v_cndmask_b32_e32 v1, v2, v1, vcc_lo
.LBB7_9:
	s_mov_b32 s6, 0
	s_branch .LBB7_14
.LBB7_10:
	s_mov_b32 s1, 0
                                        ; implicit-def: $vgpr14
                                        ; implicit-def: $vgpr1_vgpr2
	s_and_b32 vcc_lo, exec_lo, s31
	s_cbranch_vccnz .LBB7_38
	s_branch .LBB7_41
.LBB7_11:
                                        ; implicit-def: $vgpr1
	s_branch .LBB7_21
.LBB7_12:
                                        ; implicit-def: $vgpr1
	s_branch .LBB7_18
.LBB7_13:
	s_mov_b32 s6, -1
                                        ; implicit-def: $vgpr1
.LBB7_14:
	s_delay_alu instid0(SALU_CYCLE_1)
	s_and_not1_b32 vcc_lo, exec_lo, s6
	s_cbranch_vccnz .LBB7_17
; %bb.15:
	v_mov_b32_e32 v1, v13
	s_cmp_eq_u32 s1, 16
	s_cbranch_scc0 .LBB7_17
; %bb.16:
	s_delay_alu instid0(VALU_DEP_1) | instskip(NEXT) | instid1(VALU_DEP_1)
	v_mov_b32_dpp v1, v13 quad_perm:[1,0,3,2] row_mask:0xf bank_mask:0xf
	v_cmp_gt_f32_e32 vcc_lo, v13, v1
	v_cndmask_b32_e32 v1, v1, v13, vcc_lo
	s_delay_alu instid0(VALU_DEP_1) | instskip(NEXT) | instid1(VALU_DEP_1)
	v_mov_b32_dpp v2, v1 quad_perm:[2,3,0,1] row_mask:0xf bank_mask:0xf
	v_cmp_gt_f32_e32 vcc_lo, v1, v2
	v_cndmask_b32_e32 v1, v2, v1, vcc_lo
	s_delay_alu instid0(VALU_DEP_1) | instskip(NEXT) | instid1(VALU_DEP_1)
	v_mov_b32_dpp v2, v1 row_half_mirror row_mask:0xf bank_mask:0xf
	v_cmp_gt_f32_e32 vcc_lo, v1, v2
	v_cndmask_b32_e32 v1, v2, v1, vcc_lo
	s_delay_alu instid0(VALU_DEP_1) | instskip(NEXT) | instid1(VALU_DEP_1)
	v_mov_b32_dpp v2, v1 row_mirror row_mask:0xf bank_mask:0xf
	v_cmp_gt_f32_e32 vcc_lo, v1, v2
	v_cndmask_b32_e32 v1, v2, v1, vcc_lo
.LBB7_17:
	s_cbranch_execnz .LBB7_20
.LBB7_18:
	v_mov_b32_e32 v1, v13
	s_cmp_eq_u32 s1, 8
	s_cbranch_scc0 .LBB7_20
; %bb.19:
	s_delay_alu instid0(VALU_DEP_1) | instskip(NEXT) | instid1(VALU_DEP_1)
	v_mov_b32_dpp v1, v13 quad_perm:[1,0,3,2] row_mask:0xf bank_mask:0xf
	v_cmp_gt_f32_e32 vcc_lo, v13, v1
	v_cndmask_b32_e32 v1, v1, v13, vcc_lo
	s_delay_alu instid0(VALU_DEP_1) | instskip(NEXT) | instid1(VALU_DEP_1)
	v_mov_b32_dpp v2, v1 quad_perm:[2,3,0,1] row_mask:0xf bank_mask:0xf
	v_cmp_gt_f32_e32 vcc_lo, v1, v2
	v_cndmask_b32_e32 v1, v2, v1, vcc_lo
	s_delay_alu instid0(VALU_DEP_1) | instskip(NEXT) | instid1(VALU_DEP_1)
	v_mov_b32_dpp v2, v1 row_half_mirror row_mask:0xf bank_mask:0xf
	v_cmp_gt_f32_e32 vcc_lo, v1, v2
	v_cndmask_b32_e32 v1, v2, v1, vcc_lo
.LBB7_20:
	s_cbranch_execnz .LBB7_28
.LBB7_21:
	s_cmp_lt_i32 s1, 4
	s_cbranch_scc1 .LBB7_24
; %bb.22:
	v_mov_b32_e32 v1, v13
	s_cmp_eq_u32 s1, 4
	s_cbranch_scc0 .LBB7_25
; %bb.23:
	s_delay_alu instid0(VALU_DEP_1) | instskip(NEXT) | instid1(VALU_DEP_1)
	v_mov_b32_dpp v1, v13 quad_perm:[1,0,3,2] row_mask:0xf bank_mask:0xf
	v_cmp_gt_f32_e32 vcc_lo, v13, v1
	v_cndmask_b32_e32 v1, v1, v13, vcc_lo
	s_delay_alu instid0(VALU_DEP_1) | instskip(NEXT) | instid1(VALU_DEP_1)
	v_mov_b32_dpp v2, v1 quad_perm:[2,3,0,1] row_mask:0xf bank_mask:0xf
	v_cmp_gt_f32_e32 vcc_lo, v1, v2
	v_cndmask_b32_e32 v1, v2, v1, vcc_lo
	s_cbranch_execz .LBB7_26
	s_branch .LBB7_28
.LBB7_24:
                                        ; implicit-def: $vgpr1
	s_branch .LBB7_26
.LBB7_25:
	s_cbranch_execnz .LBB7_28
.LBB7_26:
	v_mov_b32_e32 v1, v13
	s_cmp_lg_u32 s1, 2
	s_cbranch_scc1 .LBB7_28
; %bb.27:
	s_delay_alu instid0(VALU_DEP_1) | instskip(NEXT) | instid1(VALU_DEP_1)
	v_mov_b32_dpp v1, v13 quad_perm:[1,0,3,2] row_mask:0xf bank_mask:0xf
	v_cmp_gt_f32_e32 vcc_lo, v13, v1
	v_cndmask_b32_e32 v1, v1, v13, vcc_lo
.LBB7_28:
	v_cvt_f32_u32_e32 v2, s1
	s_sub_i32 s6, 0, s1
	s_mov_b32 s31, 0
	s_delay_alu instid0(VALU_DEP_1) | instskip(SKIP_2) | instid1(VALU_DEP_1)
	v_rcp_iflag_f32_e32 v2, v2
	s_waitcnt_depctr 0xfff
	v_mul_f32_e32 v2, 0x4f7ffffe, v2
	v_cvt_u32_f32_e32 v2, v2
	s_delay_alu instid0(VALU_DEP_1) | instskip(NEXT) | instid1(VALU_DEP_1)
	v_mul_lo_u32 v14, s6, v2
	v_mul_hi_u32 v14, v2, v14
	s_delay_alu instid0(VALU_DEP_1) | instskip(NEXT) | instid1(VALU_DEP_1)
	v_add_nc_u32_e32 v2, v2, v14
	v_mul_hi_u32 v2, v0, v2
	s_delay_alu instid0(VALU_DEP_1) | instskip(NEXT) | instid1(VALU_DEP_1)
	v_mul_lo_u32 v14, v2, s1
	v_sub_nc_u32_e32 v14, v0, v14
	s_delay_alu instid0(VALU_DEP_1) | instskip(SKIP_1) | instid1(VALU_DEP_2)
	v_subrev_nc_u32_e32 v16, s1, v14
	v_cmp_le_u32_e32 vcc_lo, s1, v14
	v_dual_cndmask_b32 v14, v14, v16 :: v_dual_add_nc_u32 v15, 1, v2
	s_delay_alu instid0(VALU_DEP_1) | instskip(NEXT) | instid1(VALU_DEP_2)
	v_cndmask_b32_e32 v2, v2, v15, vcc_lo
	v_cmp_le_u32_e32 vcc_lo, s1, v14
	s_delay_alu instid0(VALU_DEP_2) | instskip(NEXT) | instid1(VALU_DEP_1)
	v_dual_mul_f32 v14, 0x3b124925, v1 :: v_dual_add_nc_u32 v15, 1, v2
	v_cndmask_b32_e32 v15, v2, v15, vcc_lo
	v_cmp_gt_u32_e32 vcc_lo, s13, v5
	s_delay_alu instid0(VALU_DEP_2) | instskip(NEXT) | instid1(VALU_DEP_1)
	v_mul_lo_u32 v2, v15, s1
	v_sub_nc_u32_e32 v2, v0, v2
	s_delay_alu instid0(VALU_DEP_1) | instskip(NEXT) | instid1(VALU_DEP_1)
	v_cmp_eq_u32_e64 s1, 0, v2
                                        ; implicit-def: $vgpr1_vgpr2
	s_and_b32 s6, s1, vcc_lo
	s_mov_b32 s1, 0
	s_and_saveexec_b32 s7, s6
	s_delay_alu instid0(SALU_CYCLE_1)
	s_xor_b32 s16, exec_lo, s7
	s_cbranch_execz .LBB7_37
; %bb.29:
	s_bitcmp0_b32 s19, 0
	s_mov_b32 s10, 0
	s_cbranch_scc0 .LBB7_34
; %bb.30:
	s_ashr_i32 s1, s13, 31
	s_mul_hi_u32 s7, s13, s2
	s_mul_i32 s1, s1, s2
	s_mul_i32 s6, s13, s2
	s_add_i32 s7, s7, s1
	s_mov_b32 s19, s11
	s_delay_alu instid0(SALU_CYCLE_1) | instskip(NEXT) | instid1(SALU_CYCLE_1)
	s_or_b64 s[14:15], s[6:7], s[18:19]
	s_mov_b32 s11, s15
	s_delay_alu instid0(SALU_CYCLE_1)
	s_cmp_lg_u64 s[10:11], 0
	s_cbranch_scc0 .LBB7_45
; %bb.31:
	s_add_u32 s14, s18, s19
	s_mov_b32 s10, s19
	s_mov_b32 s11, s19
	s_addc_u32 s15, s19, s19
	s_delay_alu instid0(SALU_CYCLE_1) | instskip(NEXT) | instid1(SALU_CYCLE_1)
	s_xor_b64 s[14:15], s[14:15], s[10:11]
	v_cvt_f32_u32_e32 v1, s14
	v_cvt_f32_u32_e32 v2, s15
	s_sub_u32 s20, 0, s14
	s_subb_u32 s21, 0, s15
	s_delay_alu instid0(VALU_DEP_1) | instskip(NEXT) | instid1(VALU_DEP_1)
	v_fmamk_f32 v1, v2, 0x4f800000, v1
	v_rcp_f32_e32 v1, v1
	s_waitcnt_depctr 0xfff
	v_mul_f32_e32 v1, 0x5f7ffffc, v1
	s_delay_alu instid0(VALU_DEP_1) | instskip(NEXT) | instid1(VALU_DEP_1)
	v_mul_f32_e32 v2, 0x2f800000, v1
	v_trunc_f32_e32 v2, v2
	s_delay_alu instid0(VALU_DEP_1) | instskip(SKIP_1) | instid1(VALU_DEP_2)
	v_fmamk_f32 v1, v2, 0xcf800000, v1
	v_cvt_u32_f32_e32 v2, v2
	v_cvt_u32_f32_e32 v1, v1
	s_delay_alu instid0(VALU_DEP_2) | instskip(NEXT) | instid1(VALU_DEP_2)
	v_readfirstlane_b32 s1, v2
	v_readfirstlane_b32 s19, v1
	s_delay_alu instid0(VALU_DEP_2) | instskip(NEXT) | instid1(VALU_DEP_1)
	s_mul_i32 s22, s20, s1
	s_mul_hi_u32 s24, s20, s19
	s_mul_i32 s23, s21, s19
	s_add_i32 s22, s24, s22
	s_mul_i32 s25, s20, s19
	s_add_i32 s22, s22, s23
	s_mul_hi_u32 s24, s19, s25
	s_mul_hi_u32 s26, s1, s25
	s_mul_i32 s23, s1, s25
	s_mul_hi_u32 s25, s19, s22
	s_mul_i32 s19, s19, s22
	s_mul_hi_u32 s27, s1, s22
	s_add_u32 s19, s24, s19
	s_addc_u32 s24, 0, s25
	s_add_u32 s19, s19, s23
	s_mul_i32 s22, s1, s22
	s_addc_u32 s19, s24, s26
	s_addc_u32 s23, s27, 0
	s_add_u32 s19, s19, s22
	s_addc_u32 s22, 0, s23
	v_add_co_u32 v1, s19, v1, s19
	s_delay_alu instid0(VALU_DEP_1) | instskip(SKIP_1) | instid1(VALU_DEP_1)
	s_cmp_lg_u32 s19, 0
	s_addc_u32 s1, s1, s22
	v_readfirstlane_b32 s19, v1
	s_mul_i32 s22, s20, s1
	s_delay_alu instid0(VALU_DEP_1)
	s_mul_hi_u32 s23, s20, s19
	s_mul_i32 s21, s21, s19
	s_add_i32 s22, s23, s22
	s_mul_i32 s20, s20, s19
	s_add_i32 s22, s22, s21
	s_mul_hi_u32 s23, s1, s20
	s_mul_i32 s24, s1, s20
	s_mul_hi_u32 s20, s19, s20
	s_mul_hi_u32 s25, s19, s22
	s_mul_i32 s19, s19, s22
	s_mul_hi_u32 s21, s1, s22
	s_add_u32 s19, s20, s19
	s_addc_u32 s20, 0, s25
	s_add_u32 s19, s19, s24
	s_mul_i32 s22, s1, s22
	s_addc_u32 s19, s20, s23
	s_addc_u32 s20, s21, 0
	s_add_u32 s19, s19, s22
	s_addc_u32 s20, 0, s20
	v_add_co_u32 v1, s19, v1, s19
	s_delay_alu instid0(VALU_DEP_1) | instskip(SKIP_2) | instid1(SALU_CYCLE_1)
	s_cmp_lg_u32 s19, 0
	s_addc_u32 s1, s1, s20
	s_ashr_i32 s20, s7, 31
	s_add_u32 s22, s6, s20
	s_addc_u32 s23, s7, s20
	v_readfirstlane_b32 s7, v1
	s_mov_b32 s21, s20
	s_delay_alu instid0(SALU_CYCLE_1) | instskip(NEXT) | instid1(SALU_CYCLE_1)
	s_xor_b64 s[22:23], s[22:23], s[20:21]
	s_mul_i32 s24, s22, s1
	s_delay_alu instid0(VALU_DEP_1)
	s_mul_hi_u32 s25, s22, s7
	s_mul_hi_u32 s19, s22, s1
	;; [unrolled: 1-line block ×3, first 2 shown]
	s_mul_i32 s7, s23, s7
	s_add_u32 s24, s25, s24
	s_addc_u32 s19, 0, s19
	s_mul_hi_u32 s26, s23, s1
	s_add_u32 s7, s24, s7
	s_mul_i32 s1, s23, s1
	s_addc_u32 s7, s19, s27
	s_addc_u32 s19, s26, 0
	s_add_u32 s7, s7, s1
	s_addc_u32 s19, 0, s19
	s_mul_i32 s26, s14, s7
	s_mul_hi_u32 s1, s14, s7
	s_mul_i32 s25, s14, s19
	v_sub_co_u32 v1, s22, s22, s26
	s_mul_i32 s24, s15, s7
	s_add_i32 s1, s1, s25
	s_delay_alu instid0(SALU_CYCLE_1) | instskip(NEXT) | instid1(VALU_DEP_1)
	s_add_i32 s1, s1, s24
	v_sub_co_u32 v2, s25, v1, s14
	s_sub_i32 s24, s23, s1
	s_cmp_lg_u32 s22, 0
	s_subb_u32 s24, s24, s15
	s_cmp_lg_u32 s25, 0
	v_cmp_le_u32_e32 vcc_lo, s14, v2
	s_subb_u32 s24, s24, 0
	s_delay_alu instid0(SALU_CYCLE_1)
	s_cmp_ge_u32 s24, s15
	v_cndmask_b32_e64 v2, 0, -1, vcc_lo
	s_cselect_b32 s25, -1, 0
	s_cmp_eq_u32 s24, s15
	s_cselect_b32 vcc_lo, -1, 0
	s_add_u32 s24, s7, 1
	v_cndmask_b32_e32 v2, s25, v2, vcc_lo
	s_addc_u32 s25, s19, 0
	s_add_u32 s26, s7, 2
	s_addc_u32 s27, s19, 0
	s_cmp_lg_u32 s22, 0
	v_cmp_le_u32_e32 vcc_lo, s14, v1
	s_subb_u32 s1, s23, s1
	v_mov_b32_e32 v16, s26
	s_cmp_ge_u32 s1, s15
	v_cndmask_b32_e64 v1, 0, -1, vcc_lo
	s_cselect_b32 s14, -1, 0
	s_cmp_eq_u32 s1, s15
	v_cmp_ne_u32_e32 vcc_lo, 0, v2
	v_mov_b32_e32 v2, s27
	s_cselect_b32 s1, -1, 0
	s_xor_b64 s[10:11], s[20:21], s[10:11]
	v_cndmask_b32_e64 v1, s14, v1, s1
	v_cndmask_b32_e32 v16, s24, v16, vcc_lo
	v_cndmask_b32_e32 v2, s25, v2, vcc_lo
	s_delay_alu instid0(VALU_DEP_3) | instskip(NEXT) | instid1(VALU_DEP_2)
	v_cmp_ne_u32_e32 vcc_lo, 0, v1
	v_cndmask_b32_e32 v1, s19, v2, vcc_lo
	s_delay_alu instid0(VALU_DEP_4) | instskip(NEXT) | instid1(VALU_DEP_2)
	v_cndmask_b32_e32 v2, s7, v16, vcc_lo
	v_xor_b32_e32 v16, s11, v1
	s_delay_alu instid0(VALU_DEP_2) | instskip(NEXT) | instid1(VALU_DEP_1)
	v_xor_b32_e32 v2, s10, v2
	v_sub_co_u32 v1, vcc_lo, v2, s10
	s_delay_alu instid0(VALU_DEP_3)
	v_subrev_co_ci_u32_e32 v2, vcc_lo, s11, v16, vcc_lo
	s_cbranch_execnz .LBB7_33
.LBB7_32:
	v_cvt_f32_u32_e32 v1, s18
	s_sub_i32 s7, 0, s18
	s_delay_alu instid0(VALU_DEP_1) | instskip(SKIP_2) | instid1(VALU_DEP_1)
	v_rcp_iflag_f32_e32 v1, v1
	s_waitcnt_depctr 0xfff
	v_mul_f32_e32 v1, 0x4f7ffffe, v1
	v_cvt_u32_f32_e32 v1, v1
	s_delay_alu instid0(VALU_DEP_1) | instskip(NEXT) | instid1(VALU_DEP_1)
	v_readfirstlane_b32 s1, v1
	s_mul_i32 s7, s7, s1
	s_delay_alu instid0(SALU_CYCLE_1) | instskip(NEXT) | instid1(SALU_CYCLE_1)
	s_mul_hi_u32 s7, s1, s7
	s_add_i32 s1, s1, s7
	s_delay_alu instid0(SALU_CYCLE_1) | instskip(NEXT) | instid1(SALU_CYCLE_1)
	s_mul_hi_u32 s1, s6, s1
	s_mul_i32 s7, s1, s18
	s_delay_alu instid0(SALU_CYCLE_1)
	s_sub_i32 s6, s6, s7
	s_add_i32 s7, s1, 1
	s_sub_i32 s10, s6, s18
	s_cmp_ge_u32 s6, s18
	s_cselect_b32 s1, s7, s1
	s_cselect_b32 s6, s10, s6
	s_add_i32 s10, s1, 1
	s_cmp_ge_u32 s6, s18
	s_mov_b32 s7, 0
	s_cselect_b32 s6, s10, s1
	s_delay_alu instid0(SALU_CYCLE_1)
	v_dual_mov_b32 v1, s6 :: v_dual_mov_b32 v2, s7
.LBB7_33:
	s_delay_alu instid0(VALU_DEP_1) | instskip(NEXT) | instid1(VALU_DEP_2)
	v_add_co_u32 v1, vcc_lo, v1, v15
	v_add_co_ci_u32_e32 v2, vcc_lo, 0, v2, vcc_lo
	s_branch .LBB7_36
.LBB7_34:
                                        ; implicit-def: $vgpr1_vgpr2
	s_cbranch_execz .LBB7_36
; %bb.35:
	v_mul_lo_u32 v1, v15, s12
	s_delay_alu instid0(VALU_DEP_1) | instskip(SKIP_1) | instid1(VALU_DEP_2)
	v_ashrrev_i32_e32 v2, 31, v1
	v_add_co_u32 v1, vcc_lo, v1, s2
	v_add_co_ci_u32_e32 v2, vcc_lo, 0, v2, vcc_lo
.LBB7_36:
	s_mov_b32 s1, exec_lo
.LBB7_37:
	s_or_b32 exec_lo, exec_lo, s16
	s_delay_alu instid0(SALU_CYCLE_1)
	s_and_b32 vcc_lo, exec_lo, s31
	s_cbranch_vccz .LBB7_41
.LBB7_38:
	v_mov_b32_dpp v1, v13 quad_perm:[1,0,3,2] row_mask:0xf bank_mask:0xf
	s_delay_alu instid0(VALU_DEP_1) | instskip(SKIP_1) | instid1(VALU_DEP_1)
	v_cmp_gt_f32_e32 vcc_lo, v13, v1
	v_cndmask_b32_e32 v1, v1, v13, vcc_lo
	v_mov_b32_dpp v2, v1 quad_perm:[2,3,0,1] row_mask:0xf bank_mask:0xf
	s_delay_alu instid0(VALU_DEP_1) | instskip(SKIP_1) | instid1(VALU_DEP_1)
	v_cmp_gt_f32_e32 vcc_lo, v1, v2
	v_cndmask_b32_e32 v1, v2, v1, vcc_lo
	v_mov_b32_dpp v2, v1 row_xmask:7 row_mask:0xf bank_mask:0xf
	s_delay_alu instid0(VALU_DEP_1) | instskip(SKIP_1) | instid1(VALU_DEP_1)
	v_cmp_gt_f32_e32 vcc_lo, v1, v2
	v_cndmask_b32_e32 v1, v2, v1, vcc_lo
	v_mov_b32_dpp v2, v1 row_xmask:15 row_mask:0xf bank_mask:0xf
	s_delay_alu instid0(VALU_DEP_1)
	v_cmp_gt_f32_e32 vcc_lo, v1, v2
	s_and_saveexec_b32 s1, s0
	s_cbranch_execz .LBB7_40
; %bb.39:
	v_cndmask_b32_e32 v1, v2, v1, vcc_lo
	v_lshrrev_b32_e32 v2, 3, v0
	s_mov_b32 s0, 0x76543210
	s_delay_alu instid0(VALU_DEP_1) | instskip(NEXT) | instid1(VALU_DEP_3)
	v_and_b32_e32 v2, 0x7c, v2
	v_permlanex16_b32 v13, v1, s0, 0xfedcba98 op_sel:[1,1]
	s_delay_alu instid0(VALU_DEP_1)
	v_cmp_gt_f32_e32 vcc_lo, v1, v13
	v_cndmask_b32_e32 v1, v13, v1, vcc_lo
	ds_store_b32 v2, v1
.LBB7_40:
	s_or_b32 exec_lo, exec_lo, s1
	s_waitcnt lgkmcnt(0)
	s_barrier
	buffer_gl0_inv
	ds_load_b32 v1, v6
	v_cmp_eq_u32_e64 s1, 0, v0
	s_waitcnt lgkmcnt(0)
	v_mov_b32_dpp v2, v1 quad_perm:[1,0,3,2] row_mask:0xf bank_mask:0xf
	s_delay_alu instid0(VALU_DEP_1) | instskip(SKIP_1) | instid1(VALU_DEP_1)
	v_cmp_gt_f32_e32 vcc_lo, v1, v2
	v_cndmask_b32_e32 v1, v2, v1, vcc_lo
	v_mov_b32_dpp v2, v1 quad_perm:[2,3,0,1] row_mask:0xf bank_mask:0xf
	s_delay_alu instid0(VALU_DEP_1) | instskip(SKIP_1) | instid1(VALU_DEP_1)
	v_cmp_gt_f32_e32 vcc_lo, v1, v2
	v_cndmask_b32_e32 v1, v2, v1, vcc_lo
	v_dual_mul_f32 v14, 0x3b124925, v1 :: v_dual_mov_b32 v1, s2
	v_mov_b32_e32 v2, s3
.LBB7_41:
	s_and_saveexec_b32 s0, s1
	s_cbranch_execz .LBB7_43
; %bb.42:
	s_delay_alu instid0(VALU_DEP_1) | instskip(NEXT) | instid1(VALU_DEP_1)
	v_lshlrev_b64 v[0:1], 2, v[1:2]
	v_add_co_u32 v0, vcc_lo, s8, v0
	s_delay_alu instid0(VALU_DEP_2)
	v_add_co_ci_u32_e32 v1, vcc_lo, s9, v1, vcc_lo
	global_store_b32 v[0:1], v14, off
.LBB7_43:
	s_or_b32 exec_lo, exec_lo, s0
	;;#ASMSTART
	v_rcp_f32 v0, v14
	;;#ASMEND
	v_dual_mul_f32 v1, v11, v0 :: v_dual_mov_b32 v6, 0xc3e00000
	v_dual_mul_f32 v2, v12, v0 :: v_dual_mov_b32 v11, 0x43e00000
	v_mul_f32_e32 v9, v9, v0
	v_mul_f32_e32 v10, v10, v0
	;;#ASMSTART
	v_med3_f32 v1, v1, v6, v11
v_med3_f32 v2, v2, v6, v11
v_cvt_pk_fp8_f32 v12, v1, v2
	;;#ASMEND
	;;#ASMSTART
	v_med3_f32 v9, v9, v6, v11
v_med3_f32 v10, v10, v6, v11
v_cvt_pk_fp8_f32 v1, v9, v10
	;;#ASMEND
	v_perm_b32 v2, v1, v12, 0x5040100
	v_and_b32_e32 v1, 0xffffff00, v1
	s_add_i32 s0, s13, 3
	v_mul_f32_e32 v7, v7, v0
	s_ashr_i32 s7, s0, 31
	v_lshrrev_b32_e32 v9, 16, v2
	v_mul_f32_e32 v8, v8, v0
	s_ashr_i32 s1, s17, 31
	s_lshr_b32 s7, s7, 30
	s_mul_hi_u32 s3, s17, s2
	v_and_b32_e32 v9, 0xff, v9
	s_add_i32 s0, s0, s7
	s_mul_i32 s1, s1, s2
	s_mul_i32 s6, s17, s2
	s_and_b32 s2, s0, -4
	v_or_b32_e32 v1, v9, v1
	v_mul_f32_e32 v4, v4, v0
	v_mul_f32_e32 v0, v3, v0
	;;#ASMSTART
	v_med3_f32 v8, v8, v6, v11
v_med3_f32 v7, v7, v6, v11
v_cvt_pk_fp8_f32 v3, v8, v7
	;;#ASMEND
	s_add_i32 s3, s3, s1
	v_lshlrev_b32_e32 v1, 16, v1
	;;#ASMSTART
	v_med3_f32 v4, v4, v6, v11
v_med3_f32 v0, v0, v6, v11
v_cvt_pk_fp8_f32 v6, v4, v0
	;;#ASMEND
	v_lshlrev_b32_e32 v4, 16, v6
	s_add_u32 s0, s4, s6
	s_addc_u32 s1, s5, s3
	v_and_or_b32 v0, 0xffff, v2, v1
	s_and_b32 s1, s1, 0xffff
	v_and_or_b32 v1, 0xffff, v3, v4
	s_mov_b32 s3, -1
	buffer_store_b64 v[0:1], v5, s[0:3], 0 offen
	;;#ASMSTART
	s_nop 0
	;;#ASMEND
.LBB7_44:
	s_nop 0
	s_sendmsg sendmsg(MSG_DEALLOC_VGPRS)
	s_endpgm
.LBB7_45:
                                        ; implicit-def: $vgpr1_vgpr2
	s_branch .LBB7_32
	.section	.rodata,"a",@progbits
	.p2align	6, 0x0
	.amdhsa_kernel _ZN5aiter24add_rmsnorm_quant_kernelIDF16_DB8_Li128ELi8ELb1ELb1ELb0ELi1EEEvPT0_PT_PfS5_S5_S5_diiiiiiib
		.amdhsa_group_segment_fixed_size 32
		.amdhsa_private_segment_fixed_size 0
		.amdhsa_kernarg_size 88
		.amdhsa_user_sgpr_count 15
		.amdhsa_user_sgpr_dispatch_ptr 0
		.amdhsa_user_sgpr_queue_ptr 0
		.amdhsa_user_sgpr_kernarg_segment_ptr 1
		.amdhsa_user_sgpr_dispatch_id 0
		.amdhsa_user_sgpr_private_segment_size 0
		.amdhsa_wavefront_size32 1
		.amdhsa_uses_dynamic_stack 0
		.amdhsa_enable_private_segment 0
		.amdhsa_system_sgpr_workgroup_id_x 1
		.amdhsa_system_sgpr_workgroup_id_y 0
		.amdhsa_system_sgpr_workgroup_id_z 0
		.amdhsa_system_sgpr_workgroup_info 0
		.amdhsa_system_vgpr_workitem_id 0
		.amdhsa_next_free_vgpr 25
		.amdhsa_next_free_sgpr 40
		.amdhsa_reserve_vcc 1
		.amdhsa_float_round_mode_32 0
		.amdhsa_float_round_mode_16_64 0
		.amdhsa_float_denorm_mode_32 3
		.amdhsa_float_denorm_mode_16_64 3
		.amdhsa_dx10_clamp 1
		.amdhsa_ieee_mode 1
		.amdhsa_fp16_overflow 0
		.amdhsa_workgroup_processor_mode 1
		.amdhsa_memory_ordered 1
		.amdhsa_forward_progress 0
		.amdhsa_shared_vgpr_count 0
		.amdhsa_exception_fp_ieee_invalid_op 0
		.amdhsa_exception_fp_denorm_src 0
		.amdhsa_exception_fp_ieee_div_zero 0
		.amdhsa_exception_fp_ieee_overflow 0
		.amdhsa_exception_fp_ieee_underflow 0
		.amdhsa_exception_fp_ieee_inexact 0
		.amdhsa_exception_int_div_zero 0
	.end_amdhsa_kernel
	.section	.text._ZN5aiter24add_rmsnorm_quant_kernelIDF16_DB8_Li128ELi8ELb1ELb1ELb0ELi1EEEvPT0_PT_PfS5_S5_S5_diiiiiiib,"axG",@progbits,_ZN5aiter24add_rmsnorm_quant_kernelIDF16_DB8_Li128ELi8ELb1ELb1ELb0ELi1EEEvPT0_PT_PfS5_S5_S5_diiiiiiib,comdat
.Lfunc_end7:
	.size	_ZN5aiter24add_rmsnorm_quant_kernelIDF16_DB8_Li128ELi8ELb1ELb1ELb0ELi1EEEvPT0_PT_PfS5_S5_S5_diiiiiiib, .Lfunc_end7-_ZN5aiter24add_rmsnorm_quant_kernelIDF16_DB8_Li128ELi8ELb1ELb1ELb0ELi1EEEvPT0_PT_PfS5_S5_S5_diiiiiiib
                                        ; -- End function
	.section	.AMDGPU.csdata,"",@progbits
; Kernel info:
; codeLenInByte = 3584
; NumSgprs: 42
; NumVgprs: 25
; ScratchSize: 0
; MemoryBound: 0
; FloatMode: 240
; IeeeMode: 1
; LDSByteSize: 32 bytes/workgroup (compile time only)
; SGPRBlocks: 5
; VGPRBlocks: 3
; NumSGPRsForWavesPerEU: 42
; NumVGPRsForWavesPerEU: 25
; Occupancy: 16
; WaveLimiterHint : 0
; COMPUTE_PGM_RSRC2:SCRATCH_EN: 0
; COMPUTE_PGM_RSRC2:USER_SGPR: 15
; COMPUTE_PGM_RSRC2:TRAP_HANDLER: 0
; COMPUTE_PGM_RSRC2:TGID_X_EN: 1
; COMPUTE_PGM_RSRC2:TGID_Y_EN: 0
; COMPUTE_PGM_RSRC2:TGID_Z_EN: 0
; COMPUTE_PGM_RSRC2:TIDIG_COMP_CNT: 0
	.section	.text._ZN5aiter24add_rmsnorm_quant_kernelItDB8_Li128ELi8ELb1ELb1ELb0ELi1EEEvPT0_PT_PfS5_S5_S5_diiiiiiib,"axG",@progbits,_ZN5aiter24add_rmsnorm_quant_kernelItDB8_Li128ELi8ELb1ELb1ELb0ELi1EEEvPT0_PT_PfS5_S5_S5_diiiiiiib,comdat
	.protected	_ZN5aiter24add_rmsnorm_quant_kernelItDB8_Li128ELi8ELb1ELb1ELb0ELi1EEEvPT0_PT_PfS5_S5_S5_diiiiiiib ; -- Begin function _ZN5aiter24add_rmsnorm_quant_kernelItDB8_Li128ELi8ELb1ELb1ELb0ELi1EEEvPT0_PT_PfS5_S5_S5_diiiiiiib
	.globl	_ZN5aiter24add_rmsnorm_quant_kernelItDB8_Li128ELi8ELb1ELb1ELb0ELi1EEEvPT0_PT_PfS5_S5_S5_diiiiiiib
	.p2align	8
	.type	_ZN5aiter24add_rmsnorm_quant_kernelItDB8_Li128ELi8ELb1ELb1ELb0ELi1EEEvPT0_PT_PfS5_S5_S5_diiiiiiib,@function
_ZN5aiter24add_rmsnorm_quant_kernelItDB8_Li128ELi8ELb1ELb1ELb0ELi1EEEvPT0_PT_PfS5_S5_S5_diiiiiiib: ; @_ZN5aiter24add_rmsnorm_quant_kernelItDB8_Li128ELi8ELb1ELb1ELb0ELi1EEEvPT0_PT_PfS5_S5_S5_diiiiiiib
; %bb.0:
	s_mov_b32 s2, s15
	s_load_b256 s[12:19], s[0:1], 0x38
	s_mov_b32 s3, 0
	s_waitcnt lgkmcnt(0)
	s_ashr_i32 s5, s12, 31
	s_mov_b32 s4, s12
	s_delay_alu instid0(SALU_CYCLE_1) | instskip(NEXT) | instid1(VALU_DEP_1)
	v_cmp_ge_i64_e64 s4, s[2:3], s[4:5]
	s_and_b32 vcc_lo, exec_lo, s4
	s_cbranch_vccnz .LBB8_44
; %bb.1:
	s_clause 0x1
	s_load_b256 s[4:11], s[0:1], 0x0
	s_load_b256 s[20:27], s[0:1], 0x20
	s_ashr_i32 s1, s14, 31
	s_waitcnt lgkmcnt(0)
	s_mul_hi_u32 s26, s14, s2
	s_mul_i32 s1, s1, s2
	s_mul_i32 s0, s14, s2
	s_add_i32 s1, s26, s1
	s_mul_hi_u32 s26, s15, s2
	s_lshl_b64 s[0:1], s[0:1], 1
	v_lshlrev_b32_e32 v19, 4, v0
	s_mul_i32 s14, s15, s2
	s_mov_b32 s31, -1
	s_delay_alu instid0(SALU_CYCLE_1)
	s_mov_b32 s39, s31
	s_add_u32 s28, s10, s0
	s_addc_u32 s0, s11, s1
	s_add_i32 s1, s13, 1
	s_ashr_i32 s10, s15, 31
	s_lshr_b32 s11, s1, 31
	s_mul_i32 s10, s10, s2
	s_add_i32 s1, s1, s11
	s_and_b32 s29, s0, 0xffff
	s_lshl_b32 s0, s1, 1
	s_add_i32 s15, s26, s10
	s_and_b32 s30, s0, -4
	s_lshl_b64 s[0:1], s[14:15], 1
	s_and_b32 s37, s23, 0xffff
	buffer_load_b128 v[5:8], v19, s[28:31], 0 offen glc slc
	s_add_u32 s28, s20, s0
	s_addc_u32 s0, s21, s1
	s_mov_b32 s36, s22
	s_and_b32 s29, s0, 0xffff
	s_mov_b32 s38, s30
	buffer_load_b128 v[9:12], v19, s[28:31], 0 offen glc slc
	s_ashr_i32 s0, s16, 31
	s_mul_hi_u32 s1, s16, s2
	s_mul_i32 s10, s0, s2
	s_mul_i32 s0, s16, s2
	s_add_i32 s1, s1, s10
	s_delay_alu instid0(SALU_CYCLE_1) | instskip(NEXT) | instid1(SALU_CYCLE_1)
	s_lshl_b64 s[0:1], s[0:1], 1
	s_add_u32 s28, s6, s0
	s_addc_u32 s1, s7, s1
	s_delay_alu instid0(SALU_CYCLE_1)
	s_and_b32 s29, s1, 0xffff
	s_waitcnt vmcnt(1)
	v_lshrrev_b32_e32 v15, 16, v7
	v_and_b32_e32 v17, 0xffff, v7
	v_lshrrev_b32_e32 v14, 16, v6
	v_lshrrev_b32_e32 v18, 16, v8
	s_waitcnt vmcnt(0)
	v_and_b32_e32 v7, 0xffff, v9
	v_lshrrev_b32_e32 v16, 16, v9
	s_delay_alu instid0(VALU_DEP_2) | instskip(SKIP_2) | instid1(VALU_DEP_4)
	v_cvt_f32_u32_e32 v20, v7
	v_and_b32_e32 v13, 0xffff, v5
	v_lshrrev_b32_e32 v5, 16, v5
	v_cvt_f32_u32_e32 v9, v16
	s_delay_alu instid0(VALU_DEP_2) | instskip(NEXT) | instid1(VALU_DEP_1)
	v_cvt_f32_u32_e32 v5, v5
	v_dual_add_f32 v7, v5, v9 :: v_dual_and_b32 v6, 0xffff, v6
	s_delay_alu instid0(VALU_DEP_1) | instskip(SKIP_3) | instid1(VALU_DEP_2)
	v_cvt_f32_u32_e32 v5, v6
	v_and_b32_e32 v16, 0xffff, v8
	v_cvt_f32_u32_e32 v8, v13
	v_lshrrev_b32_e32 v6, 16, v10
	v_add_f32_e32 v8, v8, v20
	v_mul_f32_e32 v20, v7, v7
	buffer_load_b128 v[1:4], v19, s[36:39], 0 offen
	v_cvt_f32_u32_e32 v6, v6
	v_dual_fmac_f32 v20, v8, v8 :: v_dual_and_b32 v13, 0xffff, v10
	v_cvt_f32_u32_e32 v10, v14
	s_delay_alu instid0(VALU_DEP_2) | instskip(NEXT) | instid1(VALU_DEP_2)
	v_cvt_f32_u32_e32 v9, v13
	v_add_f32_e32 v10, v10, v6
	v_cvt_f32_u32_e32 v6, v15
	s_delay_alu instid0(VALU_DEP_3) | instskip(SKIP_1) | instid1(VALU_DEP_2)
	v_add_f32_e32 v9, v5, v9
	v_cvt_f32_u32_e32 v5, v17
	v_dual_fmac_f32 v20, v9, v9 :: v_dual_and_b32 v13, 0xffff, v11
	v_lshrrev_b32_e32 v11, 16, v11
	s_delay_alu instid0(VALU_DEP_2) | instskip(NEXT) | instid1(VALU_DEP_3)
	v_fmac_f32_e32 v20, v10, v10
	v_cvt_f32_u32_e32 v13, v13
	v_and_b32_e32 v14, 0xffff, v12
	s_delay_alu instid0(VALU_DEP_4) | instskip(NEXT) | instid1(VALU_DEP_3)
	v_cvt_f32_u32_e32 v15, v11
	v_add_f32_e32 v11, v5, v13
	v_cvt_f32_u32_e32 v5, v16
	v_lshrrev_b32_e32 v13, 16, v12
	v_cvt_f32_u32_e32 v14, v14
	v_add_f32_e32 v12, v6, v15
	v_fmac_f32_e32 v20, v11, v11
	v_cvt_f32_u32_e32 v6, v18
	v_cvt_f32_u32_e32 v15, v13
	v_add_f32_e32 v13, v5, v14
	v_perm_b32 v17, v12, v11, 0x7060302
	v_fmac_f32_e32 v20, v12, v12
	v_perm_b32 v16, v10, v9, 0x7060302
	v_add_f32_e32 v14, v6, v15
	v_perm_b32 v15, v7, v8, 0x7060302
	s_delay_alu instid0(VALU_DEP_4) | instskip(NEXT) | instid1(VALU_DEP_1)
	v_fmac_f32_e32 v20, v13, v13
	v_fmac_f32_e32 v20, v14, v14
	s_delay_alu instid0(VALU_DEP_1) | instskip(NEXT) | instid1(VALU_DEP_1)
	v_mov_b32_dpp v5, v20 quad_perm:[1,0,3,2] row_mask:0xf bank_mask:0xf
	v_dual_add_f32 v5, v20, v5 :: v_dual_and_b32 v20, 31, v0
	v_perm_b32 v18, v14, v13, 0x7060302
	s_delay_alu instid0(VALU_DEP_2) | instskip(NEXT) | instid1(VALU_DEP_3)
	v_mov_b32_dpp v6, v5 quad_perm:[2,3,0,1] row_mask:0xf bank_mask:0xf
	v_cmp_eq_u32_e64 s0, 31, v20
	buffer_store_b128 v[15:18], v19, s[28:31], 0 offen glc slc
	;;#ASMSTART
	s_nop 0
	;;#ASMEND
	v_add_f32_e32 v5, v5, v6
	s_delay_alu instid0(VALU_DEP_1) | instskip(NEXT) | instid1(VALU_DEP_1)
	v_mov_b32_dpp v6, v5 row_xmask:7 row_mask:0xf bank_mask:0xf
	v_add_f32_e32 v5, v5, v6
	s_delay_alu instid0(VALU_DEP_1)
	v_mov_b32_dpp v6, v5 row_xmask:15 row_mask:0xf bank_mask:0xf
	s_and_saveexec_b32 s1, s0
	s_cbranch_execz .LBB8_3
; %bb.2:
	s_delay_alu instid0(VALU_DEP_1) | instskip(SKIP_2) | instid1(VALU_DEP_2)
	v_add_f32_e32 v5, v5, v6
	s_mov_b32 s6, 0x76543210
	v_lshrrev_b32_e32 v6, 3, v0
	v_permlanex16_b32 v15, v5, s6, 0xfedcba98 op_sel:[1,1]
	s_delay_alu instid0(VALU_DEP_1)
	v_dual_add_f32 v5, v5, v15 :: v_dual_and_b32 v6, 0x7c, v6
	ds_store_b32 v6, v5 offset:16
.LBB8_3:
	s_or_b32 exec_lo, exec_lo, s1
	v_and_b32_e32 v5, 3, v0
	s_waitcnt vmcnt(0) lgkmcnt(0)
	s_waitcnt_vscnt null, 0x0
	s_barrier
	buffer_gl0_inv
	v_cvt_f32_i32_e32 v16, s13
	v_lshlrev_b32_e32 v6, 2, v5
	s_cmp_lg_u32 s18, 0
	ds_load_b32 v5, v6 offset:16
	s_waitcnt lgkmcnt(0)
	v_mov_b32_dpp v15, v5 quad_perm:[1,0,3,2] row_mask:0xf bank_mask:0xf
	s_delay_alu instid0(VALU_DEP_1) | instskip(NEXT) | instid1(VALU_DEP_1)
	v_add_f32_e32 v5, v5, v15
	v_mov_b32_dpp v15, v5 quad_perm:[2,3,0,1] row_mask:0xf bank_mask:0xf
	s_delay_alu instid0(VALU_DEP_1) | instskip(NEXT) | instid1(VALU_DEP_1)
	v_add_f32_e32 v5, v5, v15
	v_div_scale_f32 v15, null, v16, v16, v5
	v_div_scale_f32 v19, vcc_lo, v5, v16, v5
	s_delay_alu instid0(VALU_DEP_2) | instskip(SKIP_2) | instid1(VALU_DEP_1)
	v_rcp_f32_e32 v17, v15
	s_waitcnt_depctr 0xfff
	v_fma_f32 v18, -v15, v17, 1.0
	v_fmac_f32_e32 v17, v18, v17
	s_delay_alu instid0(VALU_DEP_1) | instskip(NEXT) | instid1(VALU_DEP_1)
	v_mul_f32_e32 v18, v19, v17
	v_fma_f32 v20, -v15, v18, v19
	s_delay_alu instid0(VALU_DEP_1) | instskip(SKIP_1) | instid1(VALU_DEP_2)
	v_fmac_f32_e32 v18, v20, v17
	v_mov_b32_e32 v20, 0x2edbe6ff
	v_fma_f32 v15, -v15, v18, v19
	s_delay_alu instid0(VALU_DEP_1) | instskip(SKIP_2) | instid1(VALU_DEP_3)
	v_div_fmas_f32 v15, v15, v17, v18
	v_and_b32_e32 v18, 0xffff, v3
	v_lshrrev_b32_e32 v3, 16, v3
	v_div_fixup_f32 v5, v15, v16, v5
	s_delay_alu instid0(VALU_DEP_3) | instskip(NEXT) | instid1(VALU_DEP_3)
	v_cvt_f32_u32_e32 v18, v18
	v_cvt_f32_u32_e32 v3, v3
	s_delay_alu instid0(VALU_DEP_3) | instskip(NEXT) | instid1(VALU_DEP_1)
	v_cvt_f64_f32_e32 v[15:16], v5
	v_add_f64 v[15:16], v[15:16], s[24:25]
	s_delay_alu instid0(VALU_DEP_1) | instskip(SKIP_2) | instid1(VALU_DEP_2)
	v_cvt_f32_f64_e32 v5, v[15:16]
	v_and_b32_e32 v16, 0xffff, v1
	v_lshrrev_b32_e32 v1, 16, v1
	v_cvt_f32_u32_e32 v16, v16
	s_delay_alu instid0(VALU_DEP_2) | instskip(SKIP_2) | instid1(VALU_DEP_2)
	v_cvt_f32_u32_e32 v1, v1
	v_mul_f32_e32 v15, 0x4b800000, v5
	v_cmp_gt_f32_e32 vcc_lo, 0x800000, v5
	v_cndmask_b32_e32 v15, v5, v15, vcc_lo
	s_delay_alu instid0(VALU_DEP_1) | instskip(SKIP_2) | instid1(VALU_DEP_1)
	v_rsq_f32_e32 v15, v15
	s_waitcnt_depctr 0xfff
	v_mul_f32_e32 v21, 0x45800000, v15
	v_cndmask_b32_e32 v15, v15, v21, vcc_lo
	v_and_b32_e32 v17, 0xffff, v2
	v_lshrrev_b32_e32 v2, 16, v2
	v_and_b32_e32 v19, 0xffff, v4
	v_lshrrev_b32_e32 v4, 16, v4
	v_mul_f32_e32 v10, v15, v10
	s_delay_alu instid0(VALU_DEP_4) | instskip(NEXT) | instid1(VALU_DEP_4)
	v_cvt_f32_u32_e32 v2, v2
	v_cvt_f32_u32_e32 v19, v19
	s_delay_alu instid0(VALU_DEP_4) | instskip(NEXT) | instid1(VALU_DEP_3)
	v_cvt_f32_u32_e32 v21, v4
	v_dual_mul_f32 v10, v10, v2 :: v_dual_mul_f32 v7, v7, v15
	v_dual_mul_f32 v4, v8, v15 :: v_dual_lshlrev_b32 v5, 3, v0
	v_mul_f32_e32 v8, v15, v9
	v_cvt_f32_u32_e32 v17, v17
	v_mul_f32_e32 v22, v15, v11
	v_mul_f32_e32 v23, v15, v12
	v_mul_f32_e32 v14, v15, v14
	v_mul_f32_e32 v11, v7, v1
	v_dual_mul_f32 v13, v15, v13 :: v_dual_mul_f32 v12, v4, v16
	v_dual_mul_f32 v9, v8, v17 :: v_dual_mul_f32 v8, v22, v18
	s_delay_alu instid0(VALU_DEP_3) | instskip(SKIP_1) | instid1(VALU_DEP_4)
	v_and_b32_e32 v2, 0x7fffffff, v11
	v_mul_f32_e32 v7, v23, v3
	v_dual_mul_f32 v4, v13, v19 :: v_dual_mul_f32 v3, v14, v21
	v_and_b32_e32 v1, 0x7fffffff, v12
	;;#ASMSTART
	v_max3_f32 v1, v20, v1, v2

	;;#ASMEND
	v_and_b32_e32 v13, 0x7fffffff, v9
	v_and_b32_e32 v14, 0x7fffffff, v10
	;; [unrolled: 1-line block ×3, first 2 shown]
	;;#ASMSTART
	v_max3_f32 v1, v1, v13, v14

	;;#ASMEND
	v_and_b32_e32 v15, 0x7fffffff, v8
	v_and_b32_e32 v17, 0x7fffffff, v4
	;; [unrolled: 1-line block ×3, first 2 shown]
	;;#ASMSTART
	v_max3_f32 v1, v1, v15, v16

	;;#ASMEND
	;;#ASMSTART
	v_max3_f32 v13, v1, v17, v18

	;;#ASMEND
	s_cbranch_scc0 .LBB8_10
; %bb.4:
	s_ashr_i32 s11, s18, 31
	s_delay_alu instid0(SALU_CYCLE_1) | instskip(NEXT) | instid1(SALU_CYCLE_1)
	s_lshr_b32 s1, s11, 29
	s_add_i32 s1, s18, s1
	s_delay_alu instid0(SALU_CYCLE_1) | instskip(NEXT) | instid1(SALU_CYCLE_1)
	s_ashr_i32 s1, s1, 3
	s_cmp_lt_i32 s1, 8
	s_cbranch_scc1 .LBB8_11
; %bb.5:
	s_cmp_lt_i32 s1, 16
	s_cbranch_scc1 .LBB8_12
; %bb.6:
	;; [unrolled: 3-line block ×3, first 2 shown]
	v_mov_b32_e32 v1, v13
	s_cmp_eq_u32 s1, 32
	s_cbranch_scc0 .LBB8_9
; %bb.8:
	s_delay_alu instid0(VALU_DEP_1) | instskip(SKIP_1) | instid1(VALU_DEP_1)
	v_mov_b32_dpp v1, v13 quad_perm:[1,0,3,2] row_mask:0xf bank_mask:0xf
	s_mov_b32 s6, 0x76543210
	v_cmp_gt_f32_e32 vcc_lo, v13, v1
	v_cndmask_b32_e32 v1, v1, v13, vcc_lo
	s_delay_alu instid0(VALU_DEP_1) | instskip(NEXT) | instid1(VALU_DEP_1)
	v_mov_b32_dpp v2, v1 quad_perm:[2,3,0,1] row_mask:0xf bank_mask:0xf
	v_cmp_gt_f32_e32 vcc_lo, v1, v2
	v_cndmask_b32_e32 v1, v2, v1, vcc_lo
	s_delay_alu instid0(VALU_DEP_1) | instskip(NEXT) | instid1(VALU_DEP_1)
	v_mov_b32_dpp v2, v1 row_xmask:7 row_mask:0xf bank_mask:0xf
	v_cmp_gt_f32_e32 vcc_lo, v1, v2
	v_cndmask_b32_e32 v1, v2, v1, vcc_lo
	s_delay_alu instid0(VALU_DEP_1) | instskip(NEXT) | instid1(VALU_DEP_1)
	v_mov_b32_dpp v2, v1 row_xmask:15 row_mask:0xf bank_mask:0xf
	v_cmp_gt_f32_e32 vcc_lo, v1, v2
	v_cndmask_b32_e32 v1, v2, v1, vcc_lo
	s_delay_alu instid0(VALU_DEP_1) | instskip(NEXT) | instid1(VALU_DEP_1)
	v_permlanex16_b32 v2, v1, s6, 0xfedcba98 op_sel:[1,1]
	v_cmp_gt_f32_e32 vcc_lo, v1, v2
	v_cndmask_b32_e32 v1, v2, v1, vcc_lo
.LBB8_9:
	s_mov_b32 s6, 0
	s_branch .LBB8_14
.LBB8_10:
	s_mov_b32 s1, 0
                                        ; implicit-def: $vgpr14
                                        ; implicit-def: $vgpr1_vgpr2
	s_and_b32 vcc_lo, exec_lo, s31
	s_cbranch_vccnz .LBB8_38
	s_branch .LBB8_41
.LBB8_11:
                                        ; implicit-def: $vgpr1
	s_branch .LBB8_21
.LBB8_12:
                                        ; implicit-def: $vgpr1
	s_branch .LBB8_18
.LBB8_13:
	s_mov_b32 s6, -1
                                        ; implicit-def: $vgpr1
.LBB8_14:
	s_delay_alu instid0(SALU_CYCLE_1)
	s_and_not1_b32 vcc_lo, exec_lo, s6
	s_cbranch_vccnz .LBB8_17
; %bb.15:
	v_mov_b32_e32 v1, v13
	s_cmp_eq_u32 s1, 16
	s_cbranch_scc0 .LBB8_17
; %bb.16:
	s_delay_alu instid0(VALU_DEP_1) | instskip(NEXT) | instid1(VALU_DEP_1)
	v_mov_b32_dpp v1, v13 quad_perm:[1,0,3,2] row_mask:0xf bank_mask:0xf
	v_cmp_gt_f32_e32 vcc_lo, v13, v1
	v_cndmask_b32_e32 v1, v1, v13, vcc_lo
	s_delay_alu instid0(VALU_DEP_1) | instskip(NEXT) | instid1(VALU_DEP_1)
	v_mov_b32_dpp v2, v1 quad_perm:[2,3,0,1] row_mask:0xf bank_mask:0xf
	v_cmp_gt_f32_e32 vcc_lo, v1, v2
	v_cndmask_b32_e32 v1, v2, v1, vcc_lo
	s_delay_alu instid0(VALU_DEP_1) | instskip(NEXT) | instid1(VALU_DEP_1)
	v_mov_b32_dpp v2, v1 row_half_mirror row_mask:0xf bank_mask:0xf
	v_cmp_gt_f32_e32 vcc_lo, v1, v2
	v_cndmask_b32_e32 v1, v2, v1, vcc_lo
	s_delay_alu instid0(VALU_DEP_1) | instskip(NEXT) | instid1(VALU_DEP_1)
	v_mov_b32_dpp v2, v1 row_mirror row_mask:0xf bank_mask:0xf
	v_cmp_gt_f32_e32 vcc_lo, v1, v2
	v_cndmask_b32_e32 v1, v2, v1, vcc_lo
.LBB8_17:
	s_cbranch_execnz .LBB8_20
.LBB8_18:
	v_mov_b32_e32 v1, v13
	s_cmp_eq_u32 s1, 8
	s_cbranch_scc0 .LBB8_20
; %bb.19:
	s_delay_alu instid0(VALU_DEP_1) | instskip(NEXT) | instid1(VALU_DEP_1)
	v_mov_b32_dpp v1, v13 quad_perm:[1,0,3,2] row_mask:0xf bank_mask:0xf
	v_cmp_gt_f32_e32 vcc_lo, v13, v1
	v_cndmask_b32_e32 v1, v1, v13, vcc_lo
	s_delay_alu instid0(VALU_DEP_1) | instskip(NEXT) | instid1(VALU_DEP_1)
	v_mov_b32_dpp v2, v1 quad_perm:[2,3,0,1] row_mask:0xf bank_mask:0xf
	v_cmp_gt_f32_e32 vcc_lo, v1, v2
	v_cndmask_b32_e32 v1, v2, v1, vcc_lo
	s_delay_alu instid0(VALU_DEP_1) | instskip(NEXT) | instid1(VALU_DEP_1)
	v_mov_b32_dpp v2, v1 row_half_mirror row_mask:0xf bank_mask:0xf
	v_cmp_gt_f32_e32 vcc_lo, v1, v2
	v_cndmask_b32_e32 v1, v2, v1, vcc_lo
.LBB8_20:
	s_cbranch_execnz .LBB8_28
.LBB8_21:
	s_cmp_lt_i32 s1, 4
	s_cbranch_scc1 .LBB8_24
; %bb.22:
	v_mov_b32_e32 v1, v13
	s_cmp_eq_u32 s1, 4
	s_cbranch_scc0 .LBB8_25
; %bb.23:
	s_delay_alu instid0(VALU_DEP_1) | instskip(NEXT) | instid1(VALU_DEP_1)
	v_mov_b32_dpp v1, v13 quad_perm:[1,0,3,2] row_mask:0xf bank_mask:0xf
	v_cmp_gt_f32_e32 vcc_lo, v13, v1
	v_cndmask_b32_e32 v1, v1, v13, vcc_lo
	s_delay_alu instid0(VALU_DEP_1) | instskip(NEXT) | instid1(VALU_DEP_1)
	v_mov_b32_dpp v2, v1 quad_perm:[2,3,0,1] row_mask:0xf bank_mask:0xf
	v_cmp_gt_f32_e32 vcc_lo, v1, v2
	v_cndmask_b32_e32 v1, v2, v1, vcc_lo
	s_cbranch_execz .LBB8_26
	s_branch .LBB8_28
.LBB8_24:
                                        ; implicit-def: $vgpr1
	s_branch .LBB8_26
.LBB8_25:
	s_cbranch_execnz .LBB8_28
.LBB8_26:
	v_mov_b32_e32 v1, v13
	s_cmp_lg_u32 s1, 2
	s_cbranch_scc1 .LBB8_28
; %bb.27:
	s_delay_alu instid0(VALU_DEP_1) | instskip(NEXT) | instid1(VALU_DEP_1)
	v_mov_b32_dpp v1, v13 quad_perm:[1,0,3,2] row_mask:0xf bank_mask:0xf
	v_cmp_gt_f32_e32 vcc_lo, v13, v1
	v_cndmask_b32_e32 v1, v1, v13, vcc_lo
.LBB8_28:
	v_cvt_f32_u32_e32 v2, s1
	s_sub_i32 s6, 0, s1
	s_mov_b32 s31, 0
	s_delay_alu instid0(VALU_DEP_1) | instskip(SKIP_2) | instid1(VALU_DEP_1)
	v_rcp_iflag_f32_e32 v2, v2
	s_waitcnt_depctr 0xfff
	v_mul_f32_e32 v2, 0x4f7ffffe, v2
	v_cvt_u32_f32_e32 v2, v2
	s_delay_alu instid0(VALU_DEP_1) | instskip(NEXT) | instid1(VALU_DEP_1)
	v_mul_lo_u32 v14, s6, v2
	v_mul_hi_u32 v14, v2, v14
	s_delay_alu instid0(VALU_DEP_1) | instskip(NEXT) | instid1(VALU_DEP_1)
	v_add_nc_u32_e32 v2, v2, v14
	v_mul_hi_u32 v2, v0, v2
	s_delay_alu instid0(VALU_DEP_1) | instskip(NEXT) | instid1(VALU_DEP_1)
	v_mul_lo_u32 v14, v2, s1
	v_sub_nc_u32_e32 v14, v0, v14
	s_delay_alu instid0(VALU_DEP_1) | instskip(SKIP_1) | instid1(VALU_DEP_2)
	v_subrev_nc_u32_e32 v16, s1, v14
	v_cmp_le_u32_e32 vcc_lo, s1, v14
	v_dual_cndmask_b32 v14, v14, v16 :: v_dual_add_nc_u32 v15, 1, v2
	s_delay_alu instid0(VALU_DEP_1) | instskip(NEXT) | instid1(VALU_DEP_2)
	v_cndmask_b32_e32 v2, v2, v15, vcc_lo
	v_cmp_le_u32_e32 vcc_lo, s1, v14
	s_delay_alu instid0(VALU_DEP_2) | instskip(NEXT) | instid1(VALU_DEP_1)
	v_dual_mul_f32 v14, 0x3b124925, v1 :: v_dual_add_nc_u32 v15, 1, v2
	v_cndmask_b32_e32 v15, v2, v15, vcc_lo
	v_cmp_gt_u32_e32 vcc_lo, s13, v5
	s_delay_alu instid0(VALU_DEP_2) | instskip(NEXT) | instid1(VALU_DEP_1)
	v_mul_lo_u32 v2, v15, s1
	v_sub_nc_u32_e32 v2, v0, v2
	s_delay_alu instid0(VALU_DEP_1) | instskip(NEXT) | instid1(VALU_DEP_1)
	v_cmp_eq_u32_e64 s1, 0, v2
                                        ; implicit-def: $vgpr1_vgpr2
	s_and_b32 s6, s1, vcc_lo
	s_mov_b32 s1, 0
	s_and_saveexec_b32 s7, s6
	s_delay_alu instid0(SALU_CYCLE_1)
	s_xor_b32 s16, exec_lo, s7
	s_cbranch_execz .LBB8_37
; %bb.29:
	s_bitcmp0_b32 s19, 0
	s_mov_b32 s10, 0
	s_cbranch_scc0 .LBB8_34
; %bb.30:
	s_ashr_i32 s1, s13, 31
	s_mul_hi_u32 s7, s13, s2
	s_mul_i32 s1, s1, s2
	s_mul_i32 s6, s13, s2
	s_add_i32 s7, s7, s1
	s_mov_b32 s19, s11
	s_delay_alu instid0(SALU_CYCLE_1) | instskip(NEXT) | instid1(SALU_CYCLE_1)
	s_or_b64 s[14:15], s[6:7], s[18:19]
	s_mov_b32 s11, s15
	s_delay_alu instid0(SALU_CYCLE_1)
	s_cmp_lg_u64 s[10:11], 0
	s_cbranch_scc0 .LBB8_45
; %bb.31:
	s_add_u32 s14, s18, s19
	s_mov_b32 s10, s19
	s_mov_b32 s11, s19
	s_addc_u32 s15, s19, s19
	s_delay_alu instid0(SALU_CYCLE_1) | instskip(NEXT) | instid1(SALU_CYCLE_1)
	s_xor_b64 s[14:15], s[14:15], s[10:11]
	v_cvt_f32_u32_e32 v1, s14
	v_cvt_f32_u32_e32 v2, s15
	s_sub_u32 s20, 0, s14
	s_subb_u32 s21, 0, s15
	s_delay_alu instid0(VALU_DEP_1) | instskip(NEXT) | instid1(VALU_DEP_1)
	v_fmamk_f32 v1, v2, 0x4f800000, v1
	v_rcp_f32_e32 v1, v1
	s_waitcnt_depctr 0xfff
	v_mul_f32_e32 v1, 0x5f7ffffc, v1
	s_delay_alu instid0(VALU_DEP_1) | instskip(NEXT) | instid1(VALU_DEP_1)
	v_mul_f32_e32 v2, 0x2f800000, v1
	v_trunc_f32_e32 v2, v2
	s_delay_alu instid0(VALU_DEP_1) | instskip(SKIP_1) | instid1(VALU_DEP_2)
	v_fmamk_f32 v1, v2, 0xcf800000, v1
	v_cvt_u32_f32_e32 v2, v2
	v_cvt_u32_f32_e32 v1, v1
	s_delay_alu instid0(VALU_DEP_2) | instskip(NEXT) | instid1(VALU_DEP_2)
	v_readfirstlane_b32 s1, v2
	v_readfirstlane_b32 s19, v1
	s_delay_alu instid0(VALU_DEP_2) | instskip(NEXT) | instid1(VALU_DEP_1)
	s_mul_i32 s22, s20, s1
	s_mul_hi_u32 s24, s20, s19
	s_mul_i32 s23, s21, s19
	s_add_i32 s22, s24, s22
	s_mul_i32 s25, s20, s19
	s_add_i32 s22, s22, s23
	s_mul_hi_u32 s24, s19, s25
	s_mul_hi_u32 s26, s1, s25
	s_mul_i32 s23, s1, s25
	s_mul_hi_u32 s25, s19, s22
	s_mul_i32 s19, s19, s22
	s_mul_hi_u32 s27, s1, s22
	s_add_u32 s19, s24, s19
	s_addc_u32 s24, 0, s25
	s_add_u32 s19, s19, s23
	s_mul_i32 s22, s1, s22
	s_addc_u32 s19, s24, s26
	s_addc_u32 s23, s27, 0
	s_add_u32 s19, s19, s22
	s_addc_u32 s22, 0, s23
	v_add_co_u32 v1, s19, v1, s19
	s_delay_alu instid0(VALU_DEP_1) | instskip(SKIP_1) | instid1(VALU_DEP_1)
	s_cmp_lg_u32 s19, 0
	s_addc_u32 s1, s1, s22
	v_readfirstlane_b32 s19, v1
	s_mul_i32 s22, s20, s1
	s_delay_alu instid0(VALU_DEP_1)
	s_mul_hi_u32 s23, s20, s19
	s_mul_i32 s21, s21, s19
	s_add_i32 s22, s23, s22
	s_mul_i32 s20, s20, s19
	s_add_i32 s22, s22, s21
	s_mul_hi_u32 s23, s1, s20
	s_mul_i32 s24, s1, s20
	s_mul_hi_u32 s20, s19, s20
	s_mul_hi_u32 s25, s19, s22
	s_mul_i32 s19, s19, s22
	s_mul_hi_u32 s21, s1, s22
	s_add_u32 s19, s20, s19
	s_addc_u32 s20, 0, s25
	s_add_u32 s19, s19, s24
	s_mul_i32 s22, s1, s22
	s_addc_u32 s19, s20, s23
	s_addc_u32 s20, s21, 0
	s_add_u32 s19, s19, s22
	s_addc_u32 s20, 0, s20
	v_add_co_u32 v1, s19, v1, s19
	s_delay_alu instid0(VALU_DEP_1) | instskip(SKIP_2) | instid1(SALU_CYCLE_1)
	s_cmp_lg_u32 s19, 0
	s_addc_u32 s1, s1, s20
	s_ashr_i32 s20, s7, 31
	s_add_u32 s22, s6, s20
	s_addc_u32 s23, s7, s20
	v_readfirstlane_b32 s7, v1
	s_mov_b32 s21, s20
	s_delay_alu instid0(SALU_CYCLE_1) | instskip(NEXT) | instid1(SALU_CYCLE_1)
	s_xor_b64 s[22:23], s[22:23], s[20:21]
	s_mul_i32 s24, s22, s1
	s_delay_alu instid0(VALU_DEP_1)
	s_mul_hi_u32 s25, s22, s7
	s_mul_hi_u32 s19, s22, s1
	s_mul_hi_u32 s27, s23, s7
	s_mul_i32 s7, s23, s7
	s_add_u32 s24, s25, s24
	s_addc_u32 s19, 0, s19
	s_mul_hi_u32 s26, s23, s1
	s_add_u32 s7, s24, s7
	s_mul_i32 s1, s23, s1
	s_addc_u32 s7, s19, s27
	s_addc_u32 s19, s26, 0
	s_add_u32 s7, s7, s1
	s_addc_u32 s19, 0, s19
	s_mul_i32 s26, s14, s7
	s_mul_hi_u32 s1, s14, s7
	s_mul_i32 s25, s14, s19
	v_sub_co_u32 v1, s22, s22, s26
	s_mul_i32 s24, s15, s7
	s_add_i32 s1, s1, s25
	s_delay_alu instid0(SALU_CYCLE_1) | instskip(NEXT) | instid1(VALU_DEP_1)
	s_add_i32 s1, s1, s24
	v_sub_co_u32 v2, s25, v1, s14
	s_sub_i32 s24, s23, s1
	s_cmp_lg_u32 s22, 0
	s_subb_u32 s24, s24, s15
	s_cmp_lg_u32 s25, 0
	v_cmp_le_u32_e32 vcc_lo, s14, v2
	s_subb_u32 s24, s24, 0
	s_delay_alu instid0(SALU_CYCLE_1)
	s_cmp_ge_u32 s24, s15
	v_cndmask_b32_e64 v2, 0, -1, vcc_lo
	s_cselect_b32 s25, -1, 0
	s_cmp_eq_u32 s24, s15
	s_cselect_b32 vcc_lo, -1, 0
	s_add_u32 s24, s7, 1
	v_cndmask_b32_e32 v2, s25, v2, vcc_lo
	s_addc_u32 s25, s19, 0
	s_add_u32 s26, s7, 2
	s_addc_u32 s27, s19, 0
	s_cmp_lg_u32 s22, 0
	v_cmp_le_u32_e32 vcc_lo, s14, v1
	s_subb_u32 s1, s23, s1
	v_mov_b32_e32 v16, s26
	s_cmp_ge_u32 s1, s15
	v_cndmask_b32_e64 v1, 0, -1, vcc_lo
	s_cselect_b32 s14, -1, 0
	s_cmp_eq_u32 s1, s15
	v_cmp_ne_u32_e32 vcc_lo, 0, v2
	v_mov_b32_e32 v2, s27
	s_cselect_b32 s1, -1, 0
	s_xor_b64 s[10:11], s[20:21], s[10:11]
	v_cndmask_b32_e64 v1, s14, v1, s1
	v_cndmask_b32_e32 v16, s24, v16, vcc_lo
	v_cndmask_b32_e32 v2, s25, v2, vcc_lo
	s_delay_alu instid0(VALU_DEP_3) | instskip(NEXT) | instid1(VALU_DEP_2)
	v_cmp_ne_u32_e32 vcc_lo, 0, v1
	v_cndmask_b32_e32 v1, s19, v2, vcc_lo
	s_delay_alu instid0(VALU_DEP_4) | instskip(NEXT) | instid1(VALU_DEP_2)
	v_cndmask_b32_e32 v2, s7, v16, vcc_lo
	v_xor_b32_e32 v16, s11, v1
	s_delay_alu instid0(VALU_DEP_2) | instskip(NEXT) | instid1(VALU_DEP_1)
	v_xor_b32_e32 v2, s10, v2
	v_sub_co_u32 v1, vcc_lo, v2, s10
	s_delay_alu instid0(VALU_DEP_3)
	v_subrev_co_ci_u32_e32 v2, vcc_lo, s11, v16, vcc_lo
	s_cbranch_execnz .LBB8_33
.LBB8_32:
	v_cvt_f32_u32_e32 v1, s18
	s_sub_i32 s7, 0, s18
	s_delay_alu instid0(VALU_DEP_1) | instskip(SKIP_2) | instid1(VALU_DEP_1)
	v_rcp_iflag_f32_e32 v1, v1
	s_waitcnt_depctr 0xfff
	v_mul_f32_e32 v1, 0x4f7ffffe, v1
	v_cvt_u32_f32_e32 v1, v1
	s_delay_alu instid0(VALU_DEP_1) | instskip(NEXT) | instid1(VALU_DEP_1)
	v_readfirstlane_b32 s1, v1
	s_mul_i32 s7, s7, s1
	s_delay_alu instid0(SALU_CYCLE_1) | instskip(NEXT) | instid1(SALU_CYCLE_1)
	s_mul_hi_u32 s7, s1, s7
	s_add_i32 s1, s1, s7
	s_delay_alu instid0(SALU_CYCLE_1) | instskip(NEXT) | instid1(SALU_CYCLE_1)
	s_mul_hi_u32 s1, s6, s1
	s_mul_i32 s7, s1, s18
	s_delay_alu instid0(SALU_CYCLE_1)
	s_sub_i32 s6, s6, s7
	s_add_i32 s7, s1, 1
	s_sub_i32 s10, s6, s18
	s_cmp_ge_u32 s6, s18
	s_cselect_b32 s1, s7, s1
	s_cselect_b32 s6, s10, s6
	s_add_i32 s10, s1, 1
	s_cmp_ge_u32 s6, s18
	s_mov_b32 s7, 0
	s_cselect_b32 s6, s10, s1
	s_delay_alu instid0(SALU_CYCLE_1)
	v_dual_mov_b32 v1, s6 :: v_dual_mov_b32 v2, s7
.LBB8_33:
	s_delay_alu instid0(VALU_DEP_1) | instskip(NEXT) | instid1(VALU_DEP_2)
	v_add_co_u32 v1, vcc_lo, v1, v15
	v_add_co_ci_u32_e32 v2, vcc_lo, 0, v2, vcc_lo
	s_branch .LBB8_36
.LBB8_34:
                                        ; implicit-def: $vgpr1_vgpr2
	s_cbranch_execz .LBB8_36
; %bb.35:
	v_mul_lo_u32 v1, v15, s12
	s_delay_alu instid0(VALU_DEP_1) | instskip(SKIP_1) | instid1(VALU_DEP_2)
	v_ashrrev_i32_e32 v2, 31, v1
	v_add_co_u32 v1, vcc_lo, v1, s2
	v_add_co_ci_u32_e32 v2, vcc_lo, 0, v2, vcc_lo
.LBB8_36:
	s_mov_b32 s1, exec_lo
.LBB8_37:
	s_or_b32 exec_lo, exec_lo, s16
	s_delay_alu instid0(SALU_CYCLE_1)
	s_and_b32 vcc_lo, exec_lo, s31
	s_cbranch_vccz .LBB8_41
.LBB8_38:
	v_mov_b32_dpp v1, v13 quad_perm:[1,0,3,2] row_mask:0xf bank_mask:0xf
	s_delay_alu instid0(VALU_DEP_1) | instskip(SKIP_1) | instid1(VALU_DEP_1)
	v_cmp_gt_f32_e32 vcc_lo, v13, v1
	v_cndmask_b32_e32 v1, v1, v13, vcc_lo
	v_mov_b32_dpp v2, v1 quad_perm:[2,3,0,1] row_mask:0xf bank_mask:0xf
	s_delay_alu instid0(VALU_DEP_1) | instskip(SKIP_1) | instid1(VALU_DEP_1)
	v_cmp_gt_f32_e32 vcc_lo, v1, v2
	v_cndmask_b32_e32 v1, v2, v1, vcc_lo
	v_mov_b32_dpp v2, v1 row_xmask:7 row_mask:0xf bank_mask:0xf
	s_delay_alu instid0(VALU_DEP_1) | instskip(SKIP_1) | instid1(VALU_DEP_1)
	v_cmp_gt_f32_e32 vcc_lo, v1, v2
	v_cndmask_b32_e32 v1, v2, v1, vcc_lo
	v_mov_b32_dpp v2, v1 row_xmask:15 row_mask:0xf bank_mask:0xf
	s_delay_alu instid0(VALU_DEP_1)
	v_cmp_gt_f32_e32 vcc_lo, v1, v2
	s_and_saveexec_b32 s1, s0
	s_cbranch_execz .LBB8_40
; %bb.39:
	v_cndmask_b32_e32 v1, v2, v1, vcc_lo
	v_lshrrev_b32_e32 v2, 3, v0
	s_mov_b32 s0, 0x76543210
	s_delay_alu instid0(VALU_DEP_1) | instskip(NEXT) | instid1(VALU_DEP_3)
	v_and_b32_e32 v2, 0x7c, v2
	v_permlanex16_b32 v13, v1, s0, 0xfedcba98 op_sel:[1,1]
	s_delay_alu instid0(VALU_DEP_1)
	v_cmp_gt_f32_e32 vcc_lo, v1, v13
	v_cndmask_b32_e32 v1, v13, v1, vcc_lo
	ds_store_b32 v2, v1
.LBB8_40:
	s_or_b32 exec_lo, exec_lo, s1
	s_waitcnt lgkmcnt(0)
	s_barrier
	buffer_gl0_inv
	ds_load_b32 v1, v6
	v_cmp_eq_u32_e64 s1, 0, v0
	s_waitcnt lgkmcnt(0)
	v_mov_b32_dpp v2, v1 quad_perm:[1,0,3,2] row_mask:0xf bank_mask:0xf
	s_delay_alu instid0(VALU_DEP_1) | instskip(SKIP_1) | instid1(VALU_DEP_1)
	v_cmp_gt_f32_e32 vcc_lo, v1, v2
	v_cndmask_b32_e32 v1, v2, v1, vcc_lo
	v_mov_b32_dpp v2, v1 quad_perm:[2,3,0,1] row_mask:0xf bank_mask:0xf
	s_delay_alu instid0(VALU_DEP_1) | instskip(SKIP_1) | instid1(VALU_DEP_1)
	v_cmp_gt_f32_e32 vcc_lo, v1, v2
	v_cndmask_b32_e32 v1, v2, v1, vcc_lo
	v_dual_mul_f32 v14, 0x3b124925, v1 :: v_dual_mov_b32 v1, s2
	v_mov_b32_e32 v2, s3
.LBB8_41:
	s_and_saveexec_b32 s0, s1
	s_cbranch_execz .LBB8_43
; %bb.42:
	s_delay_alu instid0(VALU_DEP_1) | instskip(NEXT) | instid1(VALU_DEP_1)
	v_lshlrev_b64 v[0:1], 2, v[1:2]
	v_add_co_u32 v0, vcc_lo, s8, v0
	s_delay_alu instid0(VALU_DEP_2)
	v_add_co_ci_u32_e32 v1, vcc_lo, s9, v1, vcc_lo
	global_store_b32 v[0:1], v14, off
.LBB8_43:
	s_or_b32 exec_lo, exec_lo, s0
	;;#ASMSTART
	v_rcp_f32 v0, v14
	;;#ASMEND
	v_dual_mul_f32 v1, v12, v0 :: v_dual_mov_b32 v6, 0xc3e00000
	v_dual_mul_f32 v2, v11, v0 :: v_dual_mov_b32 v11, 0x43e00000
	v_mul_f32_e32 v9, v9, v0
	v_mul_f32_e32 v10, v10, v0
	;;#ASMSTART
	v_med3_f32 v1, v1, v6, v11
v_med3_f32 v2, v2, v6, v11
v_cvt_pk_fp8_f32 v12, v1, v2
	;;#ASMEND
	;;#ASMSTART
	v_med3_f32 v9, v9, v6, v11
v_med3_f32 v10, v10, v6, v11
v_cvt_pk_fp8_f32 v1, v9, v10
	;;#ASMEND
	v_perm_b32 v2, v1, v12, 0x5040100
	v_and_b32_e32 v1, 0xffffff00, v1
	s_add_i32 s0, s13, 3
	v_mul_f32_e32 v7, v7, v0
	s_ashr_i32 s7, s0, 31
	v_lshrrev_b32_e32 v9, 16, v2
	v_mul_f32_e32 v8, v8, v0
	s_ashr_i32 s1, s17, 31
	s_lshr_b32 s7, s7, 30
	s_mul_hi_u32 s3, s17, s2
	v_and_b32_e32 v9, 0xff, v9
	s_add_i32 s0, s0, s7
	s_mul_i32 s1, s1, s2
	s_mul_i32 s6, s17, s2
	s_and_b32 s2, s0, -4
	v_or_b32_e32 v1, v9, v1
	v_mul_f32_e32 v4, v4, v0
	v_mul_f32_e32 v0, v3, v0
	;;#ASMSTART
	v_med3_f32 v8, v8, v6, v11
v_med3_f32 v7, v7, v6, v11
v_cvt_pk_fp8_f32 v3, v8, v7
	;;#ASMEND
	s_add_i32 s3, s3, s1
	v_lshlrev_b32_e32 v1, 16, v1
	;;#ASMSTART
	v_med3_f32 v4, v4, v6, v11
v_med3_f32 v0, v0, v6, v11
v_cvt_pk_fp8_f32 v6, v4, v0
	;;#ASMEND
	v_lshlrev_b32_e32 v4, 16, v6
	s_add_u32 s0, s4, s6
	s_addc_u32 s1, s5, s3
	v_and_or_b32 v0, 0xffff, v2, v1
	s_and_b32 s1, s1, 0xffff
	v_and_or_b32 v1, 0xffff, v3, v4
	s_mov_b32 s3, -1
	buffer_store_b64 v[0:1], v5, s[0:3], 0 offen
	;;#ASMSTART
	s_nop 0
	;;#ASMEND
.LBB8_44:
	s_nop 0
	s_sendmsg sendmsg(MSG_DEALLOC_VGPRS)
	s_endpgm
.LBB8_45:
                                        ; implicit-def: $vgpr1_vgpr2
	s_branch .LBB8_32
	.section	.rodata,"a",@progbits
	.p2align	6, 0x0
	.amdhsa_kernel _ZN5aiter24add_rmsnorm_quant_kernelItDB8_Li128ELi8ELb1ELb1ELb0ELi1EEEvPT0_PT_PfS5_S5_S5_diiiiiiib
		.amdhsa_group_segment_fixed_size 32
		.amdhsa_private_segment_fixed_size 0
		.amdhsa_kernarg_size 88
		.amdhsa_user_sgpr_count 15
		.amdhsa_user_sgpr_dispatch_ptr 0
		.amdhsa_user_sgpr_queue_ptr 0
		.amdhsa_user_sgpr_kernarg_segment_ptr 1
		.amdhsa_user_sgpr_dispatch_id 0
		.amdhsa_user_sgpr_private_segment_size 0
		.amdhsa_wavefront_size32 1
		.amdhsa_uses_dynamic_stack 0
		.amdhsa_enable_private_segment 0
		.amdhsa_system_sgpr_workgroup_id_x 1
		.amdhsa_system_sgpr_workgroup_id_y 0
		.amdhsa_system_sgpr_workgroup_id_z 0
		.amdhsa_system_sgpr_workgroup_info 0
		.amdhsa_system_vgpr_workitem_id 0
		.amdhsa_next_free_vgpr 24
		.amdhsa_next_free_sgpr 40
		.amdhsa_reserve_vcc 1
		.amdhsa_float_round_mode_32 0
		.amdhsa_float_round_mode_16_64 0
		.amdhsa_float_denorm_mode_32 3
		.amdhsa_float_denorm_mode_16_64 3
		.amdhsa_dx10_clamp 1
		.amdhsa_ieee_mode 1
		.amdhsa_fp16_overflow 0
		.amdhsa_workgroup_processor_mode 1
		.amdhsa_memory_ordered 1
		.amdhsa_forward_progress 0
		.amdhsa_shared_vgpr_count 0
		.amdhsa_exception_fp_ieee_invalid_op 0
		.amdhsa_exception_fp_denorm_src 0
		.amdhsa_exception_fp_ieee_div_zero 0
		.amdhsa_exception_fp_ieee_overflow 0
		.amdhsa_exception_fp_ieee_underflow 0
		.amdhsa_exception_fp_ieee_inexact 0
		.amdhsa_exception_int_div_zero 0
	.end_amdhsa_kernel
	.section	.text._ZN5aiter24add_rmsnorm_quant_kernelItDB8_Li128ELi8ELb1ELb1ELb0ELi1EEEvPT0_PT_PfS5_S5_S5_diiiiiiib,"axG",@progbits,_ZN5aiter24add_rmsnorm_quant_kernelItDB8_Li128ELi8ELb1ELb1ELb0ELi1EEEvPT0_PT_PfS5_S5_S5_diiiiiiib,comdat
.Lfunc_end8:
	.size	_ZN5aiter24add_rmsnorm_quant_kernelItDB8_Li128ELi8ELb1ELb1ELb0ELi1EEEvPT0_PT_PfS5_S5_S5_diiiiiiib, .Lfunc_end8-_ZN5aiter24add_rmsnorm_quant_kernelItDB8_Li128ELi8ELb1ELb1ELb0ELi1EEEvPT0_PT_PfS5_S5_S5_diiiiiiib
                                        ; -- End function
	.section	.AMDGPU.csdata,"",@progbits
; Kernel info:
; codeLenInByte = 3692
; NumSgprs: 42
; NumVgprs: 24
; ScratchSize: 0
; MemoryBound: 0
; FloatMode: 240
; IeeeMode: 1
; LDSByteSize: 32 bytes/workgroup (compile time only)
; SGPRBlocks: 5
; VGPRBlocks: 2
; NumSGPRsForWavesPerEU: 42
; NumVGPRsForWavesPerEU: 24
; Occupancy: 16
; WaveLimiterHint : 0
; COMPUTE_PGM_RSRC2:SCRATCH_EN: 0
; COMPUTE_PGM_RSRC2:USER_SGPR: 15
; COMPUTE_PGM_RSRC2:TRAP_HANDLER: 0
; COMPUTE_PGM_RSRC2:TGID_X_EN: 1
; COMPUTE_PGM_RSRC2:TGID_Y_EN: 0
; COMPUTE_PGM_RSRC2:TGID_Z_EN: 0
; COMPUTE_PGM_RSRC2:TIDIG_COMP_CNT: 0
	.section	.text._ZN5aiter24add_rmsnorm_quant_kernelIDF16_DB8_Li256ELi8ELb1ELb1ELb1ELi1EEEvPT0_PT_PfS5_S5_S5_diiiiiiib,"axG",@progbits,_ZN5aiter24add_rmsnorm_quant_kernelIDF16_DB8_Li256ELi8ELb1ELb1ELb1ELi1EEEvPT0_PT_PfS5_S5_S5_diiiiiiib,comdat
	.protected	_ZN5aiter24add_rmsnorm_quant_kernelIDF16_DB8_Li256ELi8ELb1ELb1ELb1ELi1EEEvPT0_PT_PfS5_S5_S5_diiiiiiib ; -- Begin function _ZN5aiter24add_rmsnorm_quant_kernelIDF16_DB8_Li256ELi8ELb1ELb1ELb1ELi1EEEvPT0_PT_PfS5_S5_S5_diiiiiiib
	.globl	_ZN5aiter24add_rmsnorm_quant_kernelIDF16_DB8_Li256ELi8ELb1ELb1ELb1ELi1EEEvPT0_PT_PfS5_S5_S5_diiiiiiib
	.p2align	8
	.type	_ZN5aiter24add_rmsnorm_quant_kernelIDF16_DB8_Li256ELi8ELb1ELb1ELb1ELi1EEEvPT0_PT_PfS5_S5_S5_diiiiiiib,@function
_ZN5aiter24add_rmsnorm_quant_kernelIDF16_DB8_Li256ELi8ELb1ELb1ELb1ELi1EEEvPT0_PT_PfS5_S5_S5_diiiiiiib: ; @_ZN5aiter24add_rmsnorm_quant_kernelIDF16_DB8_Li256ELi8ELb1ELb1ELb1ELi1EEEvPT0_PT_PfS5_S5_S5_diiiiiiib
; %bb.0:
	s_mov_b32 s2, s15
	s_load_b256 s[12:19], s[0:1], 0x38
	s_mov_b32 s3, 0
	s_waitcnt lgkmcnt(0)
	s_ashr_i32 s5, s12, 31
	s_mov_b32 s4, s12
	s_delay_alu instid0(SALU_CYCLE_1) | instskip(NEXT) | instid1(VALU_DEP_1)
	v_cmp_ge_i64_e64 s4, s[2:3], s[4:5]
	s_and_b32 vcc_lo, exec_lo, s4
	s_cbranch_vccnz .LBB9_44
; %bb.1:
	s_clause 0x1
	s_load_b256 s[4:11], s[0:1], 0x0
	s_load_b256 s[20:27], s[0:1], 0x20
	s_ashr_i32 s1, s14, 31
	s_waitcnt lgkmcnt(0)
	s_mul_hi_u32 s26, s14, s2
	s_mul_i32 s1, s1, s2
	s_mul_i32 s0, s14, s2
	s_add_i32 s1, s26, s1
	s_mul_hi_u32 s26, s15, s2
	s_lshl_b64 s[0:1], s[0:1], 1
	v_lshlrev_b32_e32 v19, 4, v0
	s_mul_i32 s14, s15, s2
	s_mov_b32 s31, -1
	v_and_b32_e32 v20, 31, v0
	s_mov_b32 s39, s31
	s_add_u32 s28, s10, s0
	s_addc_u32 s0, s11, s1
	s_add_i32 s1, s13, 1
	s_ashr_i32 s10, s15, 31
	s_lshr_b32 s11, s1, 31
	s_mul_i32 s10, s10, s2
	s_add_i32 s1, s1, s11
	s_and_b32 s29, s0, 0xffff
	s_lshl_b32 s0, s1, 1
	s_add_i32 s15, s26, s10
	s_and_b32 s30, s0, -4
	s_lshl_b64 s[0:1], s[14:15], 1
	s_and_b32 s37, s23, 0xffff
	buffer_load_b128 v[9:12], v19, s[28:31], 0 offen glc slc
	s_add_u32 s28, s20, s0
	s_addc_u32 s0, s21, s1
	s_mov_b32 s36, s22
	s_and_b32 s29, s0, 0xffff
	s_mov_b32 s38, s30
	buffer_load_b128 v[13:16], v19, s[28:31], 0 offen glc slc
	s_ashr_i32 s0, s16, 31
	s_mul_hi_u32 s1, s16, s2
	s_mul_i32 s10, s0, s2
	s_mul_i32 s0, s16, s2
	s_add_i32 s1, s1, s10
	s_delay_alu instid0(SALU_CYCLE_1) | instskip(NEXT) | instid1(SALU_CYCLE_1)
	s_lshl_b64 s[0:1], s[0:1], 1
	s_add_u32 s28, s6, s0
	s_addc_u32 s1, s7, s1
	v_cmp_eq_u32_e64 s0, 31, v20
	s_and_b32 s29, s1, 0xffff
	s_waitcnt vmcnt(1)
	v_cvt_f32_f16_e32 v8, v9
	v_lshrrev_b32_e32 v5, 16, v9
	v_cvt_f32_f16_e32 v9, v10
	s_waitcnt vmcnt(0)
	v_lshrrev_b32_e32 v6, 16, v13
	v_cvt_f32_f16_e32 v13, v13
	v_cvt_f32_f16_e32 v5, v5
	s_delay_alu instid0(VALU_DEP_3) | instskip(NEXT) | instid1(VALU_DEP_3)
	v_cvt_f32_f16_e32 v6, v6
	v_add_f32_e32 v8, v8, v13
	buffer_load_b128 v[1:4], v19, s[36:39], 0 offen
	v_cvt_f32_f16_e32 v13, v11
	v_add_f32_e32 v7, v5, v6
	v_lshrrev_b32_e32 v5, 16, v10
	v_cvt_f32_f16_e32 v6, v14
	v_lshrrev_b32_e32 v10, 16, v14
	v_lshrrev_b32_e32 v14, 16, v15
	v_cvt_f16_f32_e32 v24, v7
	v_cvt_f32_f16_e32 v5, v5
	v_add_f32_e32 v9, v9, v6
	v_cvt_f32_f16_e32 v10, v10
	v_mul_f32_e32 v17, v7, v7
	v_lshrrev_b32_e32 v6, 16, v11
	v_cvt_f32_f16_e32 v11, v15
	v_cvt_f32_f16_e32 v14, v14
	v_add_f32_e32 v10, v5, v10
	v_cvt_f32_f16_e32 v15, v16
	v_cvt_f32_f16_e32 v6, v6
	v_fmac_f32_e32 v17, v8, v8
	v_add_f32_e32 v11, v13, v11
	v_lshrrev_b32_e32 v13, 16, v12
	v_lshrrev_b32_e32 v16, 16, v16
	v_cvt_f32_f16_e32 v5, v12
	v_add_f32_e32 v12, v6, v14
	v_cvt_f16_f32_e32 v23, v10
	v_cvt_f32_f16_e32 v6, v13
	v_cvt_f32_f16_e32 v14, v16
	v_fmac_f32_e32 v17, v9, v9
	v_add_f32_e32 v13, v5, v15
	v_cvt_f16_f32_e32 v15, v9
	v_cvt_f16_f32_e32 v16, v11
	v_add_f32_e32 v14, v6, v14
	v_fmac_f32_e32 v17, v10, v10
	v_cvt_f16_f32_e32 v22, v12
	s_delay_alu instid0(VALU_DEP_3) | instskip(NEXT) | instid1(VALU_DEP_3)
	v_cvt_f16_f32_e32 v21, v14
	v_fmac_f32_e32 v17, v11, v11
	s_delay_alu instid0(VALU_DEP_1) | instskip(NEXT) | instid1(VALU_DEP_1)
	v_fmac_f32_e32 v17, v12, v12
	v_fmac_f32_e32 v17, v13, v13
	s_delay_alu instid0(VALU_DEP_1) | instskip(NEXT) | instid1(VALU_DEP_1)
	v_fmac_f32_e32 v17, v14, v14
	v_mov_b32_dpp v5, v17 quad_perm:[1,0,3,2] row_mask:0xf bank_mask:0xf
	s_delay_alu instid0(VALU_DEP_1) | instskip(SKIP_1) | instid1(VALU_DEP_2)
	v_add_f32_e32 v5, v17, v5
	v_cvt_f16_f32_e32 v17, v13
	v_mov_b32_dpp v6, v5 quad_perm:[2,3,0,1] row_mask:0xf bank_mask:0xf
	s_delay_alu instid0(VALU_DEP_1) | instskip(SKIP_1) | instid1(VALU_DEP_2)
	v_add_f32_e32 v5, v5, v6
	v_cvt_f16_f32_e32 v6, v8
	v_mov_b32_dpp v18, v5 row_xmask:7 row_mask:0xf bank_mask:0xf
	s_delay_alu instid0(VALU_DEP_1)
	v_add_f32_e32 v5, v5, v18
	v_pack_b32_f16 v18, v17, v21
	v_pack_b32_f16 v17, v16, v22
	;; [unrolled: 1-line block ×4, first 2 shown]
	v_mov_b32_dpp v6, v5 row_xmask:15 row_mask:0xf bank_mask:0xf
	buffer_store_b128 v[15:18], v19, s[28:31], 0 offen glc slc
	;;#ASMSTART
	s_nop 0
	;;#ASMEND
	s_and_saveexec_b32 s1, s0
	s_cbranch_execz .LBB9_3
; %bb.2:
	v_add_f32_e32 v5, v5, v6
	s_mov_b32 s6, 0x76543210
	v_lshrrev_b32_e32 v6, 3, v0
	s_delay_alu instid0(VALU_DEP_2) | instskip(NEXT) | instid1(VALU_DEP_1)
	v_permlanex16_b32 v15, v5, s6, 0xfedcba98 op_sel:[1,1]
	v_dual_add_f32 v5, v5, v15 :: v_dual_and_b32 v6, 0x7c, v6
	ds_store_b32 v6, v5 offset:32
.LBB9_3:
	s_or_b32 exec_lo, exec_lo, s1
	v_and_b32_e32 v5, 7, v0
	s_waitcnt vmcnt(0) lgkmcnt(0)
	s_waitcnt_vscnt null, 0x0
	s_barrier
	buffer_gl0_inv
	v_cvt_f32_i32_e32 v16, s13
	v_lshlrev_b32_e32 v6, 2, v5
	s_cmp_lg_u32 s18, 0
	ds_load_b32 v5, v6 offset:32
	s_waitcnt lgkmcnt(0)
	v_mov_b32_dpp v15, v5 quad_perm:[1,0,3,2] row_mask:0xf bank_mask:0xf
	s_delay_alu instid0(VALU_DEP_1) | instskip(NEXT) | instid1(VALU_DEP_1)
	v_add_f32_e32 v5, v5, v15
	v_mov_b32_dpp v15, v5 quad_perm:[2,3,0,1] row_mask:0xf bank_mask:0xf
	s_delay_alu instid0(VALU_DEP_1) | instskip(NEXT) | instid1(VALU_DEP_1)
	v_add_f32_e32 v5, v5, v15
	v_mov_b32_dpp v15, v5 row_xmask:7 row_mask:0xf bank_mask:0xf
	s_delay_alu instid0(VALU_DEP_1) | instskip(NEXT) | instid1(VALU_DEP_1)
	v_add_f32_e32 v5, v5, v15
	v_div_scale_f32 v15, null, v16, v16, v5
	v_div_scale_f32 v19, vcc_lo, v5, v16, v5
	s_delay_alu instid0(VALU_DEP_2) | instskip(SKIP_2) | instid1(VALU_DEP_1)
	v_rcp_f32_e32 v17, v15
	s_waitcnt_depctr 0xfff
	v_fma_f32 v18, -v15, v17, 1.0
	v_fmac_f32_e32 v17, v18, v17
	s_delay_alu instid0(VALU_DEP_1) | instskip(NEXT) | instid1(VALU_DEP_1)
	v_mul_f32_e32 v18, v19, v17
	v_fma_f32 v20, -v15, v18, v19
	s_delay_alu instid0(VALU_DEP_1) | instskip(SKIP_2) | instid1(VALU_DEP_3)
	v_fmac_f32_e32 v18, v20, v17
	v_cvt_f32_f16_e32 v20, v4
	v_lshrrev_b32_e32 v4, 16, v4
	v_fma_f32 v15, -v15, v18, v19
	s_delay_alu instid0(VALU_DEP_1)
	v_div_fmas_f32 v15, v15, v17, v18
	v_cvt_f32_f16_e32 v17, v2
	v_lshrrev_b32_e32 v2, 16, v2
	v_cvt_f32_f16_e32 v18, v3
	v_lshrrev_b32_e32 v3, 16, v3
	v_div_fixup_f32 v5, v15, v16, v5
	s_delay_alu instid0(VALU_DEP_4) | instskip(NEXT) | instid1(VALU_DEP_3)
	v_cvt_f32_f16_e32 v2, v2
	v_cvt_f32_f16_e32 v3, v3
	s_delay_alu instid0(VALU_DEP_3) | instskip(NEXT) | instid1(VALU_DEP_1)
	v_cvt_f64_f32_e32 v[15:16], v5
	v_add_f64 v[15:16], v[15:16], s[24:25]
	s_delay_alu instid0(VALU_DEP_1) | instskip(SKIP_2) | instid1(VALU_DEP_1)
	v_cvt_f32_f64_e32 v5, v[15:16]
	v_cvt_f32_f16_e32 v16, v1
	v_lshrrev_b32_e32 v1, 16, v1
	v_cvt_f32_f16_e32 v1, v1
	s_delay_alu instid0(VALU_DEP_4) | instskip(SKIP_1) | instid1(VALU_DEP_2)
	v_mul_f32_e32 v15, 0x4b800000, v5
	v_cmp_gt_f32_e32 vcc_lo, 0x800000, v5
	v_cndmask_b32_e32 v5, v5, v15, vcc_lo
	s_delay_alu instid0(VALU_DEP_1) | instskip(SKIP_2) | instid1(VALU_DEP_1)
	v_rsq_f32_e32 v15, v5
	s_waitcnt_depctr 0xfff
	v_mul_f32_e32 v19, 0x45800000, v15
	v_cndmask_b32_e32 v15, v15, v19, vcc_lo
	v_mov_b32_e32 v21, 0x2edbe6ff
	v_cvt_f32_f16_e32 v19, v4
	s_delay_alu instid0(VALU_DEP_3) | instskip(NEXT) | instid1(VALU_DEP_1)
	v_mul_f32_e32 v10, v10, v15
	v_dual_mul_f32 v23, v12, v15 :: v_dual_mul_f32 v10, v10, v2
	v_mul_f32_e32 v7, v7, v15
	s_delay_alu instid0(VALU_DEP_1) | instskip(NEXT) | instid1(VALU_DEP_1)
	v_mul_f32_e32 v12, v7, v1
	v_dual_mul_f32 v7, v23, v3 :: v_dual_and_b32 v2, 0x7fffffff, v12
	v_dual_mul_f32 v4, v8, v15 :: v_dual_lshlrev_b32 v5, 3, v0
	v_mul_f32_e32 v8, v9, v15
	v_mul_f32_e32 v22, v11, v15
	;; [unrolled: 1-line block ×3, first 2 shown]
	s_delay_alu instid0(VALU_DEP_4) | instskip(NEXT) | instid1(VALU_DEP_3)
	v_dual_mul_f32 v11, v4, v16 :: v_dual_mul_f32 v14, v14, v15
	v_dual_mul_f32 v9, v8, v17 :: v_dual_mul_f32 v8, v22, v18
	s_delay_alu instid0(VALU_DEP_2) | instskip(NEXT) | instid1(VALU_DEP_3)
	v_dual_mul_f32 v4, v13, v20 :: v_dual_and_b32 v1, 0x7fffffff, v11
	v_mul_f32_e32 v3, v14, v19
	;;#ASMSTART
	v_max3_f32 v1, v21, v1, v2

	;;#ASMEND
	s_delay_alu instid0(VALU_DEP_3)
	v_and_b32_e32 v13, 0x7fffffff, v9
	v_and_b32_e32 v14, 0x7fffffff, v10
	;;#ASMSTART
	v_max3_f32 v1, v1, v13, v14

	;;#ASMEND
	v_and_b32_e32 v15, 0x7fffffff, v8
	v_and_b32_e32 v16, 0x7fffffff, v7
	;; [unrolled: 1-line block ×4, first 2 shown]
	;;#ASMSTART
	v_max3_f32 v1, v1, v15, v16

	;;#ASMEND
	;;#ASMSTART
	v_max3_f32 v13, v1, v17, v18

	;;#ASMEND
	s_cbranch_scc0 .LBB9_10
; %bb.4:
	s_ashr_i32 s11, s18, 31
	s_delay_alu instid0(SALU_CYCLE_1) | instskip(NEXT) | instid1(SALU_CYCLE_1)
	s_lshr_b32 s1, s11, 29
	s_add_i32 s1, s18, s1
	s_delay_alu instid0(SALU_CYCLE_1) | instskip(NEXT) | instid1(SALU_CYCLE_1)
	s_ashr_i32 s1, s1, 3
	s_cmp_lt_i32 s1, 8
	s_cbranch_scc1 .LBB9_11
; %bb.5:
	s_cmp_lt_i32 s1, 16
	s_cbranch_scc1 .LBB9_12
; %bb.6:
	;; [unrolled: 3-line block ×3, first 2 shown]
	v_mov_b32_e32 v1, v13
	s_cmp_eq_u32 s1, 32
	s_cbranch_scc0 .LBB9_9
; %bb.8:
	s_delay_alu instid0(VALU_DEP_1) | instskip(SKIP_1) | instid1(VALU_DEP_1)
	v_mov_b32_dpp v1, v13 quad_perm:[1,0,3,2] row_mask:0xf bank_mask:0xf
	s_mov_b32 s6, 0x76543210
	v_cmp_gt_f32_e32 vcc_lo, v13, v1
	v_cndmask_b32_e32 v1, v1, v13, vcc_lo
	s_delay_alu instid0(VALU_DEP_1) | instskip(NEXT) | instid1(VALU_DEP_1)
	v_mov_b32_dpp v2, v1 quad_perm:[2,3,0,1] row_mask:0xf bank_mask:0xf
	v_cmp_gt_f32_e32 vcc_lo, v1, v2
	v_cndmask_b32_e32 v1, v2, v1, vcc_lo
	s_delay_alu instid0(VALU_DEP_1) | instskip(NEXT) | instid1(VALU_DEP_1)
	v_mov_b32_dpp v2, v1 row_xmask:7 row_mask:0xf bank_mask:0xf
	v_cmp_gt_f32_e32 vcc_lo, v1, v2
	v_cndmask_b32_e32 v1, v2, v1, vcc_lo
	s_delay_alu instid0(VALU_DEP_1) | instskip(NEXT) | instid1(VALU_DEP_1)
	v_mov_b32_dpp v2, v1 row_xmask:15 row_mask:0xf bank_mask:0xf
	v_cmp_gt_f32_e32 vcc_lo, v1, v2
	v_cndmask_b32_e32 v1, v2, v1, vcc_lo
	s_delay_alu instid0(VALU_DEP_1) | instskip(NEXT) | instid1(VALU_DEP_1)
	v_permlanex16_b32 v2, v1, s6, 0xfedcba98 op_sel:[1,1]
	v_cmp_gt_f32_e32 vcc_lo, v1, v2
	v_cndmask_b32_e32 v1, v2, v1, vcc_lo
.LBB9_9:
	s_mov_b32 s6, 0
	s_branch .LBB9_14
.LBB9_10:
	s_mov_b32 s1, 0
                                        ; implicit-def: $vgpr14
                                        ; implicit-def: $vgpr1_vgpr2
	s_and_b32 vcc_lo, exec_lo, s31
	s_cbranch_vccnz .LBB9_38
	s_branch .LBB9_41
.LBB9_11:
                                        ; implicit-def: $vgpr1
	s_branch .LBB9_21
.LBB9_12:
                                        ; implicit-def: $vgpr1
	s_branch .LBB9_18
.LBB9_13:
	s_mov_b32 s6, -1
                                        ; implicit-def: $vgpr1
.LBB9_14:
	s_delay_alu instid0(SALU_CYCLE_1)
	s_and_not1_b32 vcc_lo, exec_lo, s6
	s_cbranch_vccnz .LBB9_17
; %bb.15:
	v_mov_b32_e32 v1, v13
	s_cmp_eq_u32 s1, 16
	s_cbranch_scc0 .LBB9_17
; %bb.16:
	s_delay_alu instid0(VALU_DEP_1) | instskip(NEXT) | instid1(VALU_DEP_1)
	v_mov_b32_dpp v1, v13 quad_perm:[1,0,3,2] row_mask:0xf bank_mask:0xf
	v_cmp_gt_f32_e32 vcc_lo, v13, v1
	v_cndmask_b32_e32 v1, v1, v13, vcc_lo
	s_delay_alu instid0(VALU_DEP_1) | instskip(NEXT) | instid1(VALU_DEP_1)
	v_mov_b32_dpp v2, v1 quad_perm:[2,3,0,1] row_mask:0xf bank_mask:0xf
	v_cmp_gt_f32_e32 vcc_lo, v1, v2
	v_cndmask_b32_e32 v1, v2, v1, vcc_lo
	s_delay_alu instid0(VALU_DEP_1) | instskip(NEXT) | instid1(VALU_DEP_1)
	v_mov_b32_dpp v2, v1 row_half_mirror row_mask:0xf bank_mask:0xf
	v_cmp_gt_f32_e32 vcc_lo, v1, v2
	v_cndmask_b32_e32 v1, v2, v1, vcc_lo
	s_delay_alu instid0(VALU_DEP_1) | instskip(NEXT) | instid1(VALU_DEP_1)
	v_mov_b32_dpp v2, v1 row_mirror row_mask:0xf bank_mask:0xf
	v_cmp_gt_f32_e32 vcc_lo, v1, v2
	v_cndmask_b32_e32 v1, v2, v1, vcc_lo
.LBB9_17:
	s_cbranch_execnz .LBB9_20
.LBB9_18:
	v_mov_b32_e32 v1, v13
	s_cmp_eq_u32 s1, 8
	s_cbranch_scc0 .LBB9_20
; %bb.19:
	s_delay_alu instid0(VALU_DEP_1) | instskip(NEXT) | instid1(VALU_DEP_1)
	v_mov_b32_dpp v1, v13 quad_perm:[1,0,3,2] row_mask:0xf bank_mask:0xf
	v_cmp_gt_f32_e32 vcc_lo, v13, v1
	v_cndmask_b32_e32 v1, v1, v13, vcc_lo
	s_delay_alu instid0(VALU_DEP_1) | instskip(NEXT) | instid1(VALU_DEP_1)
	v_mov_b32_dpp v2, v1 quad_perm:[2,3,0,1] row_mask:0xf bank_mask:0xf
	v_cmp_gt_f32_e32 vcc_lo, v1, v2
	v_cndmask_b32_e32 v1, v2, v1, vcc_lo
	s_delay_alu instid0(VALU_DEP_1) | instskip(NEXT) | instid1(VALU_DEP_1)
	v_mov_b32_dpp v2, v1 row_half_mirror row_mask:0xf bank_mask:0xf
	v_cmp_gt_f32_e32 vcc_lo, v1, v2
	v_cndmask_b32_e32 v1, v2, v1, vcc_lo
.LBB9_20:
	s_cbranch_execnz .LBB9_28
.LBB9_21:
	s_cmp_lt_i32 s1, 4
	s_cbranch_scc1 .LBB9_24
; %bb.22:
	v_mov_b32_e32 v1, v13
	s_cmp_eq_u32 s1, 4
	s_cbranch_scc0 .LBB9_25
; %bb.23:
	s_delay_alu instid0(VALU_DEP_1) | instskip(NEXT) | instid1(VALU_DEP_1)
	v_mov_b32_dpp v1, v13 quad_perm:[1,0,3,2] row_mask:0xf bank_mask:0xf
	v_cmp_gt_f32_e32 vcc_lo, v13, v1
	v_cndmask_b32_e32 v1, v1, v13, vcc_lo
	s_delay_alu instid0(VALU_DEP_1) | instskip(NEXT) | instid1(VALU_DEP_1)
	v_mov_b32_dpp v2, v1 quad_perm:[2,3,0,1] row_mask:0xf bank_mask:0xf
	v_cmp_gt_f32_e32 vcc_lo, v1, v2
	v_cndmask_b32_e32 v1, v2, v1, vcc_lo
	s_cbranch_execz .LBB9_26
	s_branch .LBB9_28
.LBB9_24:
                                        ; implicit-def: $vgpr1
	s_branch .LBB9_26
.LBB9_25:
	s_cbranch_execnz .LBB9_28
.LBB9_26:
	v_mov_b32_e32 v1, v13
	s_cmp_lg_u32 s1, 2
	s_cbranch_scc1 .LBB9_28
; %bb.27:
	s_delay_alu instid0(VALU_DEP_1) | instskip(NEXT) | instid1(VALU_DEP_1)
	v_mov_b32_dpp v1, v13 quad_perm:[1,0,3,2] row_mask:0xf bank_mask:0xf
	v_cmp_gt_f32_e32 vcc_lo, v13, v1
	v_cndmask_b32_e32 v1, v1, v13, vcc_lo
.LBB9_28:
	v_cvt_f32_u32_e32 v2, s1
	s_sub_i32 s6, 0, s1
	s_mov_b32 s31, 0
	s_delay_alu instid0(VALU_DEP_1) | instskip(SKIP_2) | instid1(VALU_DEP_1)
	v_rcp_iflag_f32_e32 v2, v2
	s_waitcnt_depctr 0xfff
	v_mul_f32_e32 v2, 0x4f7ffffe, v2
	v_cvt_u32_f32_e32 v2, v2
	s_delay_alu instid0(VALU_DEP_1) | instskip(NEXT) | instid1(VALU_DEP_1)
	v_mul_lo_u32 v14, s6, v2
	v_mul_hi_u32 v14, v2, v14
	s_delay_alu instid0(VALU_DEP_1) | instskip(NEXT) | instid1(VALU_DEP_1)
	v_add_nc_u32_e32 v2, v2, v14
	v_mul_hi_u32 v2, v0, v2
	s_delay_alu instid0(VALU_DEP_1) | instskip(NEXT) | instid1(VALU_DEP_1)
	v_mul_lo_u32 v14, v2, s1
	v_sub_nc_u32_e32 v14, v0, v14
	s_delay_alu instid0(VALU_DEP_1) | instskip(SKIP_1) | instid1(VALU_DEP_2)
	v_subrev_nc_u32_e32 v16, s1, v14
	v_cmp_le_u32_e32 vcc_lo, s1, v14
	v_dual_cndmask_b32 v14, v14, v16 :: v_dual_add_nc_u32 v15, 1, v2
	s_delay_alu instid0(VALU_DEP_1) | instskip(NEXT) | instid1(VALU_DEP_2)
	v_cndmask_b32_e32 v2, v2, v15, vcc_lo
	v_cmp_le_u32_e32 vcc_lo, s1, v14
	s_delay_alu instid0(VALU_DEP_2) | instskip(NEXT) | instid1(VALU_DEP_1)
	v_dual_mul_f32 v14, 0x3b124925, v1 :: v_dual_add_nc_u32 v15, 1, v2
	v_cndmask_b32_e32 v15, v2, v15, vcc_lo
	v_cmp_gt_u32_e32 vcc_lo, s13, v5
	s_delay_alu instid0(VALU_DEP_2) | instskip(NEXT) | instid1(VALU_DEP_1)
	v_mul_lo_u32 v2, v15, s1
	v_sub_nc_u32_e32 v2, v0, v2
	s_delay_alu instid0(VALU_DEP_1) | instskip(NEXT) | instid1(VALU_DEP_1)
	v_cmp_eq_u32_e64 s1, 0, v2
                                        ; implicit-def: $vgpr1_vgpr2
	s_and_b32 s6, s1, vcc_lo
	s_mov_b32 s1, 0
	s_and_saveexec_b32 s7, s6
	s_delay_alu instid0(SALU_CYCLE_1)
	s_xor_b32 s16, exec_lo, s7
	s_cbranch_execz .LBB9_37
; %bb.29:
	s_bitcmp0_b32 s19, 0
	s_mov_b32 s10, 0
	s_cbranch_scc0 .LBB9_34
; %bb.30:
	s_ashr_i32 s1, s13, 31
	s_mul_hi_u32 s7, s13, s2
	s_mul_i32 s1, s1, s2
	s_mul_i32 s6, s13, s2
	s_add_i32 s7, s7, s1
	s_mov_b32 s19, s11
	s_delay_alu instid0(SALU_CYCLE_1) | instskip(NEXT) | instid1(SALU_CYCLE_1)
	s_or_b64 s[14:15], s[6:7], s[18:19]
	s_mov_b32 s11, s15
	s_delay_alu instid0(SALU_CYCLE_1)
	s_cmp_lg_u64 s[10:11], 0
	s_cbranch_scc0 .LBB9_45
; %bb.31:
	s_add_u32 s14, s18, s19
	s_mov_b32 s10, s19
	s_mov_b32 s11, s19
	s_addc_u32 s15, s19, s19
	s_delay_alu instid0(SALU_CYCLE_1) | instskip(NEXT) | instid1(SALU_CYCLE_1)
	s_xor_b64 s[14:15], s[14:15], s[10:11]
	v_cvt_f32_u32_e32 v1, s14
	v_cvt_f32_u32_e32 v2, s15
	s_sub_u32 s20, 0, s14
	s_subb_u32 s21, 0, s15
	s_delay_alu instid0(VALU_DEP_1) | instskip(NEXT) | instid1(VALU_DEP_1)
	v_fmamk_f32 v1, v2, 0x4f800000, v1
	v_rcp_f32_e32 v1, v1
	s_waitcnt_depctr 0xfff
	v_mul_f32_e32 v1, 0x5f7ffffc, v1
	s_delay_alu instid0(VALU_DEP_1) | instskip(NEXT) | instid1(VALU_DEP_1)
	v_mul_f32_e32 v2, 0x2f800000, v1
	v_trunc_f32_e32 v2, v2
	s_delay_alu instid0(VALU_DEP_1) | instskip(SKIP_1) | instid1(VALU_DEP_2)
	v_fmamk_f32 v1, v2, 0xcf800000, v1
	v_cvt_u32_f32_e32 v2, v2
	v_cvt_u32_f32_e32 v1, v1
	s_delay_alu instid0(VALU_DEP_2) | instskip(NEXT) | instid1(VALU_DEP_2)
	v_readfirstlane_b32 s1, v2
	v_readfirstlane_b32 s19, v1
	s_delay_alu instid0(VALU_DEP_2) | instskip(NEXT) | instid1(VALU_DEP_1)
	s_mul_i32 s22, s20, s1
	s_mul_hi_u32 s24, s20, s19
	s_mul_i32 s23, s21, s19
	s_add_i32 s22, s24, s22
	s_mul_i32 s25, s20, s19
	s_add_i32 s22, s22, s23
	s_mul_hi_u32 s24, s19, s25
	s_mul_hi_u32 s26, s1, s25
	s_mul_i32 s23, s1, s25
	s_mul_hi_u32 s25, s19, s22
	s_mul_i32 s19, s19, s22
	s_mul_hi_u32 s27, s1, s22
	s_add_u32 s19, s24, s19
	s_addc_u32 s24, 0, s25
	s_add_u32 s19, s19, s23
	s_mul_i32 s22, s1, s22
	s_addc_u32 s19, s24, s26
	s_addc_u32 s23, s27, 0
	s_add_u32 s19, s19, s22
	s_addc_u32 s22, 0, s23
	v_add_co_u32 v1, s19, v1, s19
	s_delay_alu instid0(VALU_DEP_1) | instskip(SKIP_1) | instid1(VALU_DEP_1)
	s_cmp_lg_u32 s19, 0
	s_addc_u32 s1, s1, s22
	v_readfirstlane_b32 s19, v1
	s_mul_i32 s22, s20, s1
	s_delay_alu instid0(VALU_DEP_1)
	s_mul_hi_u32 s23, s20, s19
	s_mul_i32 s21, s21, s19
	s_add_i32 s22, s23, s22
	s_mul_i32 s20, s20, s19
	s_add_i32 s22, s22, s21
	s_mul_hi_u32 s23, s1, s20
	s_mul_i32 s24, s1, s20
	s_mul_hi_u32 s20, s19, s20
	s_mul_hi_u32 s25, s19, s22
	s_mul_i32 s19, s19, s22
	s_mul_hi_u32 s21, s1, s22
	s_add_u32 s19, s20, s19
	s_addc_u32 s20, 0, s25
	s_add_u32 s19, s19, s24
	s_mul_i32 s22, s1, s22
	s_addc_u32 s19, s20, s23
	s_addc_u32 s20, s21, 0
	s_add_u32 s19, s19, s22
	s_addc_u32 s20, 0, s20
	v_add_co_u32 v1, s19, v1, s19
	s_delay_alu instid0(VALU_DEP_1) | instskip(SKIP_2) | instid1(SALU_CYCLE_1)
	s_cmp_lg_u32 s19, 0
	s_addc_u32 s1, s1, s20
	s_ashr_i32 s20, s7, 31
	s_add_u32 s22, s6, s20
	s_addc_u32 s23, s7, s20
	v_readfirstlane_b32 s7, v1
	s_mov_b32 s21, s20
	s_delay_alu instid0(SALU_CYCLE_1) | instskip(NEXT) | instid1(SALU_CYCLE_1)
	s_xor_b64 s[22:23], s[22:23], s[20:21]
	s_mul_i32 s24, s22, s1
	s_delay_alu instid0(VALU_DEP_1)
	s_mul_hi_u32 s25, s22, s7
	s_mul_hi_u32 s19, s22, s1
	;; [unrolled: 1-line block ×3, first 2 shown]
	s_mul_i32 s7, s23, s7
	s_add_u32 s24, s25, s24
	s_addc_u32 s19, 0, s19
	s_mul_hi_u32 s26, s23, s1
	s_add_u32 s7, s24, s7
	s_mul_i32 s1, s23, s1
	s_addc_u32 s7, s19, s27
	s_addc_u32 s19, s26, 0
	s_add_u32 s7, s7, s1
	s_addc_u32 s19, 0, s19
	s_mul_i32 s26, s14, s7
	s_mul_hi_u32 s1, s14, s7
	s_mul_i32 s25, s14, s19
	v_sub_co_u32 v1, s22, s22, s26
	s_mul_i32 s24, s15, s7
	s_add_i32 s1, s1, s25
	s_delay_alu instid0(SALU_CYCLE_1) | instskip(NEXT) | instid1(VALU_DEP_1)
	s_add_i32 s1, s1, s24
	v_sub_co_u32 v2, s25, v1, s14
	s_sub_i32 s24, s23, s1
	s_cmp_lg_u32 s22, 0
	s_subb_u32 s24, s24, s15
	s_cmp_lg_u32 s25, 0
	v_cmp_le_u32_e32 vcc_lo, s14, v2
	s_subb_u32 s24, s24, 0
	s_delay_alu instid0(SALU_CYCLE_1)
	s_cmp_ge_u32 s24, s15
	v_cndmask_b32_e64 v2, 0, -1, vcc_lo
	s_cselect_b32 s25, -1, 0
	s_cmp_eq_u32 s24, s15
	s_cselect_b32 vcc_lo, -1, 0
	s_add_u32 s24, s7, 1
	v_cndmask_b32_e32 v2, s25, v2, vcc_lo
	s_addc_u32 s25, s19, 0
	s_add_u32 s26, s7, 2
	s_addc_u32 s27, s19, 0
	s_cmp_lg_u32 s22, 0
	v_cmp_le_u32_e32 vcc_lo, s14, v1
	s_subb_u32 s1, s23, s1
	v_mov_b32_e32 v16, s26
	s_cmp_ge_u32 s1, s15
	v_cndmask_b32_e64 v1, 0, -1, vcc_lo
	s_cselect_b32 s14, -1, 0
	s_cmp_eq_u32 s1, s15
	v_cmp_ne_u32_e32 vcc_lo, 0, v2
	v_mov_b32_e32 v2, s27
	s_cselect_b32 s1, -1, 0
	s_xor_b64 s[10:11], s[20:21], s[10:11]
	v_cndmask_b32_e64 v1, s14, v1, s1
	v_cndmask_b32_e32 v16, s24, v16, vcc_lo
	v_cndmask_b32_e32 v2, s25, v2, vcc_lo
	s_delay_alu instid0(VALU_DEP_3) | instskip(NEXT) | instid1(VALU_DEP_2)
	v_cmp_ne_u32_e32 vcc_lo, 0, v1
	v_cndmask_b32_e32 v1, s19, v2, vcc_lo
	s_delay_alu instid0(VALU_DEP_4) | instskip(NEXT) | instid1(VALU_DEP_2)
	v_cndmask_b32_e32 v2, s7, v16, vcc_lo
	v_xor_b32_e32 v16, s11, v1
	s_delay_alu instid0(VALU_DEP_2) | instskip(NEXT) | instid1(VALU_DEP_1)
	v_xor_b32_e32 v2, s10, v2
	v_sub_co_u32 v1, vcc_lo, v2, s10
	s_delay_alu instid0(VALU_DEP_3)
	v_subrev_co_ci_u32_e32 v2, vcc_lo, s11, v16, vcc_lo
	s_cbranch_execnz .LBB9_33
.LBB9_32:
	v_cvt_f32_u32_e32 v1, s18
	s_sub_i32 s7, 0, s18
	s_delay_alu instid0(VALU_DEP_1) | instskip(SKIP_2) | instid1(VALU_DEP_1)
	v_rcp_iflag_f32_e32 v1, v1
	s_waitcnt_depctr 0xfff
	v_mul_f32_e32 v1, 0x4f7ffffe, v1
	v_cvt_u32_f32_e32 v1, v1
	s_delay_alu instid0(VALU_DEP_1) | instskip(NEXT) | instid1(VALU_DEP_1)
	v_readfirstlane_b32 s1, v1
	s_mul_i32 s7, s7, s1
	s_delay_alu instid0(SALU_CYCLE_1) | instskip(NEXT) | instid1(SALU_CYCLE_1)
	s_mul_hi_u32 s7, s1, s7
	s_add_i32 s1, s1, s7
	s_delay_alu instid0(SALU_CYCLE_1) | instskip(NEXT) | instid1(SALU_CYCLE_1)
	s_mul_hi_u32 s1, s6, s1
	s_mul_i32 s7, s1, s18
	s_delay_alu instid0(SALU_CYCLE_1)
	s_sub_i32 s6, s6, s7
	s_add_i32 s7, s1, 1
	s_sub_i32 s10, s6, s18
	s_cmp_ge_u32 s6, s18
	s_cselect_b32 s1, s7, s1
	s_cselect_b32 s6, s10, s6
	s_add_i32 s10, s1, 1
	s_cmp_ge_u32 s6, s18
	s_mov_b32 s7, 0
	s_cselect_b32 s6, s10, s1
	s_delay_alu instid0(SALU_CYCLE_1)
	v_dual_mov_b32 v1, s6 :: v_dual_mov_b32 v2, s7
.LBB9_33:
	s_delay_alu instid0(VALU_DEP_1) | instskip(NEXT) | instid1(VALU_DEP_2)
	v_add_co_u32 v1, vcc_lo, v1, v15
	v_add_co_ci_u32_e32 v2, vcc_lo, 0, v2, vcc_lo
	s_branch .LBB9_36
.LBB9_34:
                                        ; implicit-def: $vgpr1_vgpr2
	s_cbranch_execz .LBB9_36
; %bb.35:
	v_mul_lo_u32 v1, v15, s12
	s_delay_alu instid0(VALU_DEP_1) | instskip(SKIP_1) | instid1(VALU_DEP_2)
	v_ashrrev_i32_e32 v2, 31, v1
	v_add_co_u32 v1, vcc_lo, v1, s2
	v_add_co_ci_u32_e32 v2, vcc_lo, 0, v2, vcc_lo
.LBB9_36:
	s_mov_b32 s1, exec_lo
.LBB9_37:
	s_or_b32 exec_lo, exec_lo, s16
	s_delay_alu instid0(SALU_CYCLE_1)
	s_and_b32 vcc_lo, exec_lo, s31
	s_cbranch_vccz .LBB9_41
.LBB9_38:
	v_mov_b32_dpp v1, v13 quad_perm:[1,0,3,2] row_mask:0xf bank_mask:0xf
	s_delay_alu instid0(VALU_DEP_1) | instskip(SKIP_1) | instid1(VALU_DEP_1)
	v_cmp_gt_f32_e32 vcc_lo, v13, v1
	v_cndmask_b32_e32 v1, v1, v13, vcc_lo
	v_mov_b32_dpp v2, v1 quad_perm:[2,3,0,1] row_mask:0xf bank_mask:0xf
	s_delay_alu instid0(VALU_DEP_1) | instskip(SKIP_1) | instid1(VALU_DEP_1)
	v_cmp_gt_f32_e32 vcc_lo, v1, v2
	v_cndmask_b32_e32 v1, v2, v1, vcc_lo
	v_mov_b32_dpp v2, v1 row_xmask:7 row_mask:0xf bank_mask:0xf
	s_delay_alu instid0(VALU_DEP_1) | instskip(SKIP_1) | instid1(VALU_DEP_1)
	v_cmp_gt_f32_e32 vcc_lo, v1, v2
	v_cndmask_b32_e32 v1, v2, v1, vcc_lo
	v_mov_b32_dpp v2, v1 row_xmask:15 row_mask:0xf bank_mask:0xf
	s_delay_alu instid0(VALU_DEP_1)
	v_cmp_gt_f32_e32 vcc_lo, v1, v2
	s_and_saveexec_b32 s1, s0
	s_cbranch_execz .LBB9_40
; %bb.39:
	v_cndmask_b32_e32 v1, v2, v1, vcc_lo
	v_lshrrev_b32_e32 v2, 3, v0
	s_mov_b32 s0, 0x76543210
	s_delay_alu instid0(VALU_DEP_1) | instskip(NEXT) | instid1(VALU_DEP_3)
	v_and_b32_e32 v2, 0x7c, v2
	v_permlanex16_b32 v13, v1, s0, 0xfedcba98 op_sel:[1,1]
	s_delay_alu instid0(VALU_DEP_1)
	v_cmp_gt_f32_e32 vcc_lo, v1, v13
	v_cndmask_b32_e32 v1, v13, v1, vcc_lo
	ds_store_b32 v2, v1
.LBB9_40:
	s_or_b32 exec_lo, exec_lo, s1
	s_waitcnt lgkmcnt(0)
	s_barrier
	buffer_gl0_inv
	ds_load_b32 v1, v6
	v_cmp_eq_u32_e64 s1, 0, v0
	s_waitcnt lgkmcnt(0)
	v_mov_b32_dpp v2, v1 quad_perm:[1,0,3,2] row_mask:0xf bank_mask:0xf
	s_delay_alu instid0(VALU_DEP_1) | instskip(SKIP_1) | instid1(VALU_DEP_1)
	v_cmp_gt_f32_e32 vcc_lo, v1, v2
	v_cndmask_b32_e32 v1, v2, v1, vcc_lo
	v_mov_b32_dpp v2, v1 quad_perm:[2,3,0,1] row_mask:0xf bank_mask:0xf
	s_delay_alu instid0(VALU_DEP_1) | instskip(SKIP_1) | instid1(VALU_DEP_1)
	v_cmp_gt_f32_e32 vcc_lo, v1, v2
	v_cndmask_b32_e32 v1, v2, v1, vcc_lo
	v_mov_b32_dpp v2, v1 row_xmask:7 row_mask:0xf bank_mask:0xf
	s_delay_alu instid0(VALU_DEP_1) | instskip(SKIP_1) | instid1(VALU_DEP_1)
	v_cmp_gt_f32_e32 vcc_lo, v1, v2
	v_cndmask_b32_e32 v1, v2, v1, vcc_lo
	v_dual_mul_f32 v14, 0x3b124925, v1 :: v_dual_mov_b32 v1, s2
	v_mov_b32_e32 v2, s3
.LBB9_41:
	s_and_saveexec_b32 s0, s1
	s_cbranch_execz .LBB9_43
; %bb.42:
	s_delay_alu instid0(VALU_DEP_1) | instskip(NEXT) | instid1(VALU_DEP_1)
	v_lshlrev_b64 v[0:1], 2, v[1:2]
	v_add_co_u32 v0, vcc_lo, s8, v0
	s_delay_alu instid0(VALU_DEP_2)
	v_add_co_ci_u32_e32 v1, vcc_lo, s9, v1, vcc_lo
	global_store_b32 v[0:1], v14, off
.LBB9_43:
	s_or_b32 exec_lo, exec_lo, s0
	;;#ASMSTART
	v_rcp_f32 v0, v14
	;;#ASMEND
	v_dual_mul_f32 v1, v11, v0 :: v_dual_mov_b32 v6, 0xc3e00000
	v_dual_mul_f32 v2, v12, v0 :: v_dual_mov_b32 v11, 0x43e00000
	v_mul_f32_e32 v9, v9, v0
	v_mul_f32_e32 v10, v10, v0
	;;#ASMSTART
	v_med3_f32 v1, v1, v6, v11
v_med3_f32 v2, v2, v6, v11
v_cvt_pk_fp8_f32 v12, v1, v2
	;;#ASMEND
	;;#ASMSTART
	v_med3_f32 v9, v9, v6, v11
v_med3_f32 v10, v10, v6, v11
v_cvt_pk_fp8_f32 v1, v9, v10
	;;#ASMEND
	v_perm_b32 v2, v1, v12, 0x5040100
	v_and_b32_e32 v1, 0xffffff00, v1
	s_add_i32 s0, s13, 3
	v_mul_f32_e32 v7, v7, v0
	s_ashr_i32 s7, s0, 31
	v_lshrrev_b32_e32 v9, 16, v2
	v_mul_f32_e32 v8, v8, v0
	s_ashr_i32 s1, s17, 31
	s_lshr_b32 s7, s7, 30
	s_mul_hi_u32 s3, s17, s2
	v_and_b32_e32 v9, 0xff, v9
	s_add_i32 s0, s0, s7
	s_mul_i32 s1, s1, s2
	s_mul_i32 s6, s17, s2
	s_and_b32 s2, s0, -4
	v_or_b32_e32 v1, v9, v1
	v_mul_f32_e32 v4, v4, v0
	v_mul_f32_e32 v0, v3, v0
	;;#ASMSTART
	v_med3_f32 v8, v8, v6, v11
v_med3_f32 v7, v7, v6, v11
v_cvt_pk_fp8_f32 v3, v8, v7
	;;#ASMEND
	s_add_i32 s3, s3, s1
	v_lshlrev_b32_e32 v1, 16, v1
	;;#ASMSTART
	v_med3_f32 v4, v4, v6, v11
v_med3_f32 v0, v0, v6, v11
v_cvt_pk_fp8_f32 v6, v4, v0
	;;#ASMEND
	v_lshlrev_b32_e32 v4, 16, v6
	s_add_u32 s0, s4, s6
	s_addc_u32 s1, s5, s3
	v_and_or_b32 v0, 0xffff, v2, v1
	s_and_b32 s1, s1, 0xffff
	v_and_or_b32 v1, 0xffff, v3, v4
	s_mov_b32 s3, -1
	buffer_store_b64 v[0:1], v5, s[0:3], 0 offen
	;;#ASMSTART
	s_nop 0
	;;#ASMEND
.LBB9_44:
	s_nop 0
	s_sendmsg sendmsg(MSG_DEALLOC_VGPRS)
	s_endpgm
.LBB9_45:
                                        ; implicit-def: $vgpr1_vgpr2
	s_branch .LBB9_32
	.section	.rodata,"a",@progbits
	.p2align	6, 0x0
	.amdhsa_kernel _ZN5aiter24add_rmsnorm_quant_kernelIDF16_DB8_Li256ELi8ELb1ELb1ELb1ELi1EEEvPT0_PT_PfS5_S5_S5_diiiiiiib
		.amdhsa_group_segment_fixed_size 64
		.amdhsa_private_segment_fixed_size 0
		.amdhsa_kernarg_size 88
		.amdhsa_user_sgpr_count 15
		.amdhsa_user_sgpr_dispatch_ptr 0
		.amdhsa_user_sgpr_queue_ptr 0
		.amdhsa_user_sgpr_kernarg_segment_ptr 1
		.amdhsa_user_sgpr_dispatch_id 0
		.amdhsa_user_sgpr_private_segment_size 0
		.amdhsa_wavefront_size32 1
		.amdhsa_uses_dynamic_stack 0
		.amdhsa_enable_private_segment 0
		.amdhsa_system_sgpr_workgroup_id_x 1
		.amdhsa_system_sgpr_workgroup_id_y 0
		.amdhsa_system_sgpr_workgroup_id_z 0
		.amdhsa_system_sgpr_workgroup_info 0
		.amdhsa_system_vgpr_workitem_id 0
		.amdhsa_next_free_vgpr 25
		.amdhsa_next_free_sgpr 40
		.amdhsa_reserve_vcc 1
		.amdhsa_float_round_mode_32 0
		.amdhsa_float_round_mode_16_64 0
		.amdhsa_float_denorm_mode_32 3
		.amdhsa_float_denorm_mode_16_64 3
		.amdhsa_dx10_clamp 1
		.amdhsa_ieee_mode 1
		.amdhsa_fp16_overflow 0
		.amdhsa_workgroup_processor_mode 1
		.amdhsa_memory_ordered 1
		.amdhsa_forward_progress 0
		.amdhsa_shared_vgpr_count 0
		.amdhsa_exception_fp_ieee_invalid_op 0
		.amdhsa_exception_fp_denorm_src 0
		.amdhsa_exception_fp_ieee_div_zero 0
		.amdhsa_exception_fp_ieee_overflow 0
		.amdhsa_exception_fp_ieee_underflow 0
		.amdhsa_exception_fp_ieee_inexact 0
		.amdhsa_exception_int_div_zero 0
	.end_amdhsa_kernel
	.section	.text._ZN5aiter24add_rmsnorm_quant_kernelIDF16_DB8_Li256ELi8ELb1ELb1ELb1ELi1EEEvPT0_PT_PfS5_S5_S5_diiiiiiib,"axG",@progbits,_ZN5aiter24add_rmsnorm_quant_kernelIDF16_DB8_Li256ELi8ELb1ELb1ELb1ELi1EEEvPT0_PT_PfS5_S5_S5_diiiiiiib,comdat
.Lfunc_end9:
	.size	_ZN5aiter24add_rmsnorm_quant_kernelIDF16_DB8_Li256ELi8ELb1ELb1ELb1ELi1EEEvPT0_PT_PfS5_S5_S5_diiiiiiib, .Lfunc_end9-_ZN5aiter24add_rmsnorm_quant_kernelIDF16_DB8_Li256ELi8ELb1ELb1ELb1ELi1EEEvPT0_PT_PfS5_S5_S5_diiiiiiib
                                        ; -- End function
	.section	.AMDGPU.csdata,"",@progbits
; Kernel info:
; codeLenInByte = 3624
; NumSgprs: 42
; NumVgprs: 25
; ScratchSize: 0
; MemoryBound: 0
; FloatMode: 240
; IeeeMode: 1
; LDSByteSize: 64 bytes/workgroup (compile time only)
; SGPRBlocks: 5
; VGPRBlocks: 3
; NumSGPRsForWavesPerEU: 42
; NumVGPRsForWavesPerEU: 25
; Occupancy: 16
; WaveLimiterHint : 0
; COMPUTE_PGM_RSRC2:SCRATCH_EN: 0
; COMPUTE_PGM_RSRC2:USER_SGPR: 15
; COMPUTE_PGM_RSRC2:TRAP_HANDLER: 0
; COMPUTE_PGM_RSRC2:TGID_X_EN: 1
; COMPUTE_PGM_RSRC2:TGID_Y_EN: 0
; COMPUTE_PGM_RSRC2:TGID_Z_EN: 0
; COMPUTE_PGM_RSRC2:TIDIG_COMP_CNT: 0
	.section	.text._ZN5aiter24add_rmsnorm_quant_kernelItDB8_Li256ELi8ELb1ELb1ELb1ELi1EEEvPT0_PT_PfS5_S5_S5_diiiiiiib,"axG",@progbits,_ZN5aiter24add_rmsnorm_quant_kernelItDB8_Li256ELi8ELb1ELb1ELb1ELi1EEEvPT0_PT_PfS5_S5_S5_diiiiiiib,comdat
	.protected	_ZN5aiter24add_rmsnorm_quant_kernelItDB8_Li256ELi8ELb1ELb1ELb1ELi1EEEvPT0_PT_PfS5_S5_S5_diiiiiiib ; -- Begin function _ZN5aiter24add_rmsnorm_quant_kernelItDB8_Li256ELi8ELb1ELb1ELb1ELi1EEEvPT0_PT_PfS5_S5_S5_diiiiiiib
	.globl	_ZN5aiter24add_rmsnorm_quant_kernelItDB8_Li256ELi8ELb1ELb1ELb1ELi1EEEvPT0_PT_PfS5_S5_S5_diiiiiiib
	.p2align	8
	.type	_ZN5aiter24add_rmsnorm_quant_kernelItDB8_Li256ELi8ELb1ELb1ELb1ELi1EEEvPT0_PT_PfS5_S5_S5_diiiiiiib,@function
_ZN5aiter24add_rmsnorm_quant_kernelItDB8_Li256ELi8ELb1ELb1ELb1ELi1EEEvPT0_PT_PfS5_S5_S5_diiiiiiib: ; @_ZN5aiter24add_rmsnorm_quant_kernelItDB8_Li256ELi8ELb1ELb1ELb1ELi1EEEvPT0_PT_PfS5_S5_S5_diiiiiiib
; %bb.0:
	s_mov_b32 s2, s15
	s_load_b256 s[12:19], s[0:1], 0x38
	s_mov_b32 s3, 0
	s_waitcnt lgkmcnt(0)
	s_ashr_i32 s5, s12, 31
	s_mov_b32 s4, s12
	s_delay_alu instid0(SALU_CYCLE_1) | instskip(NEXT) | instid1(VALU_DEP_1)
	v_cmp_ge_i64_e64 s4, s[2:3], s[4:5]
	s_and_b32 vcc_lo, exec_lo, s4
	s_cbranch_vccnz .LBB10_44
; %bb.1:
	s_clause 0x1
	s_load_b256 s[4:11], s[0:1], 0x0
	s_load_b256 s[20:27], s[0:1], 0x20
	s_ashr_i32 s1, s14, 31
	s_waitcnt lgkmcnt(0)
	s_mul_hi_u32 s26, s14, s2
	s_mul_i32 s1, s1, s2
	s_mul_i32 s0, s14, s2
	s_add_i32 s1, s26, s1
	s_mul_hi_u32 s26, s15, s2
	s_lshl_b64 s[0:1], s[0:1], 1
	v_lshlrev_b32_e32 v19, 4, v0
	s_mul_i32 s14, s15, s2
	s_mov_b32 s31, -1
	s_delay_alu instid0(SALU_CYCLE_1)
	s_mov_b32 s39, s31
	s_add_u32 s28, s10, s0
	s_addc_u32 s0, s11, s1
	s_add_i32 s1, s13, 1
	s_ashr_i32 s10, s15, 31
	s_lshr_b32 s11, s1, 31
	s_mul_i32 s10, s10, s2
	s_add_i32 s1, s1, s11
	s_and_b32 s29, s0, 0xffff
	s_lshl_b32 s0, s1, 1
	s_add_i32 s15, s26, s10
	s_and_b32 s30, s0, -4
	s_lshl_b64 s[0:1], s[14:15], 1
	s_and_b32 s37, s23, 0xffff
	buffer_load_b128 v[5:8], v19, s[28:31], 0 offen glc slc
	s_add_u32 s28, s20, s0
	s_addc_u32 s0, s21, s1
	s_mov_b32 s36, s22
	s_and_b32 s29, s0, 0xffff
	s_mov_b32 s38, s30
	buffer_load_b128 v[9:12], v19, s[28:31], 0 offen glc slc
	s_ashr_i32 s0, s16, 31
	s_mul_hi_u32 s1, s16, s2
	s_mul_i32 s10, s0, s2
	s_mul_i32 s0, s16, s2
	s_add_i32 s1, s1, s10
	s_delay_alu instid0(SALU_CYCLE_1) | instskip(NEXT) | instid1(SALU_CYCLE_1)
	s_lshl_b64 s[0:1], s[0:1], 1
	s_add_u32 s28, s6, s0
	s_addc_u32 s1, s7, s1
	s_delay_alu instid0(SALU_CYCLE_1)
	s_and_b32 s29, s1, 0xffff
	s_waitcnt vmcnt(1)
	v_lshrrev_b32_e32 v15, 16, v7
	v_and_b32_e32 v17, 0xffff, v7
	v_lshrrev_b32_e32 v14, 16, v6
	v_lshrrev_b32_e32 v18, 16, v8
	s_waitcnt vmcnt(0)
	v_and_b32_e32 v7, 0xffff, v9
	v_lshrrev_b32_e32 v16, 16, v9
	s_delay_alu instid0(VALU_DEP_2) | instskip(SKIP_2) | instid1(VALU_DEP_4)
	v_cvt_f32_u32_e32 v20, v7
	v_and_b32_e32 v13, 0xffff, v5
	v_lshrrev_b32_e32 v5, 16, v5
	v_cvt_f32_u32_e32 v9, v16
	s_delay_alu instid0(VALU_DEP_2) | instskip(NEXT) | instid1(VALU_DEP_1)
	v_cvt_f32_u32_e32 v5, v5
	v_dual_add_f32 v7, v5, v9 :: v_dual_and_b32 v6, 0xffff, v6
	s_delay_alu instid0(VALU_DEP_1) | instskip(SKIP_3) | instid1(VALU_DEP_2)
	v_cvt_f32_u32_e32 v5, v6
	v_and_b32_e32 v16, 0xffff, v8
	v_cvt_f32_u32_e32 v8, v13
	v_lshrrev_b32_e32 v6, 16, v10
	v_add_f32_e32 v8, v8, v20
	v_mul_f32_e32 v20, v7, v7
	buffer_load_b128 v[1:4], v19, s[36:39], 0 offen
	v_cvt_f32_u32_e32 v6, v6
	v_dual_fmac_f32 v20, v8, v8 :: v_dual_and_b32 v13, 0xffff, v10
	v_cvt_f32_u32_e32 v10, v14
	s_delay_alu instid0(VALU_DEP_2) | instskip(NEXT) | instid1(VALU_DEP_2)
	v_cvt_f32_u32_e32 v9, v13
	v_add_f32_e32 v10, v10, v6
	v_cvt_f32_u32_e32 v6, v15
	s_delay_alu instid0(VALU_DEP_3) | instskip(SKIP_1) | instid1(VALU_DEP_2)
	v_add_f32_e32 v9, v5, v9
	v_cvt_f32_u32_e32 v5, v17
	v_dual_fmac_f32 v20, v9, v9 :: v_dual_and_b32 v13, 0xffff, v11
	v_lshrrev_b32_e32 v11, 16, v11
	s_delay_alu instid0(VALU_DEP_2) | instskip(NEXT) | instid1(VALU_DEP_3)
	v_fmac_f32_e32 v20, v10, v10
	v_cvt_f32_u32_e32 v13, v13
	v_and_b32_e32 v14, 0xffff, v12
	s_delay_alu instid0(VALU_DEP_4) | instskip(NEXT) | instid1(VALU_DEP_3)
	v_cvt_f32_u32_e32 v15, v11
	v_add_f32_e32 v11, v5, v13
	v_cvt_f32_u32_e32 v5, v16
	v_lshrrev_b32_e32 v13, 16, v12
	v_cvt_f32_u32_e32 v14, v14
	v_add_f32_e32 v12, v6, v15
	v_fmac_f32_e32 v20, v11, v11
	v_cvt_f32_u32_e32 v6, v18
	v_cvt_f32_u32_e32 v15, v13
	v_add_f32_e32 v13, v5, v14
	v_perm_b32 v17, v12, v11, 0x7060302
	v_fmac_f32_e32 v20, v12, v12
	v_perm_b32 v16, v10, v9, 0x7060302
	v_add_f32_e32 v14, v6, v15
	v_perm_b32 v15, v7, v8, 0x7060302
	s_delay_alu instid0(VALU_DEP_4) | instskip(NEXT) | instid1(VALU_DEP_1)
	v_fmac_f32_e32 v20, v13, v13
	v_fmac_f32_e32 v20, v14, v14
	s_delay_alu instid0(VALU_DEP_1) | instskip(NEXT) | instid1(VALU_DEP_1)
	v_mov_b32_dpp v5, v20 quad_perm:[1,0,3,2] row_mask:0xf bank_mask:0xf
	v_dual_add_f32 v5, v20, v5 :: v_dual_and_b32 v20, 31, v0
	v_perm_b32 v18, v14, v13, 0x7060302
	s_delay_alu instid0(VALU_DEP_2) | instskip(NEXT) | instid1(VALU_DEP_3)
	v_mov_b32_dpp v6, v5 quad_perm:[2,3,0,1] row_mask:0xf bank_mask:0xf
	v_cmp_eq_u32_e64 s0, 31, v20
	buffer_store_b128 v[15:18], v19, s[28:31], 0 offen glc slc
	;;#ASMSTART
	s_nop 0
	;;#ASMEND
	v_add_f32_e32 v5, v5, v6
	s_delay_alu instid0(VALU_DEP_1) | instskip(NEXT) | instid1(VALU_DEP_1)
	v_mov_b32_dpp v6, v5 row_xmask:7 row_mask:0xf bank_mask:0xf
	v_add_f32_e32 v5, v5, v6
	s_delay_alu instid0(VALU_DEP_1)
	v_mov_b32_dpp v6, v5 row_xmask:15 row_mask:0xf bank_mask:0xf
	s_and_saveexec_b32 s1, s0
	s_cbranch_execz .LBB10_3
; %bb.2:
	s_delay_alu instid0(VALU_DEP_1) | instskip(SKIP_2) | instid1(VALU_DEP_2)
	v_add_f32_e32 v5, v5, v6
	s_mov_b32 s6, 0x76543210
	v_lshrrev_b32_e32 v6, 3, v0
	v_permlanex16_b32 v15, v5, s6, 0xfedcba98 op_sel:[1,1]
	s_delay_alu instid0(VALU_DEP_1)
	v_dual_add_f32 v5, v5, v15 :: v_dual_and_b32 v6, 0x7c, v6
	ds_store_b32 v6, v5 offset:32
.LBB10_3:
	s_or_b32 exec_lo, exec_lo, s1
	v_and_b32_e32 v5, 7, v0
	s_waitcnt vmcnt(0) lgkmcnt(0)
	s_waitcnt_vscnt null, 0x0
	s_barrier
	buffer_gl0_inv
	v_cvt_f32_i32_e32 v16, s13
	v_lshlrev_b32_e32 v6, 2, v5
	s_cmp_lg_u32 s18, 0
	ds_load_b32 v5, v6 offset:32
	s_waitcnt lgkmcnt(0)
	v_mov_b32_dpp v15, v5 quad_perm:[1,0,3,2] row_mask:0xf bank_mask:0xf
	s_delay_alu instid0(VALU_DEP_1) | instskip(NEXT) | instid1(VALU_DEP_1)
	v_add_f32_e32 v5, v5, v15
	v_mov_b32_dpp v15, v5 quad_perm:[2,3,0,1] row_mask:0xf bank_mask:0xf
	s_delay_alu instid0(VALU_DEP_1) | instskip(NEXT) | instid1(VALU_DEP_1)
	v_add_f32_e32 v5, v5, v15
	v_mov_b32_dpp v15, v5 row_xmask:7 row_mask:0xf bank_mask:0xf
	s_delay_alu instid0(VALU_DEP_1) | instskip(NEXT) | instid1(VALU_DEP_1)
	v_add_f32_e32 v5, v5, v15
	v_div_scale_f32 v15, null, v16, v16, v5
	v_div_scale_f32 v19, vcc_lo, v5, v16, v5
	s_delay_alu instid0(VALU_DEP_2) | instskip(SKIP_2) | instid1(VALU_DEP_1)
	v_rcp_f32_e32 v17, v15
	s_waitcnt_depctr 0xfff
	v_fma_f32 v18, -v15, v17, 1.0
	v_fmac_f32_e32 v17, v18, v17
	s_delay_alu instid0(VALU_DEP_1) | instskip(NEXT) | instid1(VALU_DEP_1)
	v_mul_f32_e32 v18, v19, v17
	v_fma_f32 v20, -v15, v18, v19
	s_delay_alu instid0(VALU_DEP_1) | instskip(SKIP_1) | instid1(VALU_DEP_2)
	v_fmac_f32_e32 v18, v20, v17
	v_mov_b32_e32 v20, 0x2edbe6ff
	v_fma_f32 v15, -v15, v18, v19
	s_delay_alu instid0(VALU_DEP_1) | instskip(SKIP_2) | instid1(VALU_DEP_3)
	v_div_fmas_f32 v15, v15, v17, v18
	v_and_b32_e32 v18, 0xffff, v3
	v_lshrrev_b32_e32 v3, 16, v3
	v_div_fixup_f32 v5, v15, v16, v5
	s_delay_alu instid0(VALU_DEP_3) | instskip(NEXT) | instid1(VALU_DEP_3)
	v_cvt_f32_u32_e32 v18, v18
	v_cvt_f32_u32_e32 v3, v3
	s_delay_alu instid0(VALU_DEP_3) | instskip(NEXT) | instid1(VALU_DEP_1)
	v_cvt_f64_f32_e32 v[15:16], v5
	v_add_f64 v[15:16], v[15:16], s[24:25]
	s_delay_alu instid0(VALU_DEP_1) | instskip(SKIP_2) | instid1(VALU_DEP_2)
	v_cvt_f32_f64_e32 v5, v[15:16]
	v_and_b32_e32 v16, 0xffff, v1
	v_lshrrev_b32_e32 v1, 16, v1
	v_cvt_f32_u32_e32 v16, v16
	s_delay_alu instid0(VALU_DEP_2) | instskip(SKIP_2) | instid1(VALU_DEP_2)
	v_cvt_f32_u32_e32 v1, v1
	v_mul_f32_e32 v15, 0x4b800000, v5
	v_cmp_gt_f32_e32 vcc_lo, 0x800000, v5
	v_cndmask_b32_e32 v15, v5, v15, vcc_lo
	s_delay_alu instid0(VALU_DEP_1) | instskip(SKIP_2) | instid1(VALU_DEP_1)
	v_rsq_f32_e32 v15, v15
	s_waitcnt_depctr 0xfff
	v_mul_f32_e32 v21, 0x45800000, v15
	v_cndmask_b32_e32 v15, v15, v21, vcc_lo
	v_and_b32_e32 v17, 0xffff, v2
	v_lshrrev_b32_e32 v2, 16, v2
	v_and_b32_e32 v19, 0xffff, v4
	v_lshrrev_b32_e32 v4, 16, v4
	v_mul_f32_e32 v10, v15, v10
	s_delay_alu instid0(VALU_DEP_4) | instskip(NEXT) | instid1(VALU_DEP_4)
	v_cvt_f32_u32_e32 v2, v2
	v_cvt_f32_u32_e32 v19, v19
	s_delay_alu instid0(VALU_DEP_4) | instskip(NEXT) | instid1(VALU_DEP_3)
	v_cvt_f32_u32_e32 v21, v4
	v_dual_mul_f32 v10, v10, v2 :: v_dual_lshlrev_b32 v5, 3, v0
	v_mul_f32_e32 v4, v8, v15
	v_mul_f32_e32 v8, v15, v9
	v_cvt_f32_u32_e32 v17, v17
	v_mul_f32_e32 v22, v15, v11
	s_delay_alu instid0(VALU_DEP_2) | instskip(NEXT) | instid1(VALU_DEP_2)
	v_dual_mul_f32 v14, v15, v14 :: v_dual_mul_f32 v9, v8, v17
	v_dual_mul_f32 v7, v7, v15 :: v_dual_mul_f32 v8, v22, v18
	s_delay_alu instid0(VALU_DEP_1) | instskip(NEXT) | instid1(VALU_DEP_1)
	v_mul_f32_e32 v11, v7, v1
	v_dual_mul_f32 v13, v15, v13 :: v_dual_and_b32 v2, 0x7fffffff, v11
	v_mul_f32_e32 v23, v15, v12
	v_mul_f32_e32 v12, v4, v16
	s_delay_alu instid0(VALU_DEP_3) | instskip(SKIP_1) | instid1(VALU_DEP_4)
	v_dual_mul_f32 v4, v13, v19 :: v_dual_and_b32 v13, 0x7fffffff, v9
	v_and_b32_e32 v15, 0x7fffffff, v8
	v_mul_f32_e32 v7, v23, v3
	v_mul_f32_e32 v3, v14, v21
	v_and_b32_e32 v1, 0x7fffffff, v12
	;;#ASMSTART
	v_max3_f32 v1, v20, v1, v2

	;;#ASMEND
	v_and_b32_e32 v14, 0x7fffffff, v10
	v_and_b32_e32 v16, 0x7fffffff, v7
	;;#ASMSTART
	v_max3_f32 v1, v1, v13, v14

	;;#ASMEND
	v_and_b32_e32 v17, 0x7fffffff, v4
	v_and_b32_e32 v18, 0x7fffffff, v3
	;;#ASMSTART
	v_max3_f32 v1, v1, v15, v16

	;;#ASMEND
	;;#ASMSTART
	v_max3_f32 v13, v1, v17, v18

	;;#ASMEND
	s_cbranch_scc0 .LBB10_10
; %bb.4:
	s_ashr_i32 s11, s18, 31
	s_delay_alu instid0(SALU_CYCLE_1) | instskip(NEXT) | instid1(SALU_CYCLE_1)
	s_lshr_b32 s1, s11, 29
	s_add_i32 s1, s18, s1
	s_delay_alu instid0(SALU_CYCLE_1) | instskip(NEXT) | instid1(SALU_CYCLE_1)
	s_ashr_i32 s1, s1, 3
	s_cmp_lt_i32 s1, 8
	s_cbranch_scc1 .LBB10_11
; %bb.5:
	s_cmp_lt_i32 s1, 16
	s_cbranch_scc1 .LBB10_12
; %bb.6:
	;; [unrolled: 3-line block ×3, first 2 shown]
	v_mov_b32_e32 v1, v13
	s_cmp_eq_u32 s1, 32
	s_cbranch_scc0 .LBB10_9
; %bb.8:
	s_delay_alu instid0(VALU_DEP_1) | instskip(SKIP_1) | instid1(VALU_DEP_1)
	v_mov_b32_dpp v1, v13 quad_perm:[1,0,3,2] row_mask:0xf bank_mask:0xf
	s_mov_b32 s6, 0x76543210
	v_cmp_gt_f32_e32 vcc_lo, v13, v1
	v_cndmask_b32_e32 v1, v1, v13, vcc_lo
	s_delay_alu instid0(VALU_DEP_1) | instskip(NEXT) | instid1(VALU_DEP_1)
	v_mov_b32_dpp v2, v1 quad_perm:[2,3,0,1] row_mask:0xf bank_mask:0xf
	v_cmp_gt_f32_e32 vcc_lo, v1, v2
	v_cndmask_b32_e32 v1, v2, v1, vcc_lo
	s_delay_alu instid0(VALU_DEP_1) | instskip(NEXT) | instid1(VALU_DEP_1)
	v_mov_b32_dpp v2, v1 row_xmask:7 row_mask:0xf bank_mask:0xf
	v_cmp_gt_f32_e32 vcc_lo, v1, v2
	v_cndmask_b32_e32 v1, v2, v1, vcc_lo
	s_delay_alu instid0(VALU_DEP_1) | instskip(NEXT) | instid1(VALU_DEP_1)
	v_mov_b32_dpp v2, v1 row_xmask:15 row_mask:0xf bank_mask:0xf
	v_cmp_gt_f32_e32 vcc_lo, v1, v2
	v_cndmask_b32_e32 v1, v2, v1, vcc_lo
	s_delay_alu instid0(VALU_DEP_1) | instskip(NEXT) | instid1(VALU_DEP_1)
	v_permlanex16_b32 v2, v1, s6, 0xfedcba98 op_sel:[1,1]
	v_cmp_gt_f32_e32 vcc_lo, v1, v2
	v_cndmask_b32_e32 v1, v2, v1, vcc_lo
.LBB10_9:
	s_mov_b32 s6, 0
	s_branch .LBB10_14
.LBB10_10:
	s_mov_b32 s1, 0
                                        ; implicit-def: $vgpr14
                                        ; implicit-def: $vgpr1_vgpr2
	s_and_b32 vcc_lo, exec_lo, s31
	s_cbranch_vccnz .LBB10_38
	s_branch .LBB10_41
.LBB10_11:
                                        ; implicit-def: $vgpr1
	s_branch .LBB10_21
.LBB10_12:
                                        ; implicit-def: $vgpr1
	s_branch .LBB10_18
.LBB10_13:
	s_mov_b32 s6, -1
                                        ; implicit-def: $vgpr1
.LBB10_14:
	s_delay_alu instid0(SALU_CYCLE_1)
	s_and_not1_b32 vcc_lo, exec_lo, s6
	s_cbranch_vccnz .LBB10_17
; %bb.15:
	v_mov_b32_e32 v1, v13
	s_cmp_eq_u32 s1, 16
	s_cbranch_scc0 .LBB10_17
; %bb.16:
	s_delay_alu instid0(VALU_DEP_1) | instskip(NEXT) | instid1(VALU_DEP_1)
	v_mov_b32_dpp v1, v13 quad_perm:[1,0,3,2] row_mask:0xf bank_mask:0xf
	v_cmp_gt_f32_e32 vcc_lo, v13, v1
	v_cndmask_b32_e32 v1, v1, v13, vcc_lo
	s_delay_alu instid0(VALU_DEP_1) | instskip(NEXT) | instid1(VALU_DEP_1)
	v_mov_b32_dpp v2, v1 quad_perm:[2,3,0,1] row_mask:0xf bank_mask:0xf
	v_cmp_gt_f32_e32 vcc_lo, v1, v2
	v_cndmask_b32_e32 v1, v2, v1, vcc_lo
	s_delay_alu instid0(VALU_DEP_1) | instskip(NEXT) | instid1(VALU_DEP_1)
	v_mov_b32_dpp v2, v1 row_half_mirror row_mask:0xf bank_mask:0xf
	v_cmp_gt_f32_e32 vcc_lo, v1, v2
	v_cndmask_b32_e32 v1, v2, v1, vcc_lo
	s_delay_alu instid0(VALU_DEP_1) | instskip(NEXT) | instid1(VALU_DEP_1)
	v_mov_b32_dpp v2, v1 row_mirror row_mask:0xf bank_mask:0xf
	v_cmp_gt_f32_e32 vcc_lo, v1, v2
	v_cndmask_b32_e32 v1, v2, v1, vcc_lo
.LBB10_17:
	s_cbranch_execnz .LBB10_20
.LBB10_18:
	v_mov_b32_e32 v1, v13
	s_cmp_eq_u32 s1, 8
	s_cbranch_scc0 .LBB10_20
; %bb.19:
	s_delay_alu instid0(VALU_DEP_1) | instskip(NEXT) | instid1(VALU_DEP_1)
	v_mov_b32_dpp v1, v13 quad_perm:[1,0,3,2] row_mask:0xf bank_mask:0xf
	v_cmp_gt_f32_e32 vcc_lo, v13, v1
	v_cndmask_b32_e32 v1, v1, v13, vcc_lo
	s_delay_alu instid0(VALU_DEP_1) | instskip(NEXT) | instid1(VALU_DEP_1)
	v_mov_b32_dpp v2, v1 quad_perm:[2,3,0,1] row_mask:0xf bank_mask:0xf
	v_cmp_gt_f32_e32 vcc_lo, v1, v2
	v_cndmask_b32_e32 v1, v2, v1, vcc_lo
	s_delay_alu instid0(VALU_DEP_1) | instskip(NEXT) | instid1(VALU_DEP_1)
	v_mov_b32_dpp v2, v1 row_half_mirror row_mask:0xf bank_mask:0xf
	v_cmp_gt_f32_e32 vcc_lo, v1, v2
	v_cndmask_b32_e32 v1, v2, v1, vcc_lo
.LBB10_20:
	s_cbranch_execnz .LBB10_28
.LBB10_21:
	s_cmp_lt_i32 s1, 4
	s_cbranch_scc1 .LBB10_24
; %bb.22:
	v_mov_b32_e32 v1, v13
	s_cmp_eq_u32 s1, 4
	s_cbranch_scc0 .LBB10_25
; %bb.23:
	s_delay_alu instid0(VALU_DEP_1) | instskip(NEXT) | instid1(VALU_DEP_1)
	v_mov_b32_dpp v1, v13 quad_perm:[1,0,3,2] row_mask:0xf bank_mask:0xf
	v_cmp_gt_f32_e32 vcc_lo, v13, v1
	v_cndmask_b32_e32 v1, v1, v13, vcc_lo
	s_delay_alu instid0(VALU_DEP_1) | instskip(NEXT) | instid1(VALU_DEP_1)
	v_mov_b32_dpp v2, v1 quad_perm:[2,3,0,1] row_mask:0xf bank_mask:0xf
	v_cmp_gt_f32_e32 vcc_lo, v1, v2
	v_cndmask_b32_e32 v1, v2, v1, vcc_lo
	s_cbranch_execz .LBB10_26
	s_branch .LBB10_28
.LBB10_24:
                                        ; implicit-def: $vgpr1
	s_branch .LBB10_26
.LBB10_25:
	s_cbranch_execnz .LBB10_28
.LBB10_26:
	v_mov_b32_e32 v1, v13
	s_cmp_lg_u32 s1, 2
	s_cbranch_scc1 .LBB10_28
; %bb.27:
	s_delay_alu instid0(VALU_DEP_1) | instskip(NEXT) | instid1(VALU_DEP_1)
	v_mov_b32_dpp v1, v13 quad_perm:[1,0,3,2] row_mask:0xf bank_mask:0xf
	v_cmp_gt_f32_e32 vcc_lo, v13, v1
	v_cndmask_b32_e32 v1, v1, v13, vcc_lo
.LBB10_28:
	v_cvt_f32_u32_e32 v2, s1
	s_sub_i32 s6, 0, s1
	s_mov_b32 s31, 0
	s_delay_alu instid0(VALU_DEP_1) | instskip(SKIP_2) | instid1(VALU_DEP_1)
	v_rcp_iflag_f32_e32 v2, v2
	s_waitcnt_depctr 0xfff
	v_mul_f32_e32 v2, 0x4f7ffffe, v2
	v_cvt_u32_f32_e32 v2, v2
	s_delay_alu instid0(VALU_DEP_1) | instskip(NEXT) | instid1(VALU_DEP_1)
	v_mul_lo_u32 v14, s6, v2
	v_mul_hi_u32 v14, v2, v14
	s_delay_alu instid0(VALU_DEP_1) | instskip(NEXT) | instid1(VALU_DEP_1)
	v_add_nc_u32_e32 v2, v2, v14
	v_mul_hi_u32 v2, v0, v2
	s_delay_alu instid0(VALU_DEP_1) | instskip(NEXT) | instid1(VALU_DEP_1)
	v_mul_lo_u32 v14, v2, s1
	v_sub_nc_u32_e32 v14, v0, v14
	s_delay_alu instid0(VALU_DEP_1) | instskip(SKIP_1) | instid1(VALU_DEP_2)
	v_subrev_nc_u32_e32 v16, s1, v14
	v_cmp_le_u32_e32 vcc_lo, s1, v14
	v_dual_cndmask_b32 v14, v14, v16 :: v_dual_add_nc_u32 v15, 1, v2
	s_delay_alu instid0(VALU_DEP_1) | instskip(NEXT) | instid1(VALU_DEP_2)
	v_cndmask_b32_e32 v2, v2, v15, vcc_lo
	v_cmp_le_u32_e32 vcc_lo, s1, v14
	s_delay_alu instid0(VALU_DEP_2) | instskip(NEXT) | instid1(VALU_DEP_1)
	v_dual_mul_f32 v14, 0x3b124925, v1 :: v_dual_add_nc_u32 v15, 1, v2
	v_cndmask_b32_e32 v15, v2, v15, vcc_lo
	v_cmp_gt_u32_e32 vcc_lo, s13, v5
	s_delay_alu instid0(VALU_DEP_2) | instskip(NEXT) | instid1(VALU_DEP_1)
	v_mul_lo_u32 v2, v15, s1
	v_sub_nc_u32_e32 v2, v0, v2
	s_delay_alu instid0(VALU_DEP_1) | instskip(NEXT) | instid1(VALU_DEP_1)
	v_cmp_eq_u32_e64 s1, 0, v2
                                        ; implicit-def: $vgpr1_vgpr2
	s_and_b32 s6, s1, vcc_lo
	s_mov_b32 s1, 0
	s_and_saveexec_b32 s7, s6
	s_delay_alu instid0(SALU_CYCLE_1)
	s_xor_b32 s16, exec_lo, s7
	s_cbranch_execz .LBB10_37
; %bb.29:
	s_bitcmp0_b32 s19, 0
	s_mov_b32 s10, 0
	s_cbranch_scc0 .LBB10_34
; %bb.30:
	s_ashr_i32 s1, s13, 31
	s_mul_hi_u32 s7, s13, s2
	s_mul_i32 s1, s1, s2
	s_mul_i32 s6, s13, s2
	s_add_i32 s7, s7, s1
	s_mov_b32 s19, s11
	s_delay_alu instid0(SALU_CYCLE_1) | instskip(NEXT) | instid1(SALU_CYCLE_1)
	s_or_b64 s[14:15], s[6:7], s[18:19]
	s_mov_b32 s11, s15
	s_delay_alu instid0(SALU_CYCLE_1)
	s_cmp_lg_u64 s[10:11], 0
	s_cbranch_scc0 .LBB10_45
; %bb.31:
	s_add_u32 s14, s18, s19
	s_mov_b32 s10, s19
	s_mov_b32 s11, s19
	s_addc_u32 s15, s19, s19
	s_delay_alu instid0(SALU_CYCLE_1) | instskip(NEXT) | instid1(SALU_CYCLE_1)
	s_xor_b64 s[14:15], s[14:15], s[10:11]
	v_cvt_f32_u32_e32 v1, s14
	v_cvt_f32_u32_e32 v2, s15
	s_sub_u32 s20, 0, s14
	s_subb_u32 s21, 0, s15
	s_delay_alu instid0(VALU_DEP_1) | instskip(NEXT) | instid1(VALU_DEP_1)
	v_fmamk_f32 v1, v2, 0x4f800000, v1
	v_rcp_f32_e32 v1, v1
	s_waitcnt_depctr 0xfff
	v_mul_f32_e32 v1, 0x5f7ffffc, v1
	s_delay_alu instid0(VALU_DEP_1) | instskip(NEXT) | instid1(VALU_DEP_1)
	v_mul_f32_e32 v2, 0x2f800000, v1
	v_trunc_f32_e32 v2, v2
	s_delay_alu instid0(VALU_DEP_1) | instskip(SKIP_1) | instid1(VALU_DEP_2)
	v_fmamk_f32 v1, v2, 0xcf800000, v1
	v_cvt_u32_f32_e32 v2, v2
	v_cvt_u32_f32_e32 v1, v1
	s_delay_alu instid0(VALU_DEP_2) | instskip(NEXT) | instid1(VALU_DEP_2)
	v_readfirstlane_b32 s1, v2
	v_readfirstlane_b32 s19, v1
	s_delay_alu instid0(VALU_DEP_2) | instskip(NEXT) | instid1(VALU_DEP_1)
	s_mul_i32 s22, s20, s1
	s_mul_hi_u32 s24, s20, s19
	s_mul_i32 s23, s21, s19
	s_add_i32 s22, s24, s22
	s_mul_i32 s25, s20, s19
	s_add_i32 s22, s22, s23
	s_mul_hi_u32 s24, s19, s25
	s_mul_hi_u32 s26, s1, s25
	s_mul_i32 s23, s1, s25
	s_mul_hi_u32 s25, s19, s22
	s_mul_i32 s19, s19, s22
	s_mul_hi_u32 s27, s1, s22
	s_add_u32 s19, s24, s19
	s_addc_u32 s24, 0, s25
	s_add_u32 s19, s19, s23
	s_mul_i32 s22, s1, s22
	s_addc_u32 s19, s24, s26
	s_addc_u32 s23, s27, 0
	s_add_u32 s19, s19, s22
	s_addc_u32 s22, 0, s23
	v_add_co_u32 v1, s19, v1, s19
	s_delay_alu instid0(VALU_DEP_1) | instskip(SKIP_1) | instid1(VALU_DEP_1)
	s_cmp_lg_u32 s19, 0
	s_addc_u32 s1, s1, s22
	v_readfirstlane_b32 s19, v1
	s_mul_i32 s22, s20, s1
	s_delay_alu instid0(VALU_DEP_1)
	s_mul_hi_u32 s23, s20, s19
	s_mul_i32 s21, s21, s19
	s_add_i32 s22, s23, s22
	s_mul_i32 s20, s20, s19
	s_add_i32 s22, s22, s21
	s_mul_hi_u32 s23, s1, s20
	s_mul_i32 s24, s1, s20
	s_mul_hi_u32 s20, s19, s20
	s_mul_hi_u32 s25, s19, s22
	s_mul_i32 s19, s19, s22
	s_mul_hi_u32 s21, s1, s22
	s_add_u32 s19, s20, s19
	s_addc_u32 s20, 0, s25
	s_add_u32 s19, s19, s24
	s_mul_i32 s22, s1, s22
	s_addc_u32 s19, s20, s23
	s_addc_u32 s20, s21, 0
	s_add_u32 s19, s19, s22
	s_addc_u32 s20, 0, s20
	v_add_co_u32 v1, s19, v1, s19
	s_delay_alu instid0(VALU_DEP_1) | instskip(SKIP_2) | instid1(SALU_CYCLE_1)
	s_cmp_lg_u32 s19, 0
	s_addc_u32 s1, s1, s20
	s_ashr_i32 s20, s7, 31
	s_add_u32 s22, s6, s20
	s_addc_u32 s23, s7, s20
	v_readfirstlane_b32 s7, v1
	s_mov_b32 s21, s20
	s_delay_alu instid0(SALU_CYCLE_1) | instskip(NEXT) | instid1(SALU_CYCLE_1)
	s_xor_b64 s[22:23], s[22:23], s[20:21]
	s_mul_i32 s24, s22, s1
	s_delay_alu instid0(VALU_DEP_1)
	s_mul_hi_u32 s25, s22, s7
	s_mul_hi_u32 s19, s22, s1
	s_mul_hi_u32 s27, s23, s7
	s_mul_i32 s7, s23, s7
	s_add_u32 s24, s25, s24
	s_addc_u32 s19, 0, s19
	s_mul_hi_u32 s26, s23, s1
	s_add_u32 s7, s24, s7
	s_mul_i32 s1, s23, s1
	s_addc_u32 s7, s19, s27
	s_addc_u32 s19, s26, 0
	s_add_u32 s7, s7, s1
	s_addc_u32 s19, 0, s19
	s_mul_i32 s26, s14, s7
	s_mul_hi_u32 s1, s14, s7
	s_mul_i32 s25, s14, s19
	v_sub_co_u32 v1, s22, s22, s26
	s_mul_i32 s24, s15, s7
	s_add_i32 s1, s1, s25
	s_delay_alu instid0(SALU_CYCLE_1) | instskip(NEXT) | instid1(VALU_DEP_1)
	s_add_i32 s1, s1, s24
	v_sub_co_u32 v2, s25, v1, s14
	s_sub_i32 s24, s23, s1
	s_cmp_lg_u32 s22, 0
	s_subb_u32 s24, s24, s15
	s_cmp_lg_u32 s25, 0
	v_cmp_le_u32_e32 vcc_lo, s14, v2
	s_subb_u32 s24, s24, 0
	s_delay_alu instid0(SALU_CYCLE_1)
	s_cmp_ge_u32 s24, s15
	v_cndmask_b32_e64 v2, 0, -1, vcc_lo
	s_cselect_b32 s25, -1, 0
	s_cmp_eq_u32 s24, s15
	s_cselect_b32 vcc_lo, -1, 0
	s_add_u32 s24, s7, 1
	v_cndmask_b32_e32 v2, s25, v2, vcc_lo
	s_addc_u32 s25, s19, 0
	s_add_u32 s26, s7, 2
	s_addc_u32 s27, s19, 0
	s_cmp_lg_u32 s22, 0
	v_cmp_le_u32_e32 vcc_lo, s14, v1
	s_subb_u32 s1, s23, s1
	v_mov_b32_e32 v16, s26
	s_cmp_ge_u32 s1, s15
	v_cndmask_b32_e64 v1, 0, -1, vcc_lo
	s_cselect_b32 s14, -1, 0
	s_cmp_eq_u32 s1, s15
	v_cmp_ne_u32_e32 vcc_lo, 0, v2
	v_mov_b32_e32 v2, s27
	s_cselect_b32 s1, -1, 0
	s_xor_b64 s[10:11], s[20:21], s[10:11]
	v_cndmask_b32_e64 v1, s14, v1, s1
	v_cndmask_b32_e32 v16, s24, v16, vcc_lo
	v_cndmask_b32_e32 v2, s25, v2, vcc_lo
	s_delay_alu instid0(VALU_DEP_3) | instskip(NEXT) | instid1(VALU_DEP_2)
	v_cmp_ne_u32_e32 vcc_lo, 0, v1
	v_cndmask_b32_e32 v1, s19, v2, vcc_lo
	s_delay_alu instid0(VALU_DEP_4) | instskip(NEXT) | instid1(VALU_DEP_2)
	v_cndmask_b32_e32 v2, s7, v16, vcc_lo
	v_xor_b32_e32 v16, s11, v1
	s_delay_alu instid0(VALU_DEP_2) | instskip(NEXT) | instid1(VALU_DEP_1)
	v_xor_b32_e32 v2, s10, v2
	v_sub_co_u32 v1, vcc_lo, v2, s10
	s_delay_alu instid0(VALU_DEP_3)
	v_subrev_co_ci_u32_e32 v2, vcc_lo, s11, v16, vcc_lo
	s_cbranch_execnz .LBB10_33
.LBB10_32:
	v_cvt_f32_u32_e32 v1, s18
	s_sub_i32 s7, 0, s18
	s_delay_alu instid0(VALU_DEP_1) | instskip(SKIP_2) | instid1(VALU_DEP_1)
	v_rcp_iflag_f32_e32 v1, v1
	s_waitcnt_depctr 0xfff
	v_mul_f32_e32 v1, 0x4f7ffffe, v1
	v_cvt_u32_f32_e32 v1, v1
	s_delay_alu instid0(VALU_DEP_1) | instskip(NEXT) | instid1(VALU_DEP_1)
	v_readfirstlane_b32 s1, v1
	s_mul_i32 s7, s7, s1
	s_delay_alu instid0(SALU_CYCLE_1) | instskip(NEXT) | instid1(SALU_CYCLE_1)
	s_mul_hi_u32 s7, s1, s7
	s_add_i32 s1, s1, s7
	s_delay_alu instid0(SALU_CYCLE_1) | instskip(NEXT) | instid1(SALU_CYCLE_1)
	s_mul_hi_u32 s1, s6, s1
	s_mul_i32 s7, s1, s18
	s_delay_alu instid0(SALU_CYCLE_1)
	s_sub_i32 s6, s6, s7
	s_add_i32 s7, s1, 1
	s_sub_i32 s10, s6, s18
	s_cmp_ge_u32 s6, s18
	s_cselect_b32 s1, s7, s1
	s_cselect_b32 s6, s10, s6
	s_add_i32 s10, s1, 1
	s_cmp_ge_u32 s6, s18
	s_mov_b32 s7, 0
	s_cselect_b32 s6, s10, s1
	s_delay_alu instid0(SALU_CYCLE_1)
	v_dual_mov_b32 v1, s6 :: v_dual_mov_b32 v2, s7
.LBB10_33:
	s_delay_alu instid0(VALU_DEP_1) | instskip(NEXT) | instid1(VALU_DEP_2)
	v_add_co_u32 v1, vcc_lo, v1, v15
	v_add_co_ci_u32_e32 v2, vcc_lo, 0, v2, vcc_lo
	s_branch .LBB10_36
.LBB10_34:
                                        ; implicit-def: $vgpr1_vgpr2
	s_cbranch_execz .LBB10_36
; %bb.35:
	v_mul_lo_u32 v1, v15, s12
	s_delay_alu instid0(VALU_DEP_1) | instskip(SKIP_1) | instid1(VALU_DEP_2)
	v_ashrrev_i32_e32 v2, 31, v1
	v_add_co_u32 v1, vcc_lo, v1, s2
	v_add_co_ci_u32_e32 v2, vcc_lo, 0, v2, vcc_lo
.LBB10_36:
	s_mov_b32 s1, exec_lo
.LBB10_37:
	s_or_b32 exec_lo, exec_lo, s16
	s_delay_alu instid0(SALU_CYCLE_1)
	s_and_b32 vcc_lo, exec_lo, s31
	s_cbranch_vccz .LBB10_41
.LBB10_38:
	v_mov_b32_dpp v1, v13 quad_perm:[1,0,3,2] row_mask:0xf bank_mask:0xf
	s_delay_alu instid0(VALU_DEP_1) | instskip(SKIP_1) | instid1(VALU_DEP_1)
	v_cmp_gt_f32_e32 vcc_lo, v13, v1
	v_cndmask_b32_e32 v1, v1, v13, vcc_lo
	v_mov_b32_dpp v2, v1 quad_perm:[2,3,0,1] row_mask:0xf bank_mask:0xf
	s_delay_alu instid0(VALU_DEP_1) | instskip(SKIP_1) | instid1(VALU_DEP_1)
	v_cmp_gt_f32_e32 vcc_lo, v1, v2
	v_cndmask_b32_e32 v1, v2, v1, vcc_lo
	v_mov_b32_dpp v2, v1 row_xmask:7 row_mask:0xf bank_mask:0xf
	s_delay_alu instid0(VALU_DEP_1) | instskip(SKIP_1) | instid1(VALU_DEP_1)
	v_cmp_gt_f32_e32 vcc_lo, v1, v2
	v_cndmask_b32_e32 v1, v2, v1, vcc_lo
	v_mov_b32_dpp v2, v1 row_xmask:15 row_mask:0xf bank_mask:0xf
	s_delay_alu instid0(VALU_DEP_1)
	v_cmp_gt_f32_e32 vcc_lo, v1, v2
	s_and_saveexec_b32 s1, s0
	s_cbranch_execz .LBB10_40
; %bb.39:
	v_cndmask_b32_e32 v1, v2, v1, vcc_lo
	v_lshrrev_b32_e32 v2, 3, v0
	s_mov_b32 s0, 0x76543210
	s_delay_alu instid0(VALU_DEP_1) | instskip(NEXT) | instid1(VALU_DEP_3)
	v_and_b32_e32 v2, 0x7c, v2
	v_permlanex16_b32 v13, v1, s0, 0xfedcba98 op_sel:[1,1]
	s_delay_alu instid0(VALU_DEP_1)
	v_cmp_gt_f32_e32 vcc_lo, v1, v13
	v_cndmask_b32_e32 v1, v13, v1, vcc_lo
	ds_store_b32 v2, v1
.LBB10_40:
	s_or_b32 exec_lo, exec_lo, s1
	s_waitcnt lgkmcnt(0)
	s_barrier
	buffer_gl0_inv
	ds_load_b32 v1, v6
	v_cmp_eq_u32_e64 s1, 0, v0
	s_waitcnt lgkmcnt(0)
	v_mov_b32_dpp v2, v1 quad_perm:[1,0,3,2] row_mask:0xf bank_mask:0xf
	s_delay_alu instid0(VALU_DEP_1) | instskip(SKIP_1) | instid1(VALU_DEP_1)
	v_cmp_gt_f32_e32 vcc_lo, v1, v2
	v_cndmask_b32_e32 v1, v2, v1, vcc_lo
	v_mov_b32_dpp v2, v1 quad_perm:[2,3,0,1] row_mask:0xf bank_mask:0xf
	s_delay_alu instid0(VALU_DEP_1) | instskip(SKIP_1) | instid1(VALU_DEP_1)
	v_cmp_gt_f32_e32 vcc_lo, v1, v2
	v_cndmask_b32_e32 v1, v2, v1, vcc_lo
	v_mov_b32_dpp v2, v1 row_xmask:7 row_mask:0xf bank_mask:0xf
	s_delay_alu instid0(VALU_DEP_1) | instskip(SKIP_1) | instid1(VALU_DEP_1)
	v_cmp_gt_f32_e32 vcc_lo, v1, v2
	v_cndmask_b32_e32 v1, v2, v1, vcc_lo
	v_dual_mul_f32 v14, 0x3b124925, v1 :: v_dual_mov_b32 v1, s2
	v_mov_b32_e32 v2, s3
.LBB10_41:
	s_and_saveexec_b32 s0, s1
	s_cbranch_execz .LBB10_43
; %bb.42:
	s_delay_alu instid0(VALU_DEP_1) | instskip(NEXT) | instid1(VALU_DEP_1)
	v_lshlrev_b64 v[0:1], 2, v[1:2]
	v_add_co_u32 v0, vcc_lo, s8, v0
	s_delay_alu instid0(VALU_DEP_2)
	v_add_co_ci_u32_e32 v1, vcc_lo, s9, v1, vcc_lo
	global_store_b32 v[0:1], v14, off
.LBB10_43:
	s_or_b32 exec_lo, exec_lo, s0
	;;#ASMSTART
	v_rcp_f32 v0, v14
	;;#ASMEND
	v_dual_mul_f32 v1, v12, v0 :: v_dual_mov_b32 v6, 0xc3e00000
	v_dual_mul_f32 v2, v11, v0 :: v_dual_mov_b32 v11, 0x43e00000
	v_mul_f32_e32 v9, v9, v0
	v_mul_f32_e32 v10, v10, v0
	;;#ASMSTART
	v_med3_f32 v1, v1, v6, v11
v_med3_f32 v2, v2, v6, v11
v_cvt_pk_fp8_f32 v12, v1, v2
	;;#ASMEND
	;;#ASMSTART
	v_med3_f32 v9, v9, v6, v11
v_med3_f32 v10, v10, v6, v11
v_cvt_pk_fp8_f32 v1, v9, v10
	;;#ASMEND
	v_perm_b32 v2, v1, v12, 0x5040100
	v_and_b32_e32 v1, 0xffffff00, v1
	s_add_i32 s0, s13, 3
	v_mul_f32_e32 v7, v7, v0
	s_ashr_i32 s7, s0, 31
	v_lshrrev_b32_e32 v9, 16, v2
	v_mul_f32_e32 v8, v8, v0
	s_ashr_i32 s1, s17, 31
	s_lshr_b32 s7, s7, 30
	s_mul_hi_u32 s3, s17, s2
	v_and_b32_e32 v9, 0xff, v9
	s_add_i32 s0, s0, s7
	s_mul_i32 s1, s1, s2
	s_mul_i32 s6, s17, s2
	s_and_b32 s2, s0, -4
	v_or_b32_e32 v1, v9, v1
	v_mul_f32_e32 v4, v4, v0
	v_mul_f32_e32 v0, v3, v0
	;;#ASMSTART
	v_med3_f32 v8, v8, v6, v11
v_med3_f32 v7, v7, v6, v11
v_cvt_pk_fp8_f32 v3, v8, v7
	;;#ASMEND
	s_add_i32 s3, s3, s1
	v_lshlrev_b32_e32 v1, 16, v1
	;;#ASMSTART
	v_med3_f32 v4, v4, v6, v11
v_med3_f32 v0, v0, v6, v11
v_cvt_pk_fp8_f32 v6, v4, v0
	;;#ASMEND
	v_lshlrev_b32_e32 v4, 16, v6
	s_add_u32 s0, s4, s6
	s_addc_u32 s1, s5, s3
	v_and_or_b32 v0, 0xffff, v2, v1
	s_and_b32 s1, s1, 0xffff
	v_and_or_b32 v1, 0xffff, v3, v4
	s_mov_b32 s3, -1
	buffer_store_b64 v[0:1], v5, s[0:3], 0 offen
	;;#ASMSTART
	s_nop 0
	;;#ASMEND
.LBB10_44:
	s_nop 0
	s_sendmsg sendmsg(MSG_DEALLOC_VGPRS)
	s_endpgm
.LBB10_45:
                                        ; implicit-def: $vgpr1_vgpr2
	s_branch .LBB10_32
	.section	.rodata,"a",@progbits
	.p2align	6, 0x0
	.amdhsa_kernel _ZN5aiter24add_rmsnorm_quant_kernelItDB8_Li256ELi8ELb1ELb1ELb1ELi1EEEvPT0_PT_PfS5_S5_S5_diiiiiiib
		.amdhsa_group_segment_fixed_size 64
		.amdhsa_private_segment_fixed_size 0
		.amdhsa_kernarg_size 88
		.amdhsa_user_sgpr_count 15
		.amdhsa_user_sgpr_dispatch_ptr 0
		.amdhsa_user_sgpr_queue_ptr 0
		.amdhsa_user_sgpr_kernarg_segment_ptr 1
		.amdhsa_user_sgpr_dispatch_id 0
		.amdhsa_user_sgpr_private_segment_size 0
		.amdhsa_wavefront_size32 1
		.amdhsa_uses_dynamic_stack 0
		.amdhsa_enable_private_segment 0
		.amdhsa_system_sgpr_workgroup_id_x 1
		.amdhsa_system_sgpr_workgroup_id_y 0
		.amdhsa_system_sgpr_workgroup_id_z 0
		.amdhsa_system_sgpr_workgroup_info 0
		.amdhsa_system_vgpr_workitem_id 0
		.amdhsa_next_free_vgpr 24
		.amdhsa_next_free_sgpr 40
		.amdhsa_reserve_vcc 1
		.amdhsa_float_round_mode_32 0
		.amdhsa_float_round_mode_16_64 0
		.amdhsa_float_denorm_mode_32 3
		.amdhsa_float_denorm_mode_16_64 3
		.amdhsa_dx10_clamp 1
		.amdhsa_ieee_mode 1
		.amdhsa_fp16_overflow 0
		.amdhsa_workgroup_processor_mode 1
		.amdhsa_memory_ordered 1
		.amdhsa_forward_progress 0
		.amdhsa_shared_vgpr_count 0
		.amdhsa_exception_fp_ieee_invalid_op 0
		.amdhsa_exception_fp_denorm_src 0
		.amdhsa_exception_fp_ieee_div_zero 0
		.amdhsa_exception_fp_ieee_overflow 0
		.amdhsa_exception_fp_ieee_underflow 0
		.amdhsa_exception_fp_ieee_inexact 0
		.amdhsa_exception_int_div_zero 0
	.end_amdhsa_kernel
	.section	.text._ZN5aiter24add_rmsnorm_quant_kernelItDB8_Li256ELi8ELb1ELb1ELb1ELi1EEEvPT0_PT_PfS5_S5_S5_diiiiiiib,"axG",@progbits,_ZN5aiter24add_rmsnorm_quant_kernelItDB8_Li256ELi8ELb1ELb1ELb1ELi1EEEvPT0_PT_PfS5_S5_S5_diiiiiiib,comdat
.Lfunc_end10:
	.size	_ZN5aiter24add_rmsnorm_quant_kernelItDB8_Li256ELi8ELb1ELb1ELb1ELi1EEEvPT0_PT_PfS5_S5_S5_diiiiiiib, .Lfunc_end10-_ZN5aiter24add_rmsnorm_quant_kernelItDB8_Li256ELi8ELb1ELb1ELb1ELi1EEEvPT0_PT_PfS5_S5_S5_diiiiiiib
                                        ; -- End function
	.section	.AMDGPU.csdata,"",@progbits
; Kernel info:
; codeLenInByte = 3736
; NumSgprs: 42
; NumVgprs: 24
; ScratchSize: 0
; MemoryBound: 0
; FloatMode: 240
; IeeeMode: 1
; LDSByteSize: 64 bytes/workgroup (compile time only)
; SGPRBlocks: 5
; VGPRBlocks: 2
; NumSGPRsForWavesPerEU: 42
; NumVGPRsForWavesPerEU: 24
; Occupancy: 16
; WaveLimiterHint : 0
; COMPUTE_PGM_RSRC2:SCRATCH_EN: 0
; COMPUTE_PGM_RSRC2:USER_SGPR: 15
; COMPUTE_PGM_RSRC2:TRAP_HANDLER: 0
; COMPUTE_PGM_RSRC2:TGID_X_EN: 1
; COMPUTE_PGM_RSRC2:TGID_Y_EN: 0
; COMPUTE_PGM_RSRC2:TGID_Z_EN: 0
; COMPUTE_PGM_RSRC2:TIDIG_COMP_CNT: 0
	.section	.text._ZN5aiter24add_rmsnorm_quant_kernelIDF16_DB8_Li256ELi8ELb1ELb1ELb0ELi1EEEvPT0_PT_PfS5_S5_S5_diiiiiiib,"axG",@progbits,_ZN5aiter24add_rmsnorm_quant_kernelIDF16_DB8_Li256ELi8ELb1ELb1ELb0ELi1EEEvPT0_PT_PfS5_S5_S5_diiiiiiib,comdat
	.protected	_ZN5aiter24add_rmsnorm_quant_kernelIDF16_DB8_Li256ELi8ELb1ELb1ELb0ELi1EEEvPT0_PT_PfS5_S5_S5_diiiiiiib ; -- Begin function _ZN5aiter24add_rmsnorm_quant_kernelIDF16_DB8_Li256ELi8ELb1ELb1ELb0ELi1EEEvPT0_PT_PfS5_S5_S5_diiiiiiib
	.globl	_ZN5aiter24add_rmsnorm_quant_kernelIDF16_DB8_Li256ELi8ELb1ELb1ELb0ELi1EEEvPT0_PT_PfS5_S5_S5_diiiiiiib
	.p2align	8
	.type	_ZN5aiter24add_rmsnorm_quant_kernelIDF16_DB8_Li256ELi8ELb1ELb1ELb0ELi1EEEvPT0_PT_PfS5_S5_S5_diiiiiiib,@function
_ZN5aiter24add_rmsnorm_quant_kernelIDF16_DB8_Li256ELi8ELb1ELb1ELb0ELi1EEEvPT0_PT_PfS5_S5_S5_diiiiiiib: ; @_ZN5aiter24add_rmsnorm_quant_kernelIDF16_DB8_Li256ELi8ELb1ELb1ELb0ELi1EEEvPT0_PT_PfS5_S5_S5_diiiiiiib
; %bb.0:
	s_mov_b32 s2, s15
	s_load_b256 s[12:19], s[0:1], 0x38
	s_mov_b32 s3, 0
	s_waitcnt lgkmcnt(0)
	s_ashr_i32 s5, s12, 31
	s_mov_b32 s4, s12
	s_delay_alu instid0(SALU_CYCLE_1) | instskip(NEXT) | instid1(VALU_DEP_1)
	v_cmp_ge_i64_e64 s4, s[2:3], s[4:5]
	s_and_b32 vcc_lo, exec_lo, s4
	s_cbranch_vccnz .LBB11_44
; %bb.1:
	s_clause 0x1
	s_load_b256 s[4:11], s[0:1], 0x0
	s_load_b256 s[20:27], s[0:1], 0x20
	s_ashr_i32 s1, s14, 31
	s_waitcnt lgkmcnt(0)
	s_mul_hi_u32 s26, s14, s2
	s_mul_i32 s1, s1, s2
	s_mul_i32 s0, s14, s2
	s_add_i32 s1, s26, s1
	s_mul_hi_u32 s26, s15, s2
	s_lshl_b64 s[0:1], s[0:1], 1
	v_lshlrev_b32_e32 v19, 4, v0
	s_mul_i32 s14, s15, s2
	s_mov_b32 s31, -1
	v_and_b32_e32 v20, 31, v0
	s_mov_b32 s39, s31
	s_add_u32 s28, s10, s0
	s_addc_u32 s0, s11, s1
	s_add_i32 s1, s13, 1
	s_ashr_i32 s10, s15, 31
	s_lshr_b32 s11, s1, 31
	s_mul_i32 s10, s10, s2
	s_add_i32 s1, s1, s11
	s_and_b32 s29, s0, 0xffff
	s_lshl_b32 s0, s1, 1
	s_add_i32 s15, s26, s10
	s_and_b32 s30, s0, -4
	s_lshl_b64 s[0:1], s[14:15], 1
	s_and_b32 s37, s23, 0xffff
	buffer_load_b128 v[9:12], v19, s[28:31], 0 offen glc slc
	s_add_u32 s28, s20, s0
	s_addc_u32 s0, s21, s1
	s_mov_b32 s36, s22
	s_and_b32 s29, s0, 0xffff
	s_mov_b32 s38, s30
	buffer_load_b128 v[13:16], v19, s[28:31], 0 offen glc slc
	s_ashr_i32 s0, s16, 31
	s_mul_hi_u32 s1, s16, s2
	s_mul_i32 s10, s0, s2
	s_mul_i32 s0, s16, s2
	s_add_i32 s1, s1, s10
	s_delay_alu instid0(SALU_CYCLE_1) | instskip(NEXT) | instid1(SALU_CYCLE_1)
	s_lshl_b64 s[0:1], s[0:1], 1
	s_add_u32 s28, s6, s0
	s_addc_u32 s1, s7, s1
	v_cmp_eq_u32_e64 s0, 31, v20
	s_and_b32 s29, s1, 0xffff
	s_waitcnt vmcnt(1)
	v_cvt_f32_f16_e32 v8, v9
	v_lshrrev_b32_e32 v5, 16, v9
	v_cvt_f32_f16_e32 v9, v10
	s_waitcnt vmcnt(0)
	v_lshrrev_b32_e32 v6, 16, v13
	v_cvt_f32_f16_e32 v13, v13
	v_cvt_f32_f16_e32 v5, v5
	s_delay_alu instid0(VALU_DEP_3) | instskip(NEXT) | instid1(VALU_DEP_3)
	v_cvt_f32_f16_e32 v6, v6
	v_add_f32_e32 v8, v8, v13
	buffer_load_b128 v[1:4], v19, s[36:39], 0 offen
	v_cvt_f32_f16_e32 v13, v11
	v_add_f32_e32 v7, v5, v6
	v_lshrrev_b32_e32 v5, 16, v10
	v_cvt_f32_f16_e32 v6, v14
	v_lshrrev_b32_e32 v10, 16, v14
	v_lshrrev_b32_e32 v14, 16, v15
	v_cvt_f16_f32_e32 v24, v7
	v_cvt_f32_f16_e32 v5, v5
	v_add_f32_e32 v9, v9, v6
	v_cvt_f32_f16_e32 v10, v10
	v_mul_f32_e32 v17, v7, v7
	v_lshrrev_b32_e32 v6, 16, v11
	v_cvt_f32_f16_e32 v11, v15
	v_cvt_f32_f16_e32 v14, v14
	v_add_f32_e32 v10, v5, v10
	v_cvt_f32_f16_e32 v15, v16
	v_cvt_f32_f16_e32 v6, v6
	v_fmac_f32_e32 v17, v8, v8
	v_add_f32_e32 v11, v13, v11
	v_lshrrev_b32_e32 v13, 16, v12
	v_lshrrev_b32_e32 v16, 16, v16
	v_cvt_f32_f16_e32 v5, v12
	v_add_f32_e32 v12, v6, v14
	v_cvt_f16_f32_e32 v23, v10
	v_cvt_f32_f16_e32 v6, v13
	v_cvt_f32_f16_e32 v14, v16
	v_fmac_f32_e32 v17, v9, v9
	v_add_f32_e32 v13, v5, v15
	v_cvt_f16_f32_e32 v15, v9
	v_cvt_f16_f32_e32 v16, v11
	v_add_f32_e32 v14, v6, v14
	v_fmac_f32_e32 v17, v10, v10
	v_cvt_f16_f32_e32 v22, v12
	s_delay_alu instid0(VALU_DEP_3) | instskip(NEXT) | instid1(VALU_DEP_3)
	v_cvt_f16_f32_e32 v21, v14
	v_fmac_f32_e32 v17, v11, v11
	s_delay_alu instid0(VALU_DEP_1) | instskip(NEXT) | instid1(VALU_DEP_1)
	v_fmac_f32_e32 v17, v12, v12
	v_fmac_f32_e32 v17, v13, v13
	s_delay_alu instid0(VALU_DEP_1) | instskip(NEXT) | instid1(VALU_DEP_1)
	v_fmac_f32_e32 v17, v14, v14
	v_mov_b32_dpp v5, v17 quad_perm:[1,0,3,2] row_mask:0xf bank_mask:0xf
	s_delay_alu instid0(VALU_DEP_1) | instskip(SKIP_1) | instid1(VALU_DEP_2)
	v_add_f32_e32 v5, v17, v5
	v_cvt_f16_f32_e32 v17, v13
	v_mov_b32_dpp v6, v5 quad_perm:[2,3,0,1] row_mask:0xf bank_mask:0xf
	s_delay_alu instid0(VALU_DEP_1) | instskip(SKIP_1) | instid1(VALU_DEP_2)
	v_add_f32_e32 v5, v5, v6
	v_cvt_f16_f32_e32 v6, v8
	v_mov_b32_dpp v18, v5 row_xmask:7 row_mask:0xf bank_mask:0xf
	s_delay_alu instid0(VALU_DEP_1)
	v_add_f32_e32 v5, v5, v18
	v_pack_b32_f16 v18, v17, v21
	v_pack_b32_f16 v17, v16, v22
	;; [unrolled: 1-line block ×4, first 2 shown]
	v_mov_b32_dpp v6, v5 row_xmask:15 row_mask:0xf bank_mask:0xf
	buffer_store_b128 v[15:18], v19, s[28:31], 0 offen glc slc
	;;#ASMSTART
	s_nop 0
	;;#ASMEND
	s_and_saveexec_b32 s1, s0
	s_cbranch_execz .LBB11_3
; %bb.2:
	v_add_f32_e32 v5, v5, v6
	s_mov_b32 s6, 0x76543210
	v_lshrrev_b32_e32 v6, 3, v0
	s_delay_alu instid0(VALU_DEP_2) | instskip(NEXT) | instid1(VALU_DEP_1)
	v_permlanex16_b32 v15, v5, s6, 0xfedcba98 op_sel:[1,1]
	v_dual_add_f32 v5, v5, v15 :: v_dual_and_b32 v6, 0x7c, v6
	ds_store_b32 v6, v5 offset:32
.LBB11_3:
	s_or_b32 exec_lo, exec_lo, s1
	v_and_b32_e32 v5, 7, v0
	s_waitcnt vmcnt(0) lgkmcnt(0)
	s_waitcnt_vscnt null, 0x0
	s_barrier
	buffer_gl0_inv
	v_cvt_f32_i32_e32 v16, s13
	v_lshlrev_b32_e32 v6, 2, v5
	s_cmp_lg_u32 s18, 0
	ds_load_b32 v5, v6 offset:32
	s_waitcnt lgkmcnt(0)
	v_mov_b32_dpp v15, v5 quad_perm:[1,0,3,2] row_mask:0xf bank_mask:0xf
	s_delay_alu instid0(VALU_DEP_1) | instskip(NEXT) | instid1(VALU_DEP_1)
	v_add_f32_e32 v5, v5, v15
	v_mov_b32_dpp v15, v5 quad_perm:[2,3,0,1] row_mask:0xf bank_mask:0xf
	s_delay_alu instid0(VALU_DEP_1) | instskip(NEXT) | instid1(VALU_DEP_1)
	v_add_f32_e32 v5, v5, v15
	v_mov_b32_dpp v15, v5 row_xmask:7 row_mask:0xf bank_mask:0xf
	s_delay_alu instid0(VALU_DEP_1) | instskip(NEXT) | instid1(VALU_DEP_1)
	v_add_f32_e32 v5, v5, v15
	v_div_scale_f32 v15, null, v16, v16, v5
	v_div_scale_f32 v19, vcc_lo, v5, v16, v5
	s_delay_alu instid0(VALU_DEP_2) | instskip(SKIP_2) | instid1(VALU_DEP_1)
	v_rcp_f32_e32 v17, v15
	s_waitcnt_depctr 0xfff
	v_fma_f32 v18, -v15, v17, 1.0
	v_fmac_f32_e32 v17, v18, v17
	s_delay_alu instid0(VALU_DEP_1) | instskip(NEXT) | instid1(VALU_DEP_1)
	v_mul_f32_e32 v18, v19, v17
	v_fma_f32 v20, -v15, v18, v19
	s_delay_alu instid0(VALU_DEP_1) | instskip(SKIP_2) | instid1(VALU_DEP_3)
	v_fmac_f32_e32 v18, v20, v17
	v_cvt_f32_f16_e32 v20, v4
	v_lshrrev_b32_e32 v4, 16, v4
	v_fma_f32 v15, -v15, v18, v19
	s_delay_alu instid0(VALU_DEP_1)
	v_div_fmas_f32 v15, v15, v17, v18
	v_cvt_f32_f16_e32 v17, v2
	v_lshrrev_b32_e32 v2, 16, v2
	v_cvt_f32_f16_e32 v18, v3
	v_lshrrev_b32_e32 v3, 16, v3
	v_div_fixup_f32 v5, v15, v16, v5
	s_delay_alu instid0(VALU_DEP_4) | instskip(NEXT) | instid1(VALU_DEP_3)
	v_cvt_f32_f16_e32 v2, v2
	v_cvt_f32_f16_e32 v3, v3
	s_delay_alu instid0(VALU_DEP_3) | instskip(NEXT) | instid1(VALU_DEP_1)
	v_cvt_f64_f32_e32 v[15:16], v5
	v_add_f64 v[15:16], v[15:16], s[24:25]
	s_delay_alu instid0(VALU_DEP_1) | instskip(SKIP_2) | instid1(VALU_DEP_1)
	v_cvt_f32_f64_e32 v5, v[15:16]
	v_cvt_f32_f16_e32 v16, v1
	v_lshrrev_b32_e32 v1, 16, v1
	v_cvt_f32_f16_e32 v1, v1
	s_delay_alu instid0(VALU_DEP_4) | instskip(SKIP_1) | instid1(VALU_DEP_2)
	v_mul_f32_e32 v15, 0x4b800000, v5
	v_cmp_gt_f32_e32 vcc_lo, 0x800000, v5
	v_cndmask_b32_e32 v5, v5, v15, vcc_lo
	s_delay_alu instid0(VALU_DEP_1) | instskip(SKIP_2) | instid1(VALU_DEP_1)
	v_rsq_f32_e32 v15, v5
	s_waitcnt_depctr 0xfff
	v_mul_f32_e32 v19, 0x45800000, v15
	v_cndmask_b32_e32 v15, v15, v19, vcc_lo
	v_mov_b32_e32 v21, 0x2edbe6ff
	v_cvt_f32_f16_e32 v19, v4
	s_delay_alu instid0(VALU_DEP_3) | instskip(NEXT) | instid1(VALU_DEP_1)
	v_mul_f32_e32 v10, v10, v15
	v_dual_mul_f32 v23, v12, v15 :: v_dual_mul_f32 v10, v10, v2
	v_mul_f32_e32 v7, v7, v15
	s_delay_alu instid0(VALU_DEP_1) | instskip(NEXT) | instid1(VALU_DEP_1)
	v_mul_f32_e32 v12, v7, v1
	v_dual_mul_f32 v7, v23, v3 :: v_dual_and_b32 v2, 0x7fffffff, v12
	v_dual_mul_f32 v4, v8, v15 :: v_dual_lshlrev_b32 v5, 3, v0
	v_mul_f32_e32 v8, v9, v15
	v_mul_f32_e32 v22, v11, v15
	;; [unrolled: 1-line block ×3, first 2 shown]
	s_delay_alu instid0(VALU_DEP_4) | instskip(NEXT) | instid1(VALU_DEP_3)
	v_dual_mul_f32 v11, v4, v16 :: v_dual_mul_f32 v14, v14, v15
	v_dual_mul_f32 v9, v8, v17 :: v_dual_mul_f32 v8, v22, v18
	s_delay_alu instid0(VALU_DEP_2) | instskip(NEXT) | instid1(VALU_DEP_3)
	v_dual_mul_f32 v4, v13, v20 :: v_dual_and_b32 v1, 0x7fffffff, v11
	v_mul_f32_e32 v3, v14, v19
	;;#ASMSTART
	v_max3_f32 v1, v21, v1, v2

	;;#ASMEND
	s_delay_alu instid0(VALU_DEP_3)
	v_and_b32_e32 v13, 0x7fffffff, v9
	v_and_b32_e32 v14, 0x7fffffff, v10
	;;#ASMSTART
	v_max3_f32 v1, v1, v13, v14

	;;#ASMEND
	v_and_b32_e32 v15, 0x7fffffff, v8
	v_and_b32_e32 v16, 0x7fffffff, v7
	;; [unrolled: 1-line block ×4, first 2 shown]
	;;#ASMSTART
	v_max3_f32 v1, v1, v15, v16

	;;#ASMEND
	;;#ASMSTART
	v_max3_f32 v13, v1, v17, v18

	;;#ASMEND
	s_cbranch_scc0 .LBB11_10
; %bb.4:
	s_ashr_i32 s11, s18, 31
	s_delay_alu instid0(SALU_CYCLE_1) | instskip(NEXT) | instid1(SALU_CYCLE_1)
	s_lshr_b32 s1, s11, 29
	s_add_i32 s1, s18, s1
	s_delay_alu instid0(SALU_CYCLE_1) | instskip(NEXT) | instid1(SALU_CYCLE_1)
	s_ashr_i32 s1, s1, 3
	s_cmp_lt_i32 s1, 8
	s_cbranch_scc1 .LBB11_11
; %bb.5:
	s_cmp_lt_i32 s1, 16
	s_cbranch_scc1 .LBB11_12
; %bb.6:
	;; [unrolled: 3-line block ×3, first 2 shown]
	v_mov_b32_e32 v1, v13
	s_cmp_eq_u32 s1, 32
	s_cbranch_scc0 .LBB11_9
; %bb.8:
	s_delay_alu instid0(VALU_DEP_1) | instskip(SKIP_1) | instid1(VALU_DEP_1)
	v_mov_b32_dpp v1, v13 quad_perm:[1,0,3,2] row_mask:0xf bank_mask:0xf
	s_mov_b32 s6, 0x76543210
	v_cmp_gt_f32_e32 vcc_lo, v13, v1
	v_cndmask_b32_e32 v1, v1, v13, vcc_lo
	s_delay_alu instid0(VALU_DEP_1) | instskip(NEXT) | instid1(VALU_DEP_1)
	v_mov_b32_dpp v2, v1 quad_perm:[2,3,0,1] row_mask:0xf bank_mask:0xf
	v_cmp_gt_f32_e32 vcc_lo, v1, v2
	v_cndmask_b32_e32 v1, v2, v1, vcc_lo
	s_delay_alu instid0(VALU_DEP_1) | instskip(NEXT) | instid1(VALU_DEP_1)
	v_mov_b32_dpp v2, v1 row_xmask:7 row_mask:0xf bank_mask:0xf
	v_cmp_gt_f32_e32 vcc_lo, v1, v2
	v_cndmask_b32_e32 v1, v2, v1, vcc_lo
	s_delay_alu instid0(VALU_DEP_1) | instskip(NEXT) | instid1(VALU_DEP_1)
	v_mov_b32_dpp v2, v1 row_xmask:15 row_mask:0xf bank_mask:0xf
	v_cmp_gt_f32_e32 vcc_lo, v1, v2
	v_cndmask_b32_e32 v1, v2, v1, vcc_lo
	s_delay_alu instid0(VALU_DEP_1) | instskip(NEXT) | instid1(VALU_DEP_1)
	v_permlanex16_b32 v2, v1, s6, 0xfedcba98 op_sel:[1,1]
	v_cmp_gt_f32_e32 vcc_lo, v1, v2
	v_cndmask_b32_e32 v1, v2, v1, vcc_lo
.LBB11_9:
	s_mov_b32 s6, 0
	s_branch .LBB11_14
.LBB11_10:
	s_mov_b32 s1, 0
                                        ; implicit-def: $vgpr14
                                        ; implicit-def: $vgpr1_vgpr2
	s_and_b32 vcc_lo, exec_lo, s31
	s_cbranch_vccnz .LBB11_38
	s_branch .LBB11_41
.LBB11_11:
                                        ; implicit-def: $vgpr1
	s_branch .LBB11_21
.LBB11_12:
                                        ; implicit-def: $vgpr1
	s_branch .LBB11_18
.LBB11_13:
	s_mov_b32 s6, -1
                                        ; implicit-def: $vgpr1
.LBB11_14:
	s_delay_alu instid0(SALU_CYCLE_1)
	s_and_not1_b32 vcc_lo, exec_lo, s6
	s_cbranch_vccnz .LBB11_17
; %bb.15:
	v_mov_b32_e32 v1, v13
	s_cmp_eq_u32 s1, 16
	s_cbranch_scc0 .LBB11_17
; %bb.16:
	s_delay_alu instid0(VALU_DEP_1) | instskip(NEXT) | instid1(VALU_DEP_1)
	v_mov_b32_dpp v1, v13 quad_perm:[1,0,3,2] row_mask:0xf bank_mask:0xf
	v_cmp_gt_f32_e32 vcc_lo, v13, v1
	v_cndmask_b32_e32 v1, v1, v13, vcc_lo
	s_delay_alu instid0(VALU_DEP_1) | instskip(NEXT) | instid1(VALU_DEP_1)
	v_mov_b32_dpp v2, v1 quad_perm:[2,3,0,1] row_mask:0xf bank_mask:0xf
	v_cmp_gt_f32_e32 vcc_lo, v1, v2
	v_cndmask_b32_e32 v1, v2, v1, vcc_lo
	s_delay_alu instid0(VALU_DEP_1) | instskip(NEXT) | instid1(VALU_DEP_1)
	v_mov_b32_dpp v2, v1 row_half_mirror row_mask:0xf bank_mask:0xf
	v_cmp_gt_f32_e32 vcc_lo, v1, v2
	v_cndmask_b32_e32 v1, v2, v1, vcc_lo
	s_delay_alu instid0(VALU_DEP_1) | instskip(NEXT) | instid1(VALU_DEP_1)
	v_mov_b32_dpp v2, v1 row_mirror row_mask:0xf bank_mask:0xf
	v_cmp_gt_f32_e32 vcc_lo, v1, v2
	v_cndmask_b32_e32 v1, v2, v1, vcc_lo
.LBB11_17:
	s_cbranch_execnz .LBB11_20
.LBB11_18:
	v_mov_b32_e32 v1, v13
	s_cmp_eq_u32 s1, 8
	s_cbranch_scc0 .LBB11_20
; %bb.19:
	s_delay_alu instid0(VALU_DEP_1) | instskip(NEXT) | instid1(VALU_DEP_1)
	v_mov_b32_dpp v1, v13 quad_perm:[1,0,3,2] row_mask:0xf bank_mask:0xf
	v_cmp_gt_f32_e32 vcc_lo, v13, v1
	v_cndmask_b32_e32 v1, v1, v13, vcc_lo
	s_delay_alu instid0(VALU_DEP_1) | instskip(NEXT) | instid1(VALU_DEP_1)
	v_mov_b32_dpp v2, v1 quad_perm:[2,3,0,1] row_mask:0xf bank_mask:0xf
	v_cmp_gt_f32_e32 vcc_lo, v1, v2
	v_cndmask_b32_e32 v1, v2, v1, vcc_lo
	s_delay_alu instid0(VALU_DEP_1) | instskip(NEXT) | instid1(VALU_DEP_1)
	v_mov_b32_dpp v2, v1 row_half_mirror row_mask:0xf bank_mask:0xf
	v_cmp_gt_f32_e32 vcc_lo, v1, v2
	v_cndmask_b32_e32 v1, v2, v1, vcc_lo
.LBB11_20:
	s_cbranch_execnz .LBB11_28
.LBB11_21:
	s_cmp_lt_i32 s1, 4
	s_cbranch_scc1 .LBB11_24
; %bb.22:
	v_mov_b32_e32 v1, v13
	s_cmp_eq_u32 s1, 4
	s_cbranch_scc0 .LBB11_25
; %bb.23:
	s_delay_alu instid0(VALU_DEP_1) | instskip(NEXT) | instid1(VALU_DEP_1)
	v_mov_b32_dpp v1, v13 quad_perm:[1,0,3,2] row_mask:0xf bank_mask:0xf
	v_cmp_gt_f32_e32 vcc_lo, v13, v1
	v_cndmask_b32_e32 v1, v1, v13, vcc_lo
	s_delay_alu instid0(VALU_DEP_1) | instskip(NEXT) | instid1(VALU_DEP_1)
	v_mov_b32_dpp v2, v1 quad_perm:[2,3,0,1] row_mask:0xf bank_mask:0xf
	v_cmp_gt_f32_e32 vcc_lo, v1, v2
	v_cndmask_b32_e32 v1, v2, v1, vcc_lo
	s_cbranch_execz .LBB11_26
	s_branch .LBB11_28
.LBB11_24:
                                        ; implicit-def: $vgpr1
	s_branch .LBB11_26
.LBB11_25:
	s_cbranch_execnz .LBB11_28
.LBB11_26:
	v_mov_b32_e32 v1, v13
	s_cmp_lg_u32 s1, 2
	s_cbranch_scc1 .LBB11_28
; %bb.27:
	s_delay_alu instid0(VALU_DEP_1) | instskip(NEXT) | instid1(VALU_DEP_1)
	v_mov_b32_dpp v1, v13 quad_perm:[1,0,3,2] row_mask:0xf bank_mask:0xf
	v_cmp_gt_f32_e32 vcc_lo, v13, v1
	v_cndmask_b32_e32 v1, v1, v13, vcc_lo
.LBB11_28:
	v_cvt_f32_u32_e32 v2, s1
	s_sub_i32 s6, 0, s1
	s_mov_b32 s31, 0
	s_delay_alu instid0(VALU_DEP_1) | instskip(SKIP_2) | instid1(VALU_DEP_1)
	v_rcp_iflag_f32_e32 v2, v2
	s_waitcnt_depctr 0xfff
	v_mul_f32_e32 v2, 0x4f7ffffe, v2
	v_cvt_u32_f32_e32 v2, v2
	s_delay_alu instid0(VALU_DEP_1) | instskip(NEXT) | instid1(VALU_DEP_1)
	v_mul_lo_u32 v14, s6, v2
	v_mul_hi_u32 v14, v2, v14
	s_delay_alu instid0(VALU_DEP_1) | instskip(NEXT) | instid1(VALU_DEP_1)
	v_add_nc_u32_e32 v2, v2, v14
	v_mul_hi_u32 v2, v0, v2
	s_delay_alu instid0(VALU_DEP_1) | instskip(NEXT) | instid1(VALU_DEP_1)
	v_mul_lo_u32 v14, v2, s1
	v_sub_nc_u32_e32 v14, v0, v14
	s_delay_alu instid0(VALU_DEP_1) | instskip(SKIP_1) | instid1(VALU_DEP_2)
	v_subrev_nc_u32_e32 v16, s1, v14
	v_cmp_le_u32_e32 vcc_lo, s1, v14
	v_dual_cndmask_b32 v14, v14, v16 :: v_dual_add_nc_u32 v15, 1, v2
	s_delay_alu instid0(VALU_DEP_1) | instskip(NEXT) | instid1(VALU_DEP_2)
	v_cndmask_b32_e32 v2, v2, v15, vcc_lo
	v_cmp_le_u32_e32 vcc_lo, s1, v14
	s_delay_alu instid0(VALU_DEP_2) | instskip(NEXT) | instid1(VALU_DEP_1)
	v_dual_mul_f32 v14, 0x3b124925, v1 :: v_dual_add_nc_u32 v15, 1, v2
	v_cndmask_b32_e32 v15, v2, v15, vcc_lo
	v_cmp_gt_u32_e32 vcc_lo, s13, v5
	s_delay_alu instid0(VALU_DEP_2) | instskip(NEXT) | instid1(VALU_DEP_1)
	v_mul_lo_u32 v2, v15, s1
	v_sub_nc_u32_e32 v2, v0, v2
	s_delay_alu instid0(VALU_DEP_1) | instskip(NEXT) | instid1(VALU_DEP_1)
	v_cmp_eq_u32_e64 s1, 0, v2
                                        ; implicit-def: $vgpr1_vgpr2
	s_and_b32 s6, s1, vcc_lo
	s_mov_b32 s1, 0
	s_and_saveexec_b32 s7, s6
	s_delay_alu instid0(SALU_CYCLE_1)
	s_xor_b32 s16, exec_lo, s7
	s_cbranch_execz .LBB11_37
; %bb.29:
	s_bitcmp0_b32 s19, 0
	s_mov_b32 s10, 0
	s_cbranch_scc0 .LBB11_34
; %bb.30:
	s_ashr_i32 s1, s13, 31
	s_mul_hi_u32 s7, s13, s2
	s_mul_i32 s1, s1, s2
	s_mul_i32 s6, s13, s2
	s_add_i32 s7, s7, s1
	s_mov_b32 s19, s11
	s_delay_alu instid0(SALU_CYCLE_1) | instskip(NEXT) | instid1(SALU_CYCLE_1)
	s_or_b64 s[14:15], s[6:7], s[18:19]
	s_mov_b32 s11, s15
	s_delay_alu instid0(SALU_CYCLE_1)
	s_cmp_lg_u64 s[10:11], 0
	s_cbranch_scc0 .LBB11_45
; %bb.31:
	s_add_u32 s14, s18, s19
	s_mov_b32 s10, s19
	s_mov_b32 s11, s19
	s_addc_u32 s15, s19, s19
	s_delay_alu instid0(SALU_CYCLE_1) | instskip(NEXT) | instid1(SALU_CYCLE_1)
	s_xor_b64 s[14:15], s[14:15], s[10:11]
	v_cvt_f32_u32_e32 v1, s14
	v_cvt_f32_u32_e32 v2, s15
	s_sub_u32 s20, 0, s14
	s_subb_u32 s21, 0, s15
	s_delay_alu instid0(VALU_DEP_1) | instskip(NEXT) | instid1(VALU_DEP_1)
	v_fmamk_f32 v1, v2, 0x4f800000, v1
	v_rcp_f32_e32 v1, v1
	s_waitcnt_depctr 0xfff
	v_mul_f32_e32 v1, 0x5f7ffffc, v1
	s_delay_alu instid0(VALU_DEP_1) | instskip(NEXT) | instid1(VALU_DEP_1)
	v_mul_f32_e32 v2, 0x2f800000, v1
	v_trunc_f32_e32 v2, v2
	s_delay_alu instid0(VALU_DEP_1) | instskip(SKIP_1) | instid1(VALU_DEP_2)
	v_fmamk_f32 v1, v2, 0xcf800000, v1
	v_cvt_u32_f32_e32 v2, v2
	v_cvt_u32_f32_e32 v1, v1
	s_delay_alu instid0(VALU_DEP_2) | instskip(NEXT) | instid1(VALU_DEP_2)
	v_readfirstlane_b32 s1, v2
	v_readfirstlane_b32 s19, v1
	s_delay_alu instid0(VALU_DEP_2) | instskip(NEXT) | instid1(VALU_DEP_1)
	s_mul_i32 s22, s20, s1
	s_mul_hi_u32 s24, s20, s19
	s_mul_i32 s23, s21, s19
	s_add_i32 s22, s24, s22
	s_mul_i32 s25, s20, s19
	s_add_i32 s22, s22, s23
	s_mul_hi_u32 s24, s19, s25
	s_mul_hi_u32 s26, s1, s25
	s_mul_i32 s23, s1, s25
	s_mul_hi_u32 s25, s19, s22
	s_mul_i32 s19, s19, s22
	s_mul_hi_u32 s27, s1, s22
	s_add_u32 s19, s24, s19
	s_addc_u32 s24, 0, s25
	s_add_u32 s19, s19, s23
	s_mul_i32 s22, s1, s22
	s_addc_u32 s19, s24, s26
	s_addc_u32 s23, s27, 0
	s_add_u32 s19, s19, s22
	s_addc_u32 s22, 0, s23
	v_add_co_u32 v1, s19, v1, s19
	s_delay_alu instid0(VALU_DEP_1) | instskip(SKIP_1) | instid1(VALU_DEP_1)
	s_cmp_lg_u32 s19, 0
	s_addc_u32 s1, s1, s22
	v_readfirstlane_b32 s19, v1
	s_mul_i32 s22, s20, s1
	s_delay_alu instid0(VALU_DEP_1)
	s_mul_hi_u32 s23, s20, s19
	s_mul_i32 s21, s21, s19
	s_add_i32 s22, s23, s22
	s_mul_i32 s20, s20, s19
	s_add_i32 s22, s22, s21
	s_mul_hi_u32 s23, s1, s20
	s_mul_i32 s24, s1, s20
	s_mul_hi_u32 s20, s19, s20
	s_mul_hi_u32 s25, s19, s22
	s_mul_i32 s19, s19, s22
	s_mul_hi_u32 s21, s1, s22
	s_add_u32 s19, s20, s19
	s_addc_u32 s20, 0, s25
	s_add_u32 s19, s19, s24
	s_mul_i32 s22, s1, s22
	s_addc_u32 s19, s20, s23
	s_addc_u32 s20, s21, 0
	s_add_u32 s19, s19, s22
	s_addc_u32 s20, 0, s20
	v_add_co_u32 v1, s19, v1, s19
	s_delay_alu instid0(VALU_DEP_1) | instskip(SKIP_2) | instid1(SALU_CYCLE_1)
	s_cmp_lg_u32 s19, 0
	s_addc_u32 s1, s1, s20
	s_ashr_i32 s20, s7, 31
	s_add_u32 s22, s6, s20
	s_addc_u32 s23, s7, s20
	v_readfirstlane_b32 s7, v1
	s_mov_b32 s21, s20
	s_delay_alu instid0(SALU_CYCLE_1) | instskip(NEXT) | instid1(SALU_CYCLE_1)
	s_xor_b64 s[22:23], s[22:23], s[20:21]
	s_mul_i32 s24, s22, s1
	s_delay_alu instid0(VALU_DEP_1)
	s_mul_hi_u32 s25, s22, s7
	s_mul_hi_u32 s19, s22, s1
	;; [unrolled: 1-line block ×3, first 2 shown]
	s_mul_i32 s7, s23, s7
	s_add_u32 s24, s25, s24
	s_addc_u32 s19, 0, s19
	s_mul_hi_u32 s26, s23, s1
	s_add_u32 s7, s24, s7
	s_mul_i32 s1, s23, s1
	s_addc_u32 s7, s19, s27
	s_addc_u32 s19, s26, 0
	s_add_u32 s7, s7, s1
	s_addc_u32 s19, 0, s19
	s_mul_i32 s26, s14, s7
	s_mul_hi_u32 s1, s14, s7
	s_mul_i32 s25, s14, s19
	v_sub_co_u32 v1, s22, s22, s26
	s_mul_i32 s24, s15, s7
	s_add_i32 s1, s1, s25
	s_delay_alu instid0(SALU_CYCLE_1) | instskip(NEXT) | instid1(VALU_DEP_1)
	s_add_i32 s1, s1, s24
	v_sub_co_u32 v2, s25, v1, s14
	s_sub_i32 s24, s23, s1
	s_cmp_lg_u32 s22, 0
	s_subb_u32 s24, s24, s15
	s_cmp_lg_u32 s25, 0
	v_cmp_le_u32_e32 vcc_lo, s14, v2
	s_subb_u32 s24, s24, 0
	s_delay_alu instid0(SALU_CYCLE_1)
	s_cmp_ge_u32 s24, s15
	v_cndmask_b32_e64 v2, 0, -1, vcc_lo
	s_cselect_b32 s25, -1, 0
	s_cmp_eq_u32 s24, s15
	s_cselect_b32 vcc_lo, -1, 0
	s_add_u32 s24, s7, 1
	v_cndmask_b32_e32 v2, s25, v2, vcc_lo
	s_addc_u32 s25, s19, 0
	s_add_u32 s26, s7, 2
	s_addc_u32 s27, s19, 0
	s_cmp_lg_u32 s22, 0
	v_cmp_le_u32_e32 vcc_lo, s14, v1
	s_subb_u32 s1, s23, s1
	v_mov_b32_e32 v16, s26
	s_cmp_ge_u32 s1, s15
	v_cndmask_b32_e64 v1, 0, -1, vcc_lo
	s_cselect_b32 s14, -1, 0
	s_cmp_eq_u32 s1, s15
	v_cmp_ne_u32_e32 vcc_lo, 0, v2
	v_mov_b32_e32 v2, s27
	s_cselect_b32 s1, -1, 0
	s_xor_b64 s[10:11], s[20:21], s[10:11]
	v_cndmask_b32_e64 v1, s14, v1, s1
	v_cndmask_b32_e32 v16, s24, v16, vcc_lo
	v_cndmask_b32_e32 v2, s25, v2, vcc_lo
	s_delay_alu instid0(VALU_DEP_3) | instskip(NEXT) | instid1(VALU_DEP_2)
	v_cmp_ne_u32_e32 vcc_lo, 0, v1
	v_cndmask_b32_e32 v1, s19, v2, vcc_lo
	s_delay_alu instid0(VALU_DEP_4) | instskip(NEXT) | instid1(VALU_DEP_2)
	v_cndmask_b32_e32 v2, s7, v16, vcc_lo
	v_xor_b32_e32 v16, s11, v1
	s_delay_alu instid0(VALU_DEP_2) | instskip(NEXT) | instid1(VALU_DEP_1)
	v_xor_b32_e32 v2, s10, v2
	v_sub_co_u32 v1, vcc_lo, v2, s10
	s_delay_alu instid0(VALU_DEP_3)
	v_subrev_co_ci_u32_e32 v2, vcc_lo, s11, v16, vcc_lo
	s_cbranch_execnz .LBB11_33
.LBB11_32:
	v_cvt_f32_u32_e32 v1, s18
	s_sub_i32 s7, 0, s18
	s_delay_alu instid0(VALU_DEP_1) | instskip(SKIP_2) | instid1(VALU_DEP_1)
	v_rcp_iflag_f32_e32 v1, v1
	s_waitcnt_depctr 0xfff
	v_mul_f32_e32 v1, 0x4f7ffffe, v1
	v_cvt_u32_f32_e32 v1, v1
	s_delay_alu instid0(VALU_DEP_1) | instskip(NEXT) | instid1(VALU_DEP_1)
	v_readfirstlane_b32 s1, v1
	s_mul_i32 s7, s7, s1
	s_delay_alu instid0(SALU_CYCLE_1) | instskip(NEXT) | instid1(SALU_CYCLE_1)
	s_mul_hi_u32 s7, s1, s7
	s_add_i32 s1, s1, s7
	s_delay_alu instid0(SALU_CYCLE_1) | instskip(NEXT) | instid1(SALU_CYCLE_1)
	s_mul_hi_u32 s1, s6, s1
	s_mul_i32 s7, s1, s18
	s_delay_alu instid0(SALU_CYCLE_1)
	s_sub_i32 s6, s6, s7
	s_add_i32 s7, s1, 1
	s_sub_i32 s10, s6, s18
	s_cmp_ge_u32 s6, s18
	s_cselect_b32 s1, s7, s1
	s_cselect_b32 s6, s10, s6
	s_add_i32 s10, s1, 1
	s_cmp_ge_u32 s6, s18
	s_mov_b32 s7, 0
	s_cselect_b32 s6, s10, s1
	s_delay_alu instid0(SALU_CYCLE_1)
	v_dual_mov_b32 v1, s6 :: v_dual_mov_b32 v2, s7
.LBB11_33:
	s_delay_alu instid0(VALU_DEP_1) | instskip(NEXT) | instid1(VALU_DEP_2)
	v_add_co_u32 v1, vcc_lo, v1, v15
	v_add_co_ci_u32_e32 v2, vcc_lo, 0, v2, vcc_lo
	s_branch .LBB11_36
.LBB11_34:
                                        ; implicit-def: $vgpr1_vgpr2
	s_cbranch_execz .LBB11_36
; %bb.35:
	v_mul_lo_u32 v1, v15, s12
	s_delay_alu instid0(VALU_DEP_1) | instskip(SKIP_1) | instid1(VALU_DEP_2)
	v_ashrrev_i32_e32 v2, 31, v1
	v_add_co_u32 v1, vcc_lo, v1, s2
	v_add_co_ci_u32_e32 v2, vcc_lo, 0, v2, vcc_lo
.LBB11_36:
	s_mov_b32 s1, exec_lo
.LBB11_37:
	s_or_b32 exec_lo, exec_lo, s16
	s_delay_alu instid0(SALU_CYCLE_1)
	s_and_b32 vcc_lo, exec_lo, s31
	s_cbranch_vccz .LBB11_41
.LBB11_38:
	v_mov_b32_dpp v1, v13 quad_perm:[1,0,3,2] row_mask:0xf bank_mask:0xf
	s_delay_alu instid0(VALU_DEP_1) | instskip(SKIP_1) | instid1(VALU_DEP_1)
	v_cmp_gt_f32_e32 vcc_lo, v13, v1
	v_cndmask_b32_e32 v1, v1, v13, vcc_lo
	v_mov_b32_dpp v2, v1 quad_perm:[2,3,0,1] row_mask:0xf bank_mask:0xf
	s_delay_alu instid0(VALU_DEP_1) | instskip(SKIP_1) | instid1(VALU_DEP_1)
	v_cmp_gt_f32_e32 vcc_lo, v1, v2
	v_cndmask_b32_e32 v1, v2, v1, vcc_lo
	v_mov_b32_dpp v2, v1 row_xmask:7 row_mask:0xf bank_mask:0xf
	s_delay_alu instid0(VALU_DEP_1) | instskip(SKIP_1) | instid1(VALU_DEP_1)
	v_cmp_gt_f32_e32 vcc_lo, v1, v2
	v_cndmask_b32_e32 v1, v2, v1, vcc_lo
	v_mov_b32_dpp v2, v1 row_xmask:15 row_mask:0xf bank_mask:0xf
	s_delay_alu instid0(VALU_DEP_1)
	v_cmp_gt_f32_e32 vcc_lo, v1, v2
	s_and_saveexec_b32 s1, s0
	s_cbranch_execz .LBB11_40
; %bb.39:
	v_cndmask_b32_e32 v1, v2, v1, vcc_lo
	v_lshrrev_b32_e32 v2, 3, v0
	s_mov_b32 s0, 0x76543210
	s_delay_alu instid0(VALU_DEP_1) | instskip(NEXT) | instid1(VALU_DEP_3)
	v_and_b32_e32 v2, 0x7c, v2
	v_permlanex16_b32 v13, v1, s0, 0xfedcba98 op_sel:[1,1]
	s_delay_alu instid0(VALU_DEP_1)
	v_cmp_gt_f32_e32 vcc_lo, v1, v13
	v_cndmask_b32_e32 v1, v13, v1, vcc_lo
	ds_store_b32 v2, v1
.LBB11_40:
	s_or_b32 exec_lo, exec_lo, s1
	s_waitcnt lgkmcnt(0)
	s_barrier
	buffer_gl0_inv
	ds_load_b32 v1, v6
	v_cmp_eq_u32_e64 s1, 0, v0
	s_waitcnt lgkmcnt(0)
	v_mov_b32_dpp v2, v1 quad_perm:[1,0,3,2] row_mask:0xf bank_mask:0xf
	s_delay_alu instid0(VALU_DEP_1) | instskip(SKIP_1) | instid1(VALU_DEP_1)
	v_cmp_gt_f32_e32 vcc_lo, v1, v2
	v_cndmask_b32_e32 v1, v2, v1, vcc_lo
	v_mov_b32_dpp v2, v1 quad_perm:[2,3,0,1] row_mask:0xf bank_mask:0xf
	s_delay_alu instid0(VALU_DEP_1) | instskip(SKIP_1) | instid1(VALU_DEP_1)
	v_cmp_gt_f32_e32 vcc_lo, v1, v2
	v_cndmask_b32_e32 v1, v2, v1, vcc_lo
	v_mov_b32_dpp v2, v1 row_xmask:7 row_mask:0xf bank_mask:0xf
	s_delay_alu instid0(VALU_DEP_1) | instskip(SKIP_1) | instid1(VALU_DEP_1)
	v_cmp_gt_f32_e32 vcc_lo, v1, v2
	v_cndmask_b32_e32 v1, v2, v1, vcc_lo
	v_dual_mul_f32 v14, 0x3b124925, v1 :: v_dual_mov_b32 v1, s2
	v_mov_b32_e32 v2, s3
.LBB11_41:
	s_and_saveexec_b32 s0, s1
	s_cbranch_execz .LBB11_43
; %bb.42:
	s_delay_alu instid0(VALU_DEP_1) | instskip(NEXT) | instid1(VALU_DEP_1)
	v_lshlrev_b64 v[0:1], 2, v[1:2]
	v_add_co_u32 v0, vcc_lo, s8, v0
	s_delay_alu instid0(VALU_DEP_2)
	v_add_co_ci_u32_e32 v1, vcc_lo, s9, v1, vcc_lo
	global_store_b32 v[0:1], v14, off
.LBB11_43:
	s_or_b32 exec_lo, exec_lo, s0
	;;#ASMSTART
	v_rcp_f32 v0, v14
	;;#ASMEND
	v_dual_mul_f32 v1, v11, v0 :: v_dual_mov_b32 v6, 0xc3e00000
	v_dual_mul_f32 v2, v12, v0 :: v_dual_mov_b32 v11, 0x43e00000
	v_mul_f32_e32 v9, v9, v0
	v_mul_f32_e32 v10, v10, v0
	;;#ASMSTART
	v_med3_f32 v1, v1, v6, v11
v_med3_f32 v2, v2, v6, v11
v_cvt_pk_fp8_f32 v12, v1, v2
	;;#ASMEND
	;;#ASMSTART
	v_med3_f32 v9, v9, v6, v11
v_med3_f32 v10, v10, v6, v11
v_cvt_pk_fp8_f32 v1, v9, v10
	;;#ASMEND
	v_perm_b32 v2, v1, v12, 0x5040100
	v_and_b32_e32 v1, 0xffffff00, v1
	s_add_i32 s0, s13, 3
	v_mul_f32_e32 v7, v7, v0
	s_ashr_i32 s7, s0, 31
	v_lshrrev_b32_e32 v9, 16, v2
	v_mul_f32_e32 v8, v8, v0
	s_ashr_i32 s1, s17, 31
	s_lshr_b32 s7, s7, 30
	s_mul_hi_u32 s3, s17, s2
	v_and_b32_e32 v9, 0xff, v9
	s_add_i32 s0, s0, s7
	s_mul_i32 s1, s1, s2
	s_mul_i32 s6, s17, s2
	s_and_b32 s2, s0, -4
	v_or_b32_e32 v1, v9, v1
	v_mul_f32_e32 v4, v4, v0
	v_mul_f32_e32 v0, v3, v0
	;;#ASMSTART
	v_med3_f32 v8, v8, v6, v11
v_med3_f32 v7, v7, v6, v11
v_cvt_pk_fp8_f32 v3, v8, v7
	;;#ASMEND
	s_add_i32 s3, s3, s1
	v_lshlrev_b32_e32 v1, 16, v1
	;;#ASMSTART
	v_med3_f32 v4, v4, v6, v11
v_med3_f32 v0, v0, v6, v11
v_cvt_pk_fp8_f32 v6, v4, v0
	;;#ASMEND
	v_lshlrev_b32_e32 v4, 16, v6
	s_add_u32 s0, s4, s6
	s_addc_u32 s1, s5, s3
	v_and_or_b32 v0, 0xffff, v2, v1
	s_and_b32 s1, s1, 0xffff
	v_and_or_b32 v1, 0xffff, v3, v4
	s_mov_b32 s3, -1
	buffer_store_b64 v[0:1], v5, s[0:3], 0 offen
	;;#ASMSTART
	s_nop 0
	;;#ASMEND
.LBB11_44:
	s_nop 0
	s_sendmsg sendmsg(MSG_DEALLOC_VGPRS)
	s_endpgm
.LBB11_45:
                                        ; implicit-def: $vgpr1_vgpr2
	s_branch .LBB11_32
	.section	.rodata,"a",@progbits
	.p2align	6, 0x0
	.amdhsa_kernel _ZN5aiter24add_rmsnorm_quant_kernelIDF16_DB8_Li256ELi8ELb1ELb1ELb0ELi1EEEvPT0_PT_PfS5_S5_S5_diiiiiiib
		.amdhsa_group_segment_fixed_size 64
		.amdhsa_private_segment_fixed_size 0
		.amdhsa_kernarg_size 88
		.amdhsa_user_sgpr_count 15
		.amdhsa_user_sgpr_dispatch_ptr 0
		.amdhsa_user_sgpr_queue_ptr 0
		.amdhsa_user_sgpr_kernarg_segment_ptr 1
		.amdhsa_user_sgpr_dispatch_id 0
		.amdhsa_user_sgpr_private_segment_size 0
		.amdhsa_wavefront_size32 1
		.amdhsa_uses_dynamic_stack 0
		.amdhsa_enable_private_segment 0
		.amdhsa_system_sgpr_workgroup_id_x 1
		.amdhsa_system_sgpr_workgroup_id_y 0
		.amdhsa_system_sgpr_workgroup_id_z 0
		.amdhsa_system_sgpr_workgroup_info 0
		.amdhsa_system_vgpr_workitem_id 0
		.amdhsa_next_free_vgpr 25
		.amdhsa_next_free_sgpr 40
		.amdhsa_reserve_vcc 1
		.amdhsa_float_round_mode_32 0
		.amdhsa_float_round_mode_16_64 0
		.amdhsa_float_denorm_mode_32 3
		.amdhsa_float_denorm_mode_16_64 3
		.amdhsa_dx10_clamp 1
		.amdhsa_ieee_mode 1
		.amdhsa_fp16_overflow 0
		.amdhsa_workgroup_processor_mode 1
		.amdhsa_memory_ordered 1
		.amdhsa_forward_progress 0
		.amdhsa_shared_vgpr_count 0
		.amdhsa_exception_fp_ieee_invalid_op 0
		.amdhsa_exception_fp_denorm_src 0
		.amdhsa_exception_fp_ieee_div_zero 0
		.amdhsa_exception_fp_ieee_overflow 0
		.amdhsa_exception_fp_ieee_underflow 0
		.amdhsa_exception_fp_ieee_inexact 0
		.amdhsa_exception_int_div_zero 0
	.end_amdhsa_kernel
	.section	.text._ZN5aiter24add_rmsnorm_quant_kernelIDF16_DB8_Li256ELi8ELb1ELb1ELb0ELi1EEEvPT0_PT_PfS5_S5_S5_diiiiiiib,"axG",@progbits,_ZN5aiter24add_rmsnorm_quant_kernelIDF16_DB8_Li256ELi8ELb1ELb1ELb0ELi1EEEvPT0_PT_PfS5_S5_S5_diiiiiiib,comdat
.Lfunc_end11:
	.size	_ZN5aiter24add_rmsnorm_quant_kernelIDF16_DB8_Li256ELi8ELb1ELb1ELb0ELi1EEEvPT0_PT_PfS5_S5_S5_diiiiiiib, .Lfunc_end11-_ZN5aiter24add_rmsnorm_quant_kernelIDF16_DB8_Li256ELi8ELb1ELb1ELb0ELi1EEEvPT0_PT_PfS5_S5_S5_diiiiiiib
                                        ; -- End function
	.section	.AMDGPU.csdata,"",@progbits
; Kernel info:
; codeLenInByte = 3624
; NumSgprs: 42
; NumVgprs: 25
; ScratchSize: 0
; MemoryBound: 0
; FloatMode: 240
; IeeeMode: 1
; LDSByteSize: 64 bytes/workgroup (compile time only)
; SGPRBlocks: 5
; VGPRBlocks: 3
; NumSGPRsForWavesPerEU: 42
; NumVGPRsForWavesPerEU: 25
; Occupancy: 16
; WaveLimiterHint : 0
; COMPUTE_PGM_RSRC2:SCRATCH_EN: 0
; COMPUTE_PGM_RSRC2:USER_SGPR: 15
; COMPUTE_PGM_RSRC2:TRAP_HANDLER: 0
; COMPUTE_PGM_RSRC2:TGID_X_EN: 1
; COMPUTE_PGM_RSRC2:TGID_Y_EN: 0
; COMPUTE_PGM_RSRC2:TGID_Z_EN: 0
; COMPUTE_PGM_RSRC2:TIDIG_COMP_CNT: 0
	.section	.text._ZN5aiter24add_rmsnorm_quant_kernelItDB8_Li256ELi8ELb1ELb1ELb0ELi1EEEvPT0_PT_PfS5_S5_S5_diiiiiiib,"axG",@progbits,_ZN5aiter24add_rmsnorm_quant_kernelItDB8_Li256ELi8ELb1ELb1ELb0ELi1EEEvPT0_PT_PfS5_S5_S5_diiiiiiib,comdat
	.protected	_ZN5aiter24add_rmsnorm_quant_kernelItDB8_Li256ELi8ELb1ELb1ELb0ELi1EEEvPT0_PT_PfS5_S5_S5_diiiiiiib ; -- Begin function _ZN5aiter24add_rmsnorm_quant_kernelItDB8_Li256ELi8ELb1ELb1ELb0ELi1EEEvPT0_PT_PfS5_S5_S5_diiiiiiib
	.globl	_ZN5aiter24add_rmsnorm_quant_kernelItDB8_Li256ELi8ELb1ELb1ELb0ELi1EEEvPT0_PT_PfS5_S5_S5_diiiiiiib
	.p2align	8
	.type	_ZN5aiter24add_rmsnorm_quant_kernelItDB8_Li256ELi8ELb1ELb1ELb0ELi1EEEvPT0_PT_PfS5_S5_S5_diiiiiiib,@function
_ZN5aiter24add_rmsnorm_quant_kernelItDB8_Li256ELi8ELb1ELb1ELb0ELi1EEEvPT0_PT_PfS5_S5_S5_diiiiiiib: ; @_ZN5aiter24add_rmsnorm_quant_kernelItDB8_Li256ELi8ELb1ELb1ELb0ELi1EEEvPT0_PT_PfS5_S5_S5_diiiiiiib
; %bb.0:
	s_mov_b32 s2, s15
	s_load_b256 s[12:19], s[0:1], 0x38
	s_mov_b32 s3, 0
	s_waitcnt lgkmcnt(0)
	s_ashr_i32 s5, s12, 31
	s_mov_b32 s4, s12
	s_delay_alu instid0(SALU_CYCLE_1) | instskip(NEXT) | instid1(VALU_DEP_1)
	v_cmp_ge_i64_e64 s4, s[2:3], s[4:5]
	s_and_b32 vcc_lo, exec_lo, s4
	s_cbranch_vccnz .LBB12_44
; %bb.1:
	s_clause 0x1
	s_load_b256 s[4:11], s[0:1], 0x0
	s_load_b256 s[20:27], s[0:1], 0x20
	s_ashr_i32 s1, s14, 31
	s_waitcnt lgkmcnt(0)
	s_mul_hi_u32 s26, s14, s2
	s_mul_i32 s1, s1, s2
	s_mul_i32 s0, s14, s2
	s_add_i32 s1, s26, s1
	s_mul_hi_u32 s26, s15, s2
	s_lshl_b64 s[0:1], s[0:1], 1
	v_lshlrev_b32_e32 v19, 4, v0
	s_mul_i32 s14, s15, s2
	s_mov_b32 s31, -1
	s_delay_alu instid0(SALU_CYCLE_1)
	s_mov_b32 s39, s31
	s_add_u32 s28, s10, s0
	s_addc_u32 s0, s11, s1
	s_add_i32 s1, s13, 1
	s_ashr_i32 s10, s15, 31
	s_lshr_b32 s11, s1, 31
	s_mul_i32 s10, s10, s2
	s_add_i32 s1, s1, s11
	s_and_b32 s29, s0, 0xffff
	s_lshl_b32 s0, s1, 1
	s_add_i32 s15, s26, s10
	s_and_b32 s30, s0, -4
	s_lshl_b64 s[0:1], s[14:15], 1
	s_and_b32 s37, s23, 0xffff
	buffer_load_b128 v[5:8], v19, s[28:31], 0 offen glc slc
	s_add_u32 s28, s20, s0
	s_addc_u32 s0, s21, s1
	s_mov_b32 s36, s22
	s_and_b32 s29, s0, 0xffff
	s_mov_b32 s38, s30
	buffer_load_b128 v[9:12], v19, s[28:31], 0 offen glc slc
	s_ashr_i32 s0, s16, 31
	s_mul_hi_u32 s1, s16, s2
	s_mul_i32 s10, s0, s2
	s_mul_i32 s0, s16, s2
	s_add_i32 s1, s1, s10
	s_delay_alu instid0(SALU_CYCLE_1) | instskip(NEXT) | instid1(SALU_CYCLE_1)
	s_lshl_b64 s[0:1], s[0:1], 1
	s_add_u32 s28, s6, s0
	s_addc_u32 s1, s7, s1
	s_delay_alu instid0(SALU_CYCLE_1)
	s_and_b32 s29, s1, 0xffff
	s_waitcnt vmcnt(1)
	v_lshrrev_b32_e32 v15, 16, v7
	v_and_b32_e32 v17, 0xffff, v7
	v_lshrrev_b32_e32 v14, 16, v6
	v_lshrrev_b32_e32 v18, 16, v8
	s_waitcnt vmcnt(0)
	v_and_b32_e32 v7, 0xffff, v9
	v_lshrrev_b32_e32 v16, 16, v9
	s_delay_alu instid0(VALU_DEP_2) | instskip(SKIP_2) | instid1(VALU_DEP_4)
	v_cvt_f32_u32_e32 v20, v7
	v_and_b32_e32 v13, 0xffff, v5
	v_lshrrev_b32_e32 v5, 16, v5
	v_cvt_f32_u32_e32 v9, v16
	s_delay_alu instid0(VALU_DEP_2) | instskip(NEXT) | instid1(VALU_DEP_1)
	v_cvt_f32_u32_e32 v5, v5
	v_dual_add_f32 v7, v5, v9 :: v_dual_and_b32 v6, 0xffff, v6
	s_delay_alu instid0(VALU_DEP_1) | instskip(SKIP_3) | instid1(VALU_DEP_2)
	v_cvt_f32_u32_e32 v5, v6
	v_and_b32_e32 v16, 0xffff, v8
	v_cvt_f32_u32_e32 v8, v13
	v_lshrrev_b32_e32 v6, 16, v10
	v_add_f32_e32 v8, v8, v20
	v_mul_f32_e32 v20, v7, v7
	buffer_load_b128 v[1:4], v19, s[36:39], 0 offen
	v_cvt_f32_u32_e32 v6, v6
	v_dual_fmac_f32 v20, v8, v8 :: v_dual_and_b32 v13, 0xffff, v10
	v_cvt_f32_u32_e32 v10, v14
	s_delay_alu instid0(VALU_DEP_2) | instskip(NEXT) | instid1(VALU_DEP_2)
	v_cvt_f32_u32_e32 v9, v13
	v_add_f32_e32 v10, v10, v6
	v_cvt_f32_u32_e32 v6, v15
	s_delay_alu instid0(VALU_DEP_3) | instskip(SKIP_1) | instid1(VALU_DEP_2)
	v_add_f32_e32 v9, v5, v9
	v_cvt_f32_u32_e32 v5, v17
	v_dual_fmac_f32 v20, v9, v9 :: v_dual_and_b32 v13, 0xffff, v11
	v_lshrrev_b32_e32 v11, 16, v11
	s_delay_alu instid0(VALU_DEP_2) | instskip(NEXT) | instid1(VALU_DEP_3)
	v_fmac_f32_e32 v20, v10, v10
	v_cvt_f32_u32_e32 v13, v13
	v_and_b32_e32 v14, 0xffff, v12
	s_delay_alu instid0(VALU_DEP_4) | instskip(NEXT) | instid1(VALU_DEP_3)
	v_cvt_f32_u32_e32 v15, v11
	v_add_f32_e32 v11, v5, v13
	v_cvt_f32_u32_e32 v5, v16
	v_lshrrev_b32_e32 v13, 16, v12
	v_cvt_f32_u32_e32 v14, v14
	v_add_f32_e32 v12, v6, v15
	v_fmac_f32_e32 v20, v11, v11
	v_cvt_f32_u32_e32 v6, v18
	v_cvt_f32_u32_e32 v15, v13
	v_add_f32_e32 v13, v5, v14
	v_perm_b32 v17, v12, v11, 0x7060302
	v_fmac_f32_e32 v20, v12, v12
	v_perm_b32 v16, v10, v9, 0x7060302
	v_add_f32_e32 v14, v6, v15
	v_perm_b32 v15, v7, v8, 0x7060302
	s_delay_alu instid0(VALU_DEP_4) | instskip(NEXT) | instid1(VALU_DEP_1)
	v_fmac_f32_e32 v20, v13, v13
	v_fmac_f32_e32 v20, v14, v14
	s_delay_alu instid0(VALU_DEP_1) | instskip(NEXT) | instid1(VALU_DEP_1)
	v_mov_b32_dpp v5, v20 quad_perm:[1,0,3,2] row_mask:0xf bank_mask:0xf
	v_dual_add_f32 v5, v20, v5 :: v_dual_and_b32 v20, 31, v0
	v_perm_b32 v18, v14, v13, 0x7060302
	s_delay_alu instid0(VALU_DEP_2) | instskip(NEXT) | instid1(VALU_DEP_3)
	v_mov_b32_dpp v6, v5 quad_perm:[2,3,0,1] row_mask:0xf bank_mask:0xf
	v_cmp_eq_u32_e64 s0, 31, v20
	buffer_store_b128 v[15:18], v19, s[28:31], 0 offen glc slc
	;;#ASMSTART
	s_nop 0
	;;#ASMEND
	v_add_f32_e32 v5, v5, v6
	s_delay_alu instid0(VALU_DEP_1) | instskip(NEXT) | instid1(VALU_DEP_1)
	v_mov_b32_dpp v6, v5 row_xmask:7 row_mask:0xf bank_mask:0xf
	v_add_f32_e32 v5, v5, v6
	s_delay_alu instid0(VALU_DEP_1)
	v_mov_b32_dpp v6, v5 row_xmask:15 row_mask:0xf bank_mask:0xf
	s_and_saveexec_b32 s1, s0
	s_cbranch_execz .LBB12_3
; %bb.2:
	s_delay_alu instid0(VALU_DEP_1) | instskip(SKIP_2) | instid1(VALU_DEP_2)
	v_add_f32_e32 v5, v5, v6
	s_mov_b32 s6, 0x76543210
	v_lshrrev_b32_e32 v6, 3, v0
	v_permlanex16_b32 v15, v5, s6, 0xfedcba98 op_sel:[1,1]
	s_delay_alu instid0(VALU_DEP_1)
	v_dual_add_f32 v5, v5, v15 :: v_dual_and_b32 v6, 0x7c, v6
	ds_store_b32 v6, v5 offset:32
.LBB12_3:
	s_or_b32 exec_lo, exec_lo, s1
	v_and_b32_e32 v5, 7, v0
	s_waitcnt vmcnt(0) lgkmcnt(0)
	s_waitcnt_vscnt null, 0x0
	s_barrier
	buffer_gl0_inv
	v_cvt_f32_i32_e32 v16, s13
	v_lshlrev_b32_e32 v6, 2, v5
	s_cmp_lg_u32 s18, 0
	ds_load_b32 v5, v6 offset:32
	s_waitcnt lgkmcnt(0)
	v_mov_b32_dpp v15, v5 quad_perm:[1,0,3,2] row_mask:0xf bank_mask:0xf
	s_delay_alu instid0(VALU_DEP_1) | instskip(NEXT) | instid1(VALU_DEP_1)
	v_add_f32_e32 v5, v5, v15
	v_mov_b32_dpp v15, v5 quad_perm:[2,3,0,1] row_mask:0xf bank_mask:0xf
	s_delay_alu instid0(VALU_DEP_1) | instskip(NEXT) | instid1(VALU_DEP_1)
	v_add_f32_e32 v5, v5, v15
	v_mov_b32_dpp v15, v5 row_xmask:7 row_mask:0xf bank_mask:0xf
	s_delay_alu instid0(VALU_DEP_1) | instskip(NEXT) | instid1(VALU_DEP_1)
	v_add_f32_e32 v5, v5, v15
	v_div_scale_f32 v15, null, v16, v16, v5
	v_div_scale_f32 v19, vcc_lo, v5, v16, v5
	s_delay_alu instid0(VALU_DEP_2) | instskip(SKIP_2) | instid1(VALU_DEP_1)
	v_rcp_f32_e32 v17, v15
	s_waitcnt_depctr 0xfff
	v_fma_f32 v18, -v15, v17, 1.0
	v_fmac_f32_e32 v17, v18, v17
	s_delay_alu instid0(VALU_DEP_1) | instskip(NEXT) | instid1(VALU_DEP_1)
	v_mul_f32_e32 v18, v19, v17
	v_fma_f32 v20, -v15, v18, v19
	s_delay_alu instid0(VALU_DEP_1) | instskip(SKIP_1) | instid1(VALU_DEP_2)
	v_fmac_f32_e32 v18, v20, v17
	v_mov_b32_e32 v20, 0x2edbe6ff
	v_fma_f32 v15, -v15, v18, v19
	s_delay_alu instid0(VALU_DEP_1) | instskip(SKIP_2) | instid1(VALU_DEP_3)
	v_div_fmas_f32 v15, v15, v17, v18
	v_and_b32_e32 v18, 0xffff, v3
	v_lshrrev_b32_e32 v3, 16, v3
	v_div_fixup_f32 v5, v15, v16, v5
	s_delay_alu instid0(VALU_DEP_3) | instskip(NEXT) | instid1(VALU_DEP_3)
	v_cvt_f32_u32_e32 v18, v18
	v_cvt_f32_u32_e32 v3, v3
	s_delay_alu instid0(VALU_DEP_3) | instskip(NEXT) | instid1(VALU_DEP_1)
	v_cvt_f64_f32_e32 v[15:16], v5
	v_add_f64 v[15:16], v[15:16], s[24:25]
	s_delay_alu instid0(VALU_DEP_1) | instskip(SKIP_2) | instid1(VALU_DEP_2)
	v_cvt_f32_f64_e32 v5, v[15:16]
	v_and_b32_e32 v16, 0xffff, v1
	v_lshrrev_b32_e32 v1, 16, v1
	v_cvt_f32_u32_e32 v16, v16
	s_delay_alu instid0(VALU_DEP_2) | instskip(SKIP_2) | instid1(VALU_DEP_2)
	v_cvt_f32_u32_e32 v1, v1
	v_mul_f32_e32 v15, 0x4b800000, v5
	v_cmp_gt_f32_e32 vcc_lo, 0x800000, v5
	v_cndmask_b32_e32 v15, v5, v15, vcc_lo
	s_delay_alu instid0(VALU_DEP_1) | instskip(SKIP_2) | instid1(VALU_DEP_1)
	v_rsq_f32_e32 v15, v15
	s_waitcnt_depctr 0xfff
	v_mul_f32_e32 v21, 0x45800000, v15
	v_cndmask_b32_e32 v15, v15, v21, vcc_lo
	v_and_b32_e32 v17, 0xffff, v2
	v_lshrrev_b32_e32 v2, 16, v2
	v_and_b32_e32 v19, 0xffff, v4
	v_lshrrev_b32_e32 v4, 16, v4
	v_mul_f32_e32 v10, v15, v10
	s_delay_alu instid0(VALU_DEP_4) | instskip(NEXT) | instid1(VALU_DEP_4)
	v_cvt_f32_u32_e32 v2, v2
	v_cvt_f32_u32_e32 v19, v19
	s_delay_alu instid0(VALU_DEP_4) | instskip(NEXT) | instid1(VALU_DEP_3)
	v_cvt_f32_u32_e32 v21, v4
	v_dual_mul_f32 v10, v10, v2 :: v_dual_lshlrev_b32 v5, 3, v0
	v_mul_f32_e32 v4, v8, v15
	v_mul_f32_e32 v8, v15, v9
	v_cvt_f32_u32_e32 v17, v17
	v_mul_f32_e32 v22, v15, v11
	s_delay_alu instid0(VALU_DEP_2) | instskip(NEXT) | instid1(VALU_DEP_2)
	v_dual_mul_f32 v14, v15, v14 :: v_dual_mul_f32 v9, v8, v17
	v_dual_mul_f32 v7, v7, v15 :: v_dual_mul_f32 v8, v22, v18
	s_delay_alu instid0(VALU_DEP_1) | instskip(NEXT) | instid1(VALU_DEP_1)
	v_mul_f32_e32 v11, v7, v1
	v_dual_mul_f32 v13, v15, v13 :: v_dual_and_b32 v2, 0x7fffffff, v11
	v_mul_f32_e32 v23, v15, v12
	v_mul_f32_e32 v12, v4, v16
	s_delay_alu instid0(VALU_DEP_3) | instskip(SKIP_1) | instid1(VALU_DEP_4)
	v_dual_mul_f32 v4, v13, v19 :: v_dual_and_b32 v13, 0x7fffffff, v9
	v_and_b32_e32 v15, 0x7fffffff, v8
	v_mul_f32_e32 v7, v23, v3
	v_mul_f32_e32 v3, v14, v21
	v_and_b32_e32 v1, 0x7fffffff, v12
	;;#ASMSTART
	v_max3_f32 v1, v20, v1, v2

	;;#ASMEND
	v_and_b32_e32 v14, 0x7fffffff, v10
	v_and_b32_e32 v16, 0x7fffffff, v7
	;;#ASMSTART
	v_max3_f32 v1, v1, v13, v14

	;;#ASMEND
	v_and_b32_e32 v17, 0x7fffffff, v4
	v_and_b32_e32 v18, 0x7fffffff, v3
	;;#ASMSTART
	v_max3_f32 v1, v1, v15, v16

	;;#ASMEND
	;;#ASMSTART
	v_max3_f32 v13, v1, v17, v18

	;;#ASMEND
	s_cbranch_scc0 .LBB12_10
; %bb.4:
	s_ashr_i32 s11, s18, 31
	s_delay_alu instid0(SALU_CYCLE_1) | instskip(NEXT) | instid1(SALU_CYCLE_1)
	s_lshr_b32 s1, s11, 29
	s_add_i32 s1, s18, s1
	s_delay_alu instid0(SALU_CYCLE_1) | instskip(NEXT) | instid1(SALU_CYCLE_1)
	s_ashr_i32 s1, s1, 3
	s_cmp_lt_i32 s1, 8
	s_cbranch_scc1 .LBB12_11
; %bb.5:
	s_cmp_lt_i32 s1, 16
	s_cbranch_scc1 .LBB12_12
; %bb.6:
	;; [unrolled: 3-line block ×3, first 2 shown]
	v_mov_b32_e32 v1, v13
	s_cmp_eq_u32 s1, 32
	s_cbranch_scc0 .LBB12_9
; %bb.8:
	s_delay_alu instid0(VALU_DEP_1) | instskip(SKIP_1) | instid1(VALU_DEP_1)
	v_mov_b32_dpp v1, v13 quad_perm:[1,0,3,2] row_mask:0xf bank_mask:0xf
	s_mov_b32 s6, 0x76543210
	v_cmp_gt_f32_e32 vcc_lo, v13, v1
	v_cndmask_b32_e32 v1, v1, v13, vcc_lo
	s_delay_alu instid0(VALU_DEP_1) | instskip(NEXT) | instid1(VALU_DEP_1)
	v_mov_b32_dpp v2, v1 quad_perm:[2,3,0,1] row_mask:0xf bank_mask:0xf
	v_cmp_gt_f32_e32 vcc_lo, v1, v2
	v_cndmask_b32_e32 v1, v2, v1, vcc_lo
	s_delay_alu instid0(VALU_DEP_1) | instskip(NEXT) | instid1(VALU_DEP_1)
	v_mov_b32_dpp v2, v1 row_xmask:7 row_mask:0xf bank_mask:0xf
	v_cmp_gt_f32_e32 vcc_lo, v1, v2
	v_cndmask_b32_e32 v1, v2, v1, vcc_lo
	s_delay_alu instid0(VALU_DEP_1) | instskip(NEXT) | instid1(VALU_DEP_1)
	v_mov_b32_dpp v2, v1 row_xmask:15 row_mask:0xf bank_mask:0xf
	v_cmp_gt_f32_e32 vcc_lo, v1, v2
	v_cndmask_b32_e32 v1, v2, v1, vcc_lo
	s_delay_alu instid0(VALU_DEP_1) | instskip(NEXT) | instid1(VALU_DEP_1)
	v_permlanex16_b32 v2, v1, s6, 0xfedcba98 op_sel:[1,1]
	v_cmp_gt_f32_e32 vcc_lo, v1, v2
	v_cndmask_b32_e32 v1, v2, v1, vcc_lo
.LBB12_9:
	s_mov_b32 s6, 0
	s_branch .LBB12_14
.LBB12_10:
	s_mov_b32 s1, 0
                                        ; implicit-def: $vgpr14
                                        ; implicit-def: $vgpr1_vgpr2
	s_and_b32 vcc_lo, exec_lo, s31
	s_cbranch_vccnz .LBB12_38
	s_branch .LBB12_41
.LBB12_11:
                                        ; implicit-def: $vgpr1
	s_branch .LBB12_21
.LBB12_12:
                                        ; implicit-def: $vgpr1
	s_branch .LBB12_18
.LBB12_13:
	s_mov_b32 s6, -1
                                        ; implicit-def: $vgpr1
.LBB12_14:
	s_delay_alu instid0(SALU_CYCLE_1)
	s_and_not1_b32 vcc_lo, exec_lo, s6
	s_cbranch_vccnz .LBB12_17
; %bb.15:
	v_mov_b32_e32 v1, v13
	s_cmp_eq_u32 s1, 16
	s_cbranch_scc0 .LBB12_17
; %bb.16:
	s_delay_alu instid0(VALU_DEP_1) | instskip(NEXT) | instid1(VALU_DEP_1)
	v_mov_b32_dpp v1, v13 quad_perm:[1,0,3,2] row_mask:0xf bank_mask:0xf
	v_cmp_gt_f32_e32 vcc_lo, v13, v1
	v_cndmask_b32_e32 v1, v1, v13, vcc_lo
	s_delay_alu instid0(VALU_DEP_1) | instskip(NEXT) | instid1(VALU_DEP_1)
	v_mov_b32_dpp v2, v1 quad_perm:[2,3,0,1] row_mask:0xf bank_mask:0xf
	v_cmp_gt_f32_e32 vcc_lo, v1, v2
	v_cndmask_b32_e32 v1, v2, v1, vcc_lo
	s_delay_alu instid0(VALU_DEP_1) | instskip(NEXT) | instid1(VALU_DEP_1)
	v_mov_b32_dpp v2, v1 row_half_mirror row_mask:0xf bank_mask:0xf
	v_cmp_gt_f32_e32 vcc_lo, v1, v2
	v_cndmask_b32_e32 v1, v2, v1, vcc_lo
	s_delay_alu instid0(VALU_DEP_1) | instskip(NEXT) | instid1(VALU_DEP_1)
	v_mov_b32_dpp v2, v1 row_mirror row_mask:0xf bank_mask:0xf
	v_cmp_gt_f32_e32 vcc_lo, v1, v2
	v_cndmask_b32_e32 v1, v2, v1, vcc_lo
.LBB12_17:
	s_cbranch_execnz .LBB12_20
.LBB12_18:
	v_mov_b32_e32 v1, v13
	s_cmp_eq_u32 s1, 8
	s_cbranch_scc0 .LBB12_20
; %bb.19:
	s_delay_alu instid0(VALU_DEP_1) | instskip(NEXT) | instid1(VALU_DEP_1)
	v_mov_b32_dpp v1, v13 quad_perm:[1,0,3,2] row_mask:0xf bank_mask:0xf
	v_cmp_gt_f32_e32 vcc_lo, v13, v1
	v_cndmask_b32_e32 v1, v1, v13, vcc_lo
	s_delay_alu instid0(VALU_DEP_1) | instskip(NEXT) | instid1(VALU_DEP_1)
	v_mov_b32_dpp v2, v1 quad_perm:[2,3,0,1] row_mask:0xf bank_mask:0xf
	v_cmp_gt_f32_e32 vcc_lo, v1, v2
	v_cndmask_b32_e32 v1, v2, v1, vcc_lo
	s_delay_alu instid0(VALU_DEP_1) | instskip(NEXT) | instid1(VALU_DEP_1)
	v_mov_b32_dpp v2, v1 row_half_mirror row_mask:0xf bank_mask:0xf
	v_cmp_gt_f32_e32 vcc_lo, v1, v2
	v_cndmask_b32_e32 v1, v2, v1, vcc_lo
.LBB12_20:
	s_cbranch_execnz .LBB12_28
.LBB12_21:
	s_cmp_lt_i32 s1, 4
	s_cbranch_scc1 .LBB12_24
; %bb.22:
	v_mov_b32_e32 v1, v13
	s_cmp_eq_u32 s1, 4
	s_cbranch_scc0 .LBB12_25
; %bb.23:
	s_delay_alu instid0(VALU_DEP_1) | instskip(NEXT) | instid1(VALU_DEP_1)
	v_mov_b32_dpp v1, v13 quad_perm:[1,0,3,2] row_mask:0xf bank_mask:0xf
	v_cmp_gt_f32_e32 vcc_lo, v13, v1
	v_cndmask_b32_e32 v1, v1, v13, vcc_lo
	s_delay_alu instid0(VALU_DEP_1) | instskip(NEXT) | instid1(VALU_DEP_1)
	v_mov_b32_dpp v2, v1 quad_perm:[2,3,0,1] row_mask:0xf bank_mask:0xf
	v_cmp_gt_f32_e32 vcc_lo, v1, v2
	v_cndmask_b32_e32 v1, v2, v1, vcc_lo
	s_cbranch_execz .LBB12_26
	s_branch .LBB12_28
.LBB12_24:
                                        ; implicit-def: $vgpr1
	s_branch .LBB12_26
.LBB12_25:
	s_cbranch_execnz .LBB12_28
.LBB12_26:
	v_mov_b32_e32 v1, v13
	s_cmp_lg_u32 s1, 2
	s_cbranch_scc1 .LBB12_28
; %bb.27:
	s_delay_alu instid0(VALU_DEP_1) | instskip(NEXT) | instid1(VALU_DEP_1)
	v_mov_b32_dpp v1, v13 quad_perm:[1,0,3,2] row_mask:0xf bank_mask:0xf
	v_cmp_gt_f32_e32 vcc_lo, v13, v1
	v_cndmask_b32_e32 v1, v1, v13, vcc_lo
.LBB12_28:
	v_cvt_f32_u32_e32 v2, s1
	s_sub_i32 s6, 0, s1
	s_mov_b32 s31, 0
	s_delay_alu instid0(VALU_DEP_1) | instskip(SKIP_2) | instid1(VALU_DEP_1)
	v_rcp_iflag_f32_e32 v2, v2
	s_waitcnt_depctr 0xfff
	v_mul_f32_e32 v2, 0x4f7ffffe, v2
	v_cvt_u32_f32_e32 v2, v2
	s_delay_alu instid0(VALU_DEP_1) | instskip(NEXT) | instid1(VALU_DEP_1)
	v_mul_lo_u32 v14, s6, v2
	v_mul_hi_u32 v14, v2, v14
	s_delay_alu instid0(VALU_DEP_1) | instskip(NEXT) | instid1(VALU_DEP_1)
	v_add_nc_u32_e32 v2, v2, v14
	v_mul_hi_u32 v2, v0, v2
	s_delay_alu instid0(VALU_DEP_1) | instskip(NEXT) | instid1(VALU_DEP_1)
	v_mul_lo_u32 v14, v2, s1
	v_sub_nc_u32_e32 v14, v0, v14
	s_delay_alu instid0(VALU_DEP_1) | instskip(SKIP_1) | instid1(VALU_DEP_2)
	v_subrev_nc_u32_e32 v16, s1, v14
	v_cmp_le_u32_e32 vcc_lo, s1, v14
	v_dual_cndmask_b32 v14, v14, v16 :: v_dual_add_nc_u32 v15, 1, v2
	s_delay_alu instid0(VALU_DEP_1) | instskip(NEXT) | instid1(VALU_DEP_2)
	v_cndmask_b32_e32 v2, v2, v15, vcc_lo
	v_cmp_le_u32_e32 vcc_lo, s1, v14
	s_delay_alu instid0(VALU_DEP_2) | instskip(NEXT) | instid1(VALU_DEP_1)
	v_dual_mul_f32 v14, 0x3b124925, v1 :: v_dual_add_nc_u32 v15, 1, v2
	v_cndmask_b32_e32 v15, v2, v15, vcc_lo
	v_cmp_gt_u32_e32 vcc_lo, s13, v5
	s_delay_alu instid0(VALU_DEP_2) | instskip(NEXT) | instid1(VALU_DEP_1)
	v_mul_lo_u32 v2, v15, s1
	v_sub_nc_u32_e32 v2, v0, v2
	s_delay_alu instid0(VALU_DEP_1) | instskip(NEXT) | instid1(VALU_DEP_1)
	v_cmp_eq_u32_e64 s1, 0, v2
                                        ; implicit-def: $vgpr1_vgpr2
	s_and_b32 s6, s1, vcc_lo
	s_mov_b32 s1, 0
	s_and_saveexec_b32 s7, s6
	s_delay_alu instid0(SALU_CYCLE_1)
	s_xor_b32 s16, exec_lo, s7
	s_cbranch_execz .LBB12_37
; %bb.29:
	s_bitcmp0_b32 s19, 0
	s_mov_b32 s10, 0
	s_cbranch_scc0 .LBB12_34
; %bb.30:
	s_ashr_i32 s1, s13, 31
	s_mul_hi_u32 s7, s13, s2
	s_mul_i32 s1, s1, s2
	s_mul_i32 s6, s13, s2
	s_add_i32 s7, s7, s1
	s_mov_b32 s19, s11
	s_delay_alu instid0(SALU_CYCLE_1) | instskip(NEXT) | instid1(SALU_CYCLE_1)
	s_or_b64 s[14:15], s[6:7], s[18:19]
	s_mov_b32 s11, s15
	s_delay_alu instid0(SALU_CYCLE_1)
	s_cmp_lg_u64 s[10:11], 0
	s_cbranch_scc0 .LBB12_45
; %bb.31:
	s_add_u32 s14, s18, s19
	s_mov_b32 s10, s19
	s_mov_b32 s11, s19
	s_addc_u32 s15, s19, s19
	s_delay_alu instid0(SALU_CYCLE_1) | instskip(NEXT) | instid1(SALU_CYCLE_1)
	s_xor_b64 s[14:15], s[14:15], s[10:11]
	v_cvt_f32_u32_e32 v1, s14
	v_cvt_f32_u32_e32 v2, s15
	s_sub_u32 s20, 0, s14
	s_subb_u32 s21, 0, s15
	s_delay_alu instid0(VALU_DEP_1) | instskip(NEXT) | instid1(VALU_DEP_1)
	v_fmamk_f32 v1, v2, 0x4f800000, v1
	v_rcp_f32_e32 v1, v1
	s_waitcnt_depctr 0xfff
	v_mul_f32_e32 v1, 0x5f7ffffc, v1
	s_delay_alu instid0(VALU_DEP_1) | instskip(NEXT) | instid1(VALU_DEP_1)
	v_mul_f32_e32 v2, 0x2f800000, v1
	v_trunc_f32_e32 v2, v2
	s_delay_alu instid0(VALU_DEP_1) | instskip(SKIP_1) | instid1(VALU_DEP_2)
	v_fmamk_f32 v1, v2, 0xcf800000, v1
	v_cvt_u32_f32_e32 v2, v2
	v_cvt_u32_f32_e32 v1, v1
	s_delay_alu instid0(VALU_DEP_2) | instskip(NEXT) | instid1(VALU_DEP_2)
	v_readfirstlane_b32 s1, v2
	v_readfirstlane_b32 s19, v1
	s_delay_alu instid0(VALU_DEP_2) | instskip(NEXT) | instid1(VALU_DEP_1)
	s_mul_i32 s22, s20, s1
	s_mul_hi_u32 s24, s20, s19
	s_mul_i32 s23, s21, s19
	s_add_i32 s22, s24, s22
	s_mul_i32 s25, s20, s19
	s_add_i32 s22, s22, s23
	s_mul_hi_u32 s24, s19, s25
	s_mul_hi_u32 s26, s1, s25
	s_mul_i32 s23, s1, s25
	s_mul_hi_u32 s25, s19, s22
	s_mul_i32 s19, s19, s22
	s_mul_hi_u32 s27, s1, s22
	s_add_u32 s19, s24, s19
	s_addc_u32 s24, 0, s25
	s_add_u32 s19, s19, s23
	s_mul_i32 s22, s1, s22
	s_addc_u32 s19, s24, s26
	s_addc_u32 s23, s27, 0
	s_add_u32 s19, s19, s22
	s_addc_u32 s22, 0, s23
	v_add_co_u32 v1, s19, v1, s19
	s_delay_alu instid0(VALU_DEP_1) | instskip(SKIP_1) | instid1(VALU_DEP_1)
	s_cmp_lg_u32 s19, 0
	s_addc_u32 s1, s1, s22
	v_readfirstlane_b32 s19, v1
	s_mul_i32 s22, s20, s1
	s_delay_alu instid0(VALU_DEP_1)
	s_mul_hi_u32 s23, s20, s19
	s_mul_i32 s21, s21, s19
	s_add_i32 s22, s23, s22
	s_mul_i32 s20, s20, s19
	s_add_i32 s22, s22, s21
	s_mul_hi_u32 s23, s1, s20
	s_mul_i32 s24, s1, s20
	s_mul_hi_u32 s20, s19, s20
	s_mul_hi_u32 s25, s19, s22
	s_mul_i32 s19, s19, s22
	s_mul_hi_u32 s21, s1, s22
	s_add_u32 s19, s20, s19
	s_addc_u32 s20, 0, s25
	s_add_u32 s19, s19, s24
	s_mul_i32 s22, s1, s22
	s_addc_u32 s19, s20, s23
	s_addc_u32 s20, s21, 0
	s_add_u32 s19, s19, s22
	s_addc_u32 s20, 0, s20
	v_add_co_u32 v1, s19, v1, s19
	s_delay_alu instid0(VALU_DEP_1) | instskip(SKIP_2) | instid1(SALU_CYCLE_1)
	s_cmp_lg_u32 s19, 0
	s_addc_u32 s1, s1, s20
	s_ashr_i32 s20, s7, 31
	s_add_u32 s22, s6, s20
	s_addc_u32 s23, s7, s20
	v_readfirstlane_b32 s7, v1
	s_mov_b32 s21, s20
	s_delay_alu instid0(SALU_CYCLE_1) | instskip(NEXT) | instid1(SALU_CYCLE_1)
	s_xor_b64 s[22:23], s[22:23], s[20:21]
	s_mul_i32 s24, s22, s1
	s_delay_alu instid0(VALU_DEP_1)
	s_mul_hi_u32 s25, s22, s7
	s_mul_hi_u32 s19, s22, s1
	;; [unrolled: 1-line block ×3, first 2 shown]
	s_mul_i32 s7, s23, s7
	s_add_u32 s24, s25, s24
	s_addc_u32 s19, 0, s19
	s_mul_hi_u32 s26, s23, s1
	s_add_u32 s7, s24, s7
	s_mul_i32 s1, s23, s1
	s_addc_u32 s7, s19, s27
	s_addc_u32 s19, s26, 0
	s_add_u32 s7, s7, s1
	s_addc_u32 s19, 0, s19
	s_mul_i32 s26, s14, s7
	s_mul_hi_u32 s1, s14, s7
	s_mul_i32 s25, s14, s19
	v_sub_co_u32 v1, s22, s22, s26
	s_mul_i32 s24, s15, s7
	s_add_i32 s1, s1, s25
	s_delay_alu instid0(SALU_CYCLE_1) | instskip(NEXT) | instid1(VALU_DEP_1)
	s_add_i32 s1, s1, s24
	v_sub_co_u32 v2, s25, v1, s14
	s_sub_i32 s24, s23, s1
	s_cmp_lg_u32 s22, 0
	s_subb_u32 s24, s24, s15
	s_cmp_lg_u32 s25, 0
	v_cmp_le_u32_e32 vcc_lo, s14, v2
	s_subb_u32 s24, s24, 0
	s_delay_alu instid0(SALU_CYCLE_1)
	s_cmp_ge_u32 s24, s15
	v_cndmask_b32_e64 v2, 0, -1, vcc_lo
	s_cselect_b32 s25, -1, 0
	s_cmp_eq_u32 s24, s15
	s_cselect_b32 vcc_lo, -1, 0
	s_add_u32 s24, s7, 1
	v_cndmask_b32_e32 v2, s25, v2, vcc_lo
	s_addc_u32 s25, s19, 0
	s_add_u32 s26, s7, 2
	s_addc_u32 s27, s19, 0
	s_cmp_lg_u32 s22, 0
	v_cmp_le_u32_e32 vcc_lo, s14, v1
	s_subb_u32 s1, s23, s1
	v_mov_b32_e32 v16, s26
	s_cmp_ge_u32 s1, s15
	v_cndmask_b32_e64 v1, 0, -1, vcc_lo
	s_cselect_b32 s14, -1, 0
	s_cmp_eq_u32 s1, s15
	v_cmp_ne_u32_e32 vcc_lo, 0, v2
	v_mov_b32_e32 v2, s27
	s_cselect_b32 s1, -1, 0
	s_xor_b64 s[10:11], s[20:21], s[10:11]
	v_cndmask_b32_e64 v1, s14, v1, s1
	v_cndmask_b32_e32 v16, s24, v16, vcc_lo
	v_cndmask_b32_e32 v2, s25, v2, vcc_lo
	s_delay_alu instid0(VALU_DEP_3) | instskip(NEXT) | instid1(VALU_DEP_2)
	v_cmp_ne_u32_e32 vcc_lo, 0, v1
	v_cndmask_b32_e32 v1, s19, v2, vcc_lo
	s_delay_alu instid0(VALU_DEP_4) | instskip(NEXT) | instid1(VALU_DEP_2)
	v_cndmask_b32_e32 v2, s7, v16, vcc_lo
	v_xor_b32_e32 v16, s11, v1
	s_delay_alu instid0(VALU_DEP_2) | instskip(NEXT) | instid1(VALU_DEP_1)
	v_xor_b32_e32 v2, s10, v2
	v_sub_co_u32 v1, vcc_lo, v2, s10
	s_delay_alu instid0(VALU_DEP_3)
	v_subrev_co_ci_u32_e32 v2, vcc_lo, s11, v16, vcc_lo
	s_cbranch_execnz .LBB12_33
.LBB12_32:
	v_cvt_f32_u32_e32 v1, s18
	s_sub_i32 s7, 0, s18
	s_delay_alu instid0(VALU_DEP_1) | instskip(SKIP_2) | instid1(VALU_DEP_1)
	v_rcp_iflag_f32_e32 v1, v1
	s_waitcnt_depctr 0xfff
	v_mul_f32_e32 v1, 0x4f7ffffe, v1
	v_cvt_u32_f32_e32 v1, v1
	s_delay_alu instid0(VALU_DEP_1) | instskip(NEXT) | instid1(VALU_DEP_1)
	v_readfirstlane_b32 s1, v1
	s_mul_i32 s7, s7, s1
	s_delay_alu instid0(SALU_CYCLE_1) | instskip(NEXT) | instid1(SALU_CYCLE_1)
	s_mul_hi_u32 s7, s1, s7
	s_add_i32 s1, s1, s7
	s_delay_alu instid0(SALU_CYCLE_1) | instskip(NEXT) | instid1(SALU_CYCLE_1)
	s_mul_hi_u32 s1, s6, s1
	s_mul_i32 s7, s1, s18
	s_delay_alu instid0(SALU_CYCLE_1)
	s_sub_i32 s6, s6, s7
	s_add_i32 s7, s1, 1
	s_sub_i32 s10, s6, s18
	s_cmp_ge_u32 s6, s18
	s_cselect_b32 s1, s7, s1
	s_cselect_b32 s6, s10, s6
	s_add_i32 s10, s1, 1
	s_cmp_ge_u32 s6, s18
	s_mov_b32 s7, 0
	s_cselect_b32 s6, s10, s1
	s_delay_alu instid0(SALU_CYCLE_1)
	v_dual_mov_b32 v1, s6 :: v_dual_mov_b32 v2, s7
.LBB12_33:
	s_delay_alu instid0(VALU_DEP_1) | instskip(NEXT) | instid1(VALU_DEP_2)
	v_add_co_u32 v1, vcc_lo, v1, v15
	v_add_co_ci_u32_e32 v2, vcc_lo, 0, v2, vcc_lo
	s_branch .LBB12_36
.LBB12_34:
                                        ; implicit-def: $vgpr1_vgpr2
	s_cbranch_execz .LBB12_36
; %bb.35:
	v_mul_lo_u32 v1, v15, s12
	s_delay_alu instid0(VALU_DEP_1) | instskip(SKIP_1) | instid1(VALU_DEP_2)
	v_ashrrev_i32_e32 v2, 31, v1
	v_add_co_u32 v1, vcc_lo, v1, s2
	v_add_co_ci_u32_e32 v2, vcc_lo, 0, v2, vcc_lo
.LBB12_36:
	s_mov_b32 s1, exec_lo
.LBB12_37:
	s_or_b32 exec_lo, exec_lo, s16
	s_delay_alu instid0(SALU_CYCLE_1)
	s_and_b32 vcc_lo, exec_lo, s31
	s_cbranch_vccz .LBB12_41
.LBB12_38:
	v_mov_b32_dpp v1, v13 quad_perm:[1,0,3,2] row_mask:0xf bank_mask:0xf
	s_delay_alu instid0(VALU_DEP_1) | instskip(SKIP_1) | instid1(VALU_DEP_1)
	v_cmp_gt_f32_e32 vcc_lo, v13, v1
	v_cndmask_b32_e32 v1, v1, v13, vcc_lo
	v_mov_b32_dpp v2, v1 quad_perm:[2,3,0,1] row_mask:0xf bank_mask:0xf
	s_delay_alu instid0(VALU_DEP_1) | instskip(SKIP_1) | instid1(VALU_DEP_1)
	v_cmp_gt_f32_e32 vcc_lo, v1, v2
	v_cndmask_b32_e32 v1, v2, v1, vcc_lo
	v_mov_b32_dpp v2, v1 row_xmask:7 row_mask:0xf bank_mask:0xf
	s_delay_alu instid0(VALU_DEP_1) | instskip(SKIP_1) | instid1(VALU_DEP_1)
	v_cmp_gt_f32_e32 vcc_lo, v1, v2
	v_cndmask_b32_e32 v1, v2, v1, vcc_lo
	v_mov_b32_dpp v2, v1 row_xmask:15 row_mask:0xf bank_mask:0xf
	s_delay_alu instid0(VALU_DEP_1)
	v_cmp_gt_f32_e32 vcc_lo, v1, v2
	s_and_saveexec_b32 s1, s0
	s_cbranch_execz .LBB12_40
; %bb.39:
	v_cndmask_b32_e32 v1, v2, v1, vcc_lo
	v_lshrrev_b32_e32 v2, 3, v0
	s_mov_b32 s0, 0x76543210
	s_delay_alu instid0(VALU_DEP_1) | instskip(NEXT) | instid1(VALU_DEP_3)
	v_and_b32_e32 v2, 0x7c, v2
	v_permlanex16_b32 v13, v1, s0, 0xfedcba98 op_sel:[1,1]
	s_delay_alu instid0(VALU_DEP_1)
	v_cmp_gt_f32_e32 vcc_lo, v1, v13
	v_cndmask_b32_e32 v1, v13, v1, vcc_lo
	ds_store_b32 v2, v1
.LBB12_40:
	s_or_b32 exec_lo, exec_lo, s1
	s_waitcnt lgkmcnt(0)
	s_barrier
	buffer_gl0_inv
	ds_load_b32 v1, v6
	v_cmp_eq_u32_e64 s1, 0, v0
	s_waitcnt lgkmcnt(0)
	v_mov_b32_dpp v2, v1 quad_perm:[1,0,3,2] row_mask:0xf bank_mask:0xf
	s_delay_alu instid0(VALU_DEP_1) | instskip(SKIP_1) | instid1(VALU_DEP_1)
	v_cmp_gt_f32_e32 vcc_lo, v1, v2
	v_cndmask_b32_e32 v1, v2, v1, vcc_lo
	v_mov_b32_dpp v2, v1 quad_perm:[2,3,0,1] row_mask:0xf bank_mask:0xf
	s_delay_alu instid0(VALU_DEP_1) | instskip(SKIP_1) | instid1(VALU_DEP_1)
	v_cmp_gt_f32_e32 vcc_lo, v1, v2
	v_cndmask_b32_e32 v1, v2, v1, vcc_lo
	v_mov_b32_dpp v2, v1 row_xmask:7 row_mask:0xf bank_mask:0xf
	s_delay_alu instid0(VALU_DEP_1) | instskip(SKIP_1) | instid1(VALU_DEP_1)
	v_cmp_gt_f32_e32 vcc_lo, v1, v2
	v_cndmask_b32_e32 v1, v2, v1, vcc_lo
	v_dual_mul_f32 v14, 0x3b124925, v1 :: v_dual_mov_b32 v1, s2
	v_mov_b32_e32 v2, s3
.LBB12_41:
	s_and_saveexec_b32 s0, s1
	s_cbranch_execz .LBB12_43
; %bb.42:
	s_delay_alu instid0(VALU_DEP_1) | instskip(NEXT) | instid1(VALU_DEP_1)
	v_lshlrev_b64 v[0:1], 2, v[1:2]
	v_add_co_u32 v0, vcc_lo, s8, v0
	s_delay_alu instid0(VALU_DEP_2)
	v_add_co_ci_u32_e32 v1, vcc_lo, s9, v1, vcc_lo
	global_store_b32 v[0:1], v14, off
.LBB12_43:
	s_or_b32 exec_lo, exec_lo, s0
	;;#ASMSTART
	v_rcp_f32 v0, v14
	;;#ASMEND
	v_dual_mul_f32 v1, v12, v0 :: v_dual_mov_b32 v6, 0xc3e00000
	v_dual_mul_f32 v2, v11, v0 :: v_dual_mov_b32 v11, 0x43e00000
	v_mul_f32_e32 v9, v9, v0
	v_mul_f32_e32 v10, v10, v0
	;;#ASMSTART
	v_med3_f32 v1, v1, v6, v11
v_med3_f32 v2, v2, v6, v11
v_cvt_pk_fp8_f32 v12, v1, v2
	;;#ASMEND
	;;#ASMSTART
	v_med3_f32 v9, v9, v6, v11
v_med3_f32 v10, v10, v6, v11
v_cvt_pk_fp8_f32 v1, v9, v10
	;;#ASMEND
	v_perm_b32 v2, v1, v12, 0x5040100
	v_and_b32_e32 v1, 0xffffff00, v1
	s_add_i32 s0, s13, 3
	v_mul_f32_e32 v7, v7, v0
	s_ashr_i32 s7, s0, 31
	v_lshrrev_b32_e32 v9, 16, v2
	v_mul_f32_e32 v8, v8, v0
	s_ashr_i32 s1, s17, 31
	s_lshr_b32 s7, s7, 30
	s_mul_hi_u32 s3, s17, s2
	v_and_b32_e32 v9, 0xff, v9
	s_add_i32 s0, s0, s7
	s_mul_i32 s1, s1, s2
	s_mul_i32 s6, s17, s2
	s_and_b32 s2, s0, -4
	v_or_b32_e32 v1, v9, v1
	v_mul_f32_e32 v4, v4, v0
	v_mul_f32_e32 v0, v3, v0
	;;#ASMSTART
	v_med3_f32 v8, v8, v6, v11
v_med3_f32 v7, v7, v6, v11
v_cvt_pk_fp8_f32 v3, v8, v7
	;;#ASMEND
	s_add_i32 s3, s3, s1
	v_lshlrev_b32_e32 v1, 16, v1
	;;#ASMSTART
	v_med3_f32 v4, v4, v6, v11
v_med3_f32 v0, v0, v6, v11
v_cvt_pk_fp8_f32 v6, v4, v0
	;;#ASMEND
	v_lshlrev_b32_e32 v4, 16, v6
	s_add_u32 s0, s4, s6
	s_addc_u32 s1, s5, s3
	v_and_or_b32 v0, 0xffff, v2, v1
	s_and_b32 s1, s1, 0xffff
	v_and_or_b32 v1, 0xffff, v3, v4
	s_mov_b32 s3, -1
	buffer_store_b64 v[0:1], v5, s[0:3], 0 offen
	;;#ASMSTART
	s_nop 0
	;;#ASMEND
.LBB12_44:
	s_nop 0
	s_sendmsg sendmsg(MSG_DEALLOC_VGPRS)
	s_endpgm
.LBB12_45:
                                        ; implicit-def: $vgpr1_vgpr2
	s_branch .LBB12_32
	.section	.rodata,"a",@progbits
	.p2align	6, 0x0
	.amdhsa_kernel _ZN5aiter24add_rmsnorm_quant_kernelItDB8_Li256ELi8ELb1ELb1ELb0ELi1EEEvPT0_PT_PfS5_S5_S5_diiiiiiib
		.amdhsa_group_segment_fixed_size 64
		.amdhsa_private_segment_fixed_size 0
		.amdhsa_kernarg_size 88
		.amdhsa_user_sgpr_count 15
		.amdhsa_user_sgpr_dispatch_ptr 0
		.amdhsa_user_sgpr_queue_ptr 0
		.amdhsa_user_sgpr_kernarg_segment_ptr 1
		.amdhsa_user_sgpr_dispatch_id 0
		.amdhsa_user_sgpr_private_segment_size 0
		.amdhsa_wavefront_size32 1
		.amdhsa_uses_dynamic_stack 0
		.amdhsa_enable_private_segment 0
		.amdhsa_system_sgpr_workgroup_id_x 1
		.amdhsa_system_sgpr_workgroup_id_y 0
		.amdhsa_system_sgpr_workgroup_id_z 0
		.amdhsa_system_sgpr_workgroup_info 0
		.amdhsa_system_vgpr_workitem_id 0
		.amdhsa_next_free_vgpr 24
		.amdhsa_next_free_sgpr 40
		.amdhsa_reserve_vcc 1
		.amdhsa_float_round_mode_32 0
		.amdhsa_float_round_mode_16_64 0
		.amdhsa_float_denorm_mode_32 3
		.amdhsa_float_denorm_mode_16_64 3
		.amdhsa_dx10_clamp 1
		.amdhsa_ieee_mode 1
		.amdhsa_fp16_overflow 0
		.amdhsa_workgroup_processor_mode 1
		.amdhsa_memory_ordered 1
		.amdhsa_forward_progress 0
		.amdhsa_shared_vgpr_count 0
		.amdhsa_exception_fp_ieee_invalid_op 0
		.amdhsa_exception_fp_denorm_src 0
		.amdhsa_exception_fp_ieee_div_zero 0
		.amdhsa_exception_fp_ieee_overflow 0
		.amdhsa_exception_fp_ieee_underflow 0
		.amdhsa_exception_fp_ieee_inexact 0
		.amdhsa_exception_int_div_zero 0
	.end_amdhsa_kernel
	.section	.text._ZN5aiter24add_rmsnorm_quant_kernelItDB8_Li256ELi8ELb1ELb1ELb0ELi1EEEvPT0_PT_PfS5_S5_S5_diiiiiiib,"axG",@progbits,_ZN5aiter24add_rmsnorm_quant_kernelItDB8_Li256ELi8ELb1ELb1ELb0ELi1EEEvPT0_PT_PfS5_S5_S5_diiiiiiib,comdat
.Lfunc_end12:
	.size	_ZN5aiter24add_rmsnorm_quant_kernelItDB8_Li256ELi8ELb1ELb1ELb0ELi1EEEvPT0_PT_PfS5_S5_S5_diiiiiiib, .Lfunc_end12-_ZN5aiter24add_rmsnorm_quant_kernelItDB8_Li256ELi8ELb1ELb1ELb0ELi1EEEvPT0_PT_PfS5_S5_S5_diiiiiiib
                                        ; -- End function
	.section	.AMDGPU.csdata,"",@progbits
; Kernel info:
; codeLenInByte = 3736
; NumSgprs: 42
; NumVgprs: 24
; ScratchSize: 0
; MemoryBound: 0
; FloatMode: 240
; IeeeMode: 1
; LDSByteSize: 64 bytes/workgroup (compile time only)
; SGPRBlocks: 5
; VGPRBlocks: 2
; NumSGPRsForWavesPerEU: 42
; NumVGPRsForWavesPerEU: 24
; Occupancy: 16
; WaveLimiterHint : 0
; COMPUTE_PGM_RSRC2:SCRATCH_EN: 0
; COMPUTE_PGM_RSRC2:USER_SGPR: 15
; COMPUTE_PGM_RSRC2:TRAP_HANDLER: 0
; COMPUTE_PGM_RSRC2:TGID_X_EN: 1
; COMPUTE_PGM_RSRC2:TGID_Y_EN: 0
; COMPUTE_PGM_RSRC2:TGID_Z_EN: 0
; COMPUTE_PGM_RSRC2:TIDIG_COMP_CNT: 0
	.section	.text._ZN5aiter24add_rmsnorm_quant_kernelIDF16_DB8_Li256ELi16ELb1ELb1ELb1ELi1EEEvPT0_PT_PfS5_S5_S5_diiiiiiib,"axG",@progbits,_ZN5aiter24add_rmsnorm_quant_kernelIDF16_DB8_Li256ELi16ELb1ELb1ELb1ELi1EEEvPT0_PT_PfS5_S5_S5_diiiiiiib,comdat
	.protected	_ZN5aiter24add_rmsnorm_quant_kernelIDF16_DB8_Li256ELi16ELb1ELb1ELb1ELi1EEEvPT0_PT_PfS5_S5_S5_diiiiiiib ; -- Begin function _ZN5aiter24add_rmsnorm_quant_kernelIDF16_DB8_Li256ELi16ELb1ELb1ELb1ELi1EEEvPT0_PT_PfS5_S5_S5_diiiiiiib
	.globl	_ZN5aiter24add_rmsnorm_quant_kernelIDF16_DB8_Li256ELi16ELb1ELb1ELb1ELi1EEEvPT0_PT_PfS5_S5_S5_diiiiiiib
	.p2align	8
	.type	_ZN5aiter24add_rmsnorm_quant_kernelIDF16_DB8_Li256ELi16ELb1ELb1ELb1ELi1EEEvPT0_PT_PfS5_S5_S5_diiiiiiib,@function
_ZN5aiter24add_rmsnorm_quant_kernelIDF16_DB8_Li256ELi16ELb1ELb1ELb1ELi1EEEvPT0_PT_PfS5_S5_S5_diiiiiiib: ; @_ZN5aiter24add_rmsnorm_quant_kernelIDF16_DB8_Li256ELi16ELb1ELb1ELb1ELi1EEEvPT0_PT_PfS5_S5_S5_diiiiiiib
; %bb.0:
	s_load_b256 s[4:11], s[0:1], 0x38
	s_mov_b32 s34, s15
	s_mov_b32 s35, 0
	s_waitcnt lgkmcnt(0)
	s_ashr_i32 s3, s4, 31
	s_mov_b32 s2, s4
	s_delay_alu instid0(SALU_CYCLE_1) | instskip(NEXT) | instid1(VALU_DEP_1)
	v_cmp_ge_i64_e64 s2, s[34:35], s[2:3]
	s_and_b32 vcc_lo, exec_lo, s2
	s_cbranch_vccnz .LBB13_44
; %bb.1:
	s_clause 0x1
	s_load_b256 s[12:19], s[0:1], 0x0
	s_load_b256 s[20:27], s[0:1], 0x20
	v_lshlrev_b32_e32 v19, 4, v0
	s_ashr_i32 s0, s6, 31
	s_mul_hi_u32 s3, s6, s34
	s_mul_i32 s0, s0, s34
	v_lshlrev_b32_e32 v1, 3, v0
	v_and_b32_e32 v2, 0x3e00, v19
	s_mul_i32 s2, s6, s34
	s_add_i32 s3, s3, s0
	s_waitcnt lgkmcnt(0)
	s_mul_hi_u32 s26, s7, s34
	s_lshl_b64 s[2:3], s[2:3], 1
	v_and_or_b32 v9, 0xf8, v1, v2
	s_mul_i32 s6, s7, s34
	s_mov_b32 s31, -1
	s_movk_i32 s1, 0x200
	s_mov_b32 s39, s31
	v_lshlrev_b32_e32 v37, 1, v9
	v_and_b32_e32 v38, 31, v0
	s_add_u32 s28, s18, s2
	s_addc_u32 s0, s19, s3
	s_add_i32 s2, s5, 1
	s_ashr_i32 s3, s7, 31
	s_lshr_b32 s7, s2, 31
	s_mul_i32 s3, s3, s34
	s_add_i32 s2, s2, s7
	s_and_b32 s29, s0, 0xffff
	s_lshl_b32 s0, s2, 1
	s_add_i32 s7, s26, s3
	s_and_b32 s30, s0, -4
	s_lshl_b64 s[2:3], s[6:7], 1
	s_and_b32 s37, s23, 0xffff
	s_clause 0x1
	buffer_load_b128 v[13:16], v37, s[28:31], 0 offen glc slc
	buffer_load_b128 v[22:25], v37, s[28:31], s1 offen glc slc
	s_add_u32 s28, s20, s2
	s_addc_u32 s0, s21, s3
	s_mov_b32 s36, s22
	s_and_b32 s29, s0, 0xffff
	s_clause 0x1
	buffer_load_b128 v[26:29], v37, s[28:31], 0 offen glc slc
	buffer_load_b128 v[30:33], v37, s[28:31], s1 offen glc slc
	s_mov_b32 s38, s30
	s_ashr_i32 s0, s8, 31
	s_mul_hi_u32 s3, s8, s34
	s_mul_i32 s0, s0, s34
	s_mul_i32 s2, s8, s34
	s_add_i32 s3, s3, s0
	s_delay_alu instid0(SALU_CYCLE_1) | instskip(NEXT) | instid1(SALU_CYCLE_1)
	s_lshl_b64 s[2:3], s[2:3], 1
	s_add_u32 s28, s14, s2
	s_addc_u32 s0, s15, s3
	s_delay_alu instid0(SALU_CYCLE_1)
	s_and_b32 s29, s0, 0xffff
	v_cmp_eq_u32_e64 s0, 31, v38
	s_waitcnt vmcnt(3)
	v_lshrrev_b32_e32 v10, 16, v13
	v_cvt_f32_f16_e32 v12, v13
	v_cvt_f32_f16_e32 v13, v14
	s_delay_alu instid0(VALU_DEP_3)
	v_cvt_f32_f16_e32 v10, v10
	s_waitcnt vmcnt(1)
	v_lshrrev_b32_e32 v11, 16, v26
	v_cvt_f32_f16_e32 v17, v26
	v_lshrrev_b32_e32 v18, 16, v27
	v_cvt_f32_f16_e32 v20, v28
	;; [unrolled: 2-line block ×3, first 2 shown]
	v_add_f32_e32 v12, v12, v17
	v_cvt_f32_f16_e32 v17, v15
	v_cvt_f32_f16_e32 v18, v18
	v_lshrrev_b32_e32 v15, 16, v15
	v_add_f32_e32 v11, v10, v11
	v_lshrrev_b32_e32 v10, 16, v14
	v_cvt_f32_f16_e32 v14, v27
	v_cvt_f32_f16_e32 v21, v21
	v_lshrrev_b32_e32 v26, 16, v29
	v_mul_f32_e32 v34, v11, v11
	v_cvt_f32_f16_e32 v10, v10
	v_add_f32_e32 v13, v13, v14
	s_waitcnt vmcnt(0)
	v_lshrrev_b32_e32 v28, 16, v31
	v_cvt_f32_f16_e32 v26, v26
	v_fmac_f32_e32 v34, v12, v12
	s_clause 0x1
	buffer_load_b128 v[5:8], v37, s[36:39], 0 offen
	buffer_load_b128 v[1:4], v37, s[36:39], s1 offen
	v_add_f32_e32 v14, v10, v18
	v_cvt_f32_f16_e32 v18, v15
	v_add_f32_e32 v15, v17, v20
	v_lshrrev_b32_e32 v17, 16, v16
	v_cvt_f32_f16_e32 v10, v16
	v_fmac_f32_e32 v34, v13, v13
	v_add_f32_e32 v16, v18, v21
	v_cvt_f32_f16_e32 v20, v29
	v_cvt_f32_f16_e32 v18, v17
	v_cvt_f32_f16_e32 v28, v28
	v_cvt_f32_f16_e32 v21, v22
	v_cvt_f32_f16_e32 v27, v31
	v_cvt_f16_f32_e32 v39, v11
	v_add_f32_e32 v18, v18, v26
	v_cvt_f32_f16_e32 v26, v23
	v_lshrrev_b32_e32 v23, 16, v23
	v_add_f32_e32 v17, v10, v20
	v_lshrrev_b32_e32 v10, 16, v22
	v_lshrrev_b32_e32 v22, 16, v30
	v_cvt_f32_f16_e32 v20, v30
	v_cvt_f32_f16_e32 v23, v23
	v_fmac_f32_e32 v34, v14, v14
	v_cvt_f32_f16_e32 v10, v10
	v_cvt_f32_f16_e32 v22, v22
	v_add_f32_e32 v20, v21, v20
	v_add_f32_e32 v23, v23, v28
	v_fmac_f32_e32 v34, v15, v15
	v_lshrrev_b32_e32 v30, 16, v33
	v_add_f32_e32 v21, v10, v22
	v_cvt_f32_f16_e32 v10, v24
	v_add_f32_e32 v22, v26, v27
	v_lshrrev_b32_e32 v24, 16, v24
	v_cvt_f32_f16_e32 v26, v32
	v_lshrrev_b32_e32 v27, 16, v32
	v_cvt_f32_f16_e32 v28, v25
	v_cvt_f16_f32_e32 v31, v17
	v_cvt_f32_f16_e32 v29, v24
	v_add_f32_e32 v24, v10, v26
	v_cvt_f32_f16_e32 v27, v27
	v_lshrrev_b32_e32 v10, 16, v25
	v_cvt_f32_f16_e32 v26, v33
	v_cvt_f16_f32_e32 v33, v20
	v_cvt_f16_f32_e32 v35, v24
	v_add_f32_e32 v25, v29, v27
	v_cvt_f32_f16_e32 v10, v10
	v_cvt_f32_f16_e32 v27, v30
	v_fmac_f32_e32 v34, v16, v16
	v_add_f32_e32 v26, v28, v26
	v_cvt_f16_f32_e32 v28, v12
	v_cvt_f16_f32_e32 v29, v13
	s_delay_alu instid0(VALU_DEP_4)
	v_dual_add_f32 v27, v10, v27 :: v_dual_fmac_f32 v34, v17, v17
	v_cvt_f16_f32_e32 v30, v15
	v_cvt_f16_f32_e32 v36, v26
	;; [unrolled: 1-line block ×4, first 2 shown]
	v_fmac_f32_e32 v34, v18, v18
	v_cvt_f16_f32_e32 v42, v18
	v_cvt_f16_f32_e32 v43, v21
	v_cvt_f16_f32_e32 v44, v23
	v_cvt_f16_f32_e32 v45, v25
	v_fmac_f32_e32 v34, v20, v20
	v_cvt_f16_f32_e32 v46, v27
	v_pack_b32_f16 v33, v33, v43
	s_delay_alu instid0(VALU_DEP_4) | instskip(NEXT) | instid1(VALU_DEP_4)
	v_pack_b32_f16 v35, v35, v45
	v_fmac_f32_e32 v34, v21, v21
	s_delay_alu instid0(VALU_DEP_4) | instskip(NEXT) | instid1(VALU_DEP_2)
	v_pack_b32_f16 v36, v36, v46
	v_fmac_f32_e32 v34, v22, v22
	s_delay_alu instid0(VALU_DEP_1) | instskip(NEXT) | instid1(VALU_DEP_1)
	v_fmac_f32_e32 v34, v23, v23
	v_fmac_f32_e32 v34, v24, v24
	s_delay_alu instid0(VALU_DEP_1) | instskip(NEXT) | instid1(VALU_DEP_1)
	v_fmac_f32_e32 v34, v25, v25
	;; [unrolled: 3-line block ×3, first 2 shown]
	v_mov_b32_dpp v10, v34 quad_perm:[1,0,3,2] row_mask:0xf bank_mask:0xf
	s_delay_alu instid0(VALU_DEP_1) | instskip(SKIP_1) | instid1(VALU_DEP_2)
	v_add_f32_e32 v10, v34, v10
	v_cvt_f16_f32_e32 v34, v22
	v_mov_b32_dpp v32, v10 quad_perm:[2,3,0,1] row_mask:0xf bank_mask:0xf
	s_delay_alu instid0(VALU_DEP_2) | instskip(NEXT) | instid1(VALU_DEP_2)
	v_pack_b32_f16 v34, v34, v44
	v_add_f32_e32 v10, v10, v32
	v_pack_b32_f16 v32, v31, v42
	v_pack_b32_f16 v31, v30, v41
	;; [unrolled: 1-line block ×4, first 2 shown]
	v_mov_b32_dpp v47, v10 row_xmask:7 row_mask:0xf bank_mask:0xf
	buffer_store_b128 v[29:32], v37, s[28:31], 0 offen glc slc
	v_add_f32_e32 v10, v10, v47
	;;#ASMSTART
	s_nop 0
	;;#ASMEND
	buffer_store_b128 v[33:36], v37, s[28:31], s1 offen glc slc
	;;#ASMSTART
	s_nop 0
	;;#ASMEND
	v_mov_b32_dpp v28, v10 row_xmask:15 row_mask:0xf bank_mask:0xf
	s_and_saveexec_b32 s1, s0
	s_cbranch_execz .LBB13_3
; %bb.2:
	s_delay_alu instid0(VALU_DEP_1) | instskip(SKIP_2) | instid1(VALU_DEP_2)
	v_add_f32_e32 v10, v10, v28
	s_mov_b32 s2, 0x76543210
	v_lshrrev_b32_e32 v28, 3, v0
	v_permlanex16_b32 v29, v10, s2, 0xfedcba98 op_sel:[1,1]
	s_delay_alu instid0(VALU_DEP_2) | instskip(NEXT) | instid1(VALU_DEP_2)
	v_and_b32_e32 v28, 0x7c, v28
	v_add_f32_e32 v10, v10, v29
	ds_store_b32 v28, v10 offset:32
.LBB13_3:
	s_or_b32 exec_lo, exec_lo, s1
	v_and_b32_e32 v10, 7, v0
	s_waitcnt vmcnt(0) lgkmcnt(0)
	s_waitcnt_vscnt null, 0x0
	s_barrier
	buffer_gl0_inv
	v_cvt_f32_i32_e32 v30, s5
	v_dual_mov_b32 v37, 0x2edbe6ff :: v_dual_lshlrev_b32 v10, 2, v10
	v_cvt_f32_f16_e32 v36, v4
	v_cvt_f32_f16_e32 v35, v3
	v_lshrrev_b32_e32 v3, 16, v3
	ds_load_b32 v28, v10 offset:32
	v_lshrrev_b32_e32 v4, 16, v4
	s_cmp_lg_u32 s10, 0
	v_cvt_f32_f16_e32 v3, v3
	s_delay_alu instid0(VALU_DEP_2) | instskip(SKIP_2) | instid1(VALU_DEP_1)
	v_cvt_f32_f16_e32 v4, v4
	s_waitcnt lgkmcnt(0)
	v_mov_b32_dpp v29, v28 quad_perm:[1,0,3,2] row_mask:0xf bank_mask:0xf
	v_add_f32_e32 v28, v28, v29
	s_delay_alu instid0(VALU_DEP_1) | instskip(NEXT) | instid1(VALU_DEP_1)
	v_mov_b32_dpp v29, v28 quad_perm:[2,3,0,1] row_mask:0xf bank_mask:0xf
	v_add_f32_e32 v28, v28, v29
	s_delay_alu instid0(VALU_DEP_1) | instskip(NEXT) | instid1(VALU_DEP_1)
	v_mov_b32_dpp v29, v28 row_xmask:7 row_mask:0xf bank_mask:0xf
	v_add_f32_e32 v28, v28, v29
	s_delay_alu instid0(VALU_DEP_1) | instskip(SKIP_1) | instid1(VALU_DEP_2)
	v_div_scale_f32 v29, null, v30, v30, v28
	v_div_scale_f32 v33, vcc_lo, v28, v30, v28
	v_rcp_f32_e32 v31, v29
	s_waitcnt_depctr 0xfff
	v_fma_f32 v32, -v29, v31, 1.0
	s_delay_alu instid0(VALU_DEP_1) | instskip(NEXT) | instid1(VALU_DEP_1)
	v_fmac_f32_e32 v31, v32, v31
	v_mul_f32_e32 v32, v33, v31
	s_delay_alu instid0(VALU_DEP_1) | instskip(NEXT) | instid1(VALU_DEP_1)
	v_fma_f32 v34, -v29, v32, v33
	v_fmac_f32_e32 v32, v34, v31
	v_cvt_f32_f16_e32 v34, v2
	v_lshrrev_b32_e32 v2, 16, v2
	s_delay_alu instid0(VALU_DEP_3) | instskip(SKIP_2) | instid1(VALU_DEP_4)
	v_fma_f32 v29, -v29, v32, v33
	v_cvt_f32_f16_e32 v33, v1
	v_lshrrev_b32_e32 v1, 16, v1
	v_cvt_f32_f16_e32 v2, v2
	s_delay_alu instid0(VALU_DEP_4)
	v_div_fmas_f32 v29, v29, v31, v32
	v_cvt_f32_f16_e32 v31, v6
	v_lshrrev_b32_e32 v6, 16, v6
	v_cvt_f32_f16_e32 v1, v1
	v_cvt_f32_f16_e32 v32, v8
	v_div_fixup_f32 v28, v29, v30, v28
	v_lshrrev_b32_e32 v8, 16, v8
	v_cvt_f32_f16_e32 v6, v6
	s_delay_alu instid0(VALU_DEP_3) | instskip(NEXT) | instid1(VALU_DEP_3)
	v_cvt_f64_f32_e32 v[28:29], v28
	v_cvt_f32_f16_e32 v8, v8
	s_delay_alu instid0(VALU_DEP_2) | instskip(NEXT) | instid1(VALU_DEP_1)
	v_add_f64 v[28:29], v[28:29], s[24:25]
	v_cvt_f32_f64_e32 v28, v[28:29]
	v_cvt_f32_f16_e32 v29, v5
	v_lshrrev_b32_e32 v5, 16, v5
	s_delay_alu instid0(VALU_DEP_1) | instskip(NEXT) | instid1(VALU_DEP_4)
	v_cvt_f32_f16_e32 v5, v5
	v_mul_f32_e32 v30, 0x4b800000, v28
	v_cmp_gt_f32_e32 vcc_lo, 0x800000, v28
	s_delay_alu instid0(VALU_DEP_2) | instskip(SKIP_2) | instid1(VALU_DEP_3)
	v_cndmask_b32_e32 v28, v28, v30, vcc_lo
	v_cvt_f32_f16_e32 v30, v7
	v_lshrrev_b32_e32 v7, 16, v7
	v_rsq_f32_e32 v28, v28
	s_delay_alu instid0(VALU_DEP_1) | instskip(SKIP_2) | instid1(VALU_DEP_1)
	v_cvt_f32_f16_e32 v7, v7
	s_waitcnt_depctr 0xfff
	v_mul_f32_e32 v38, 0x45800000, v28
	v_cndmask_b32_e32 v28, v28, v38, vcc_lo
	s_delay_alu instid0(VALU_DEP_1) | instskip(SKIP_1) | instid1(VALU_DEP_2)
	v_mul_f32_e32 v12, v12, v28
	v_mul_f32_e32 v40, v20, v28
	v_dual_mul_f32 v41, v21, v28 :: v_dual_mul_f32 v20, v12, v29
	s_delay_alu instid0(VALU_DEP_1)
	v_dual_mul_f32 v12, v41, v1 :: v_dual_and_b32 v1, 0x7fffffff, v20
	v_mul_f32_e32 v11, v11, v28
	v_mul_f32_e32 v24, v24, v28
	;; [unrolled: 1-line block ×9, first 2 shown]
	v_dual_mul_f32 v15, v15, v28 :: v_dual_mul_f32 v18, v14, v6
	v_mul_f32_e32 v16, v16, v28
	v_mul_f32_e32 v27, v27, v28
	;; [unrolled: 1-line block ×5, first 2 shown]
	v_dual_mul_f32 v26, v26, v28 :: v_dual_mul_f32 v17, v13, v31
	v_dual_mul_f32 v15, v15, v30 :: v_dual_mul_f32 v6, v25, v3
	v_mul_f32_e32 v8, v23, v2
	v_dual_mul_f32 v16, v16, v7 :: v_dual_and_b32 v23, 0x7fffffff, v18
	v_and_b32_e32 v2, 0x7fffffff, v21
	v_dual_mul_f32 v4, v27, v4 :: v_dual_and_b32 v27, 0x7fffffff, v14
	v_mul_f32_e32 v13, v38, v32
	v_mul_f32_e32 v11, v40, v33
	;; [unrolled: 1-line block ×3, first 2 shown]
	;;#ASMSTART
	v_max3_f32 v1, v37, v1, v2

	;;#ASMEND
	v_dual_mul_f32 v3, v26, v36 :: v_dual_and_b32 v22, 0x7fffffff, v17
	;;#ASMSTART
	v_max3_f32 v1, v1, v22, v23

	;;#ASMEND
	v_and_b32_e32 v24, 0x7fffffff, v15
	v_and_b32_e32 v25, 0x7fffffff, v16
	;;#ASMSTART
	v_max3_f32 v1, v1, v24, v25

	;;#ASMEND
	v_and_b32_e32 v26, 0x7fffffff, v13
	;;#ASMSTART
	v_max3_f32 v1, v1, v26, v27

	;;#ASMEND
	v_and_b32_e32 v28, 0x7fffffff, v11
	v_and_b32_e32 v29, 0x7fffffff, v12
	;;#ASMSTART
	v_max3_f32 v1, v1, v28, v29

	;;#ASMEND
	v_and_b32_e32 v30, 0x7fffffff, v7
	;; [unrolled: 6-line block ×3, first 2 shown]
	v_and_b32_e32 v33, 0x7fffffff, v6
	v_and_b32_e32 v34, 0x7fffffff, v3
	v_and_b32_e32 v35, 0x7fffffff, v4
	;;#ASMSTART
	v_max3_f32 v1, v1, v32, v33

	;;#ASMEND
	;;#ASMSTART
	v_max3_f32 v22, v1, v34, v35

	;;#ASMEND
	s_cbranch_scc0 .LBB13_10
; %bb.4:
	s_ashr_i32 s7, s10, 31
	s_delay_alu instid0(SALU_CYCLE_1) | instskip(NEXT) | instid1(SALU_CYCLE_1)
	s_lshr_b32 s1, s7, 28
	s_add_i32 s1, s10, s1
	s_delay_alu instid0(SALU_CYCLE_1) | instskip(NEXT) | instid1(SALU_CYCLE_1)
	s_ashr_i32 s1, s1, 4
	s_cmp_lt_i32 s1, 8
	s_cbranch_scc1 .LBB13_11
; %bb.5:
	s_cmp_lt_i32 s1, 16
	s_cbranch_scc1 .LBB13_12
; %bb.6:
	;; [unrolled: 3-line block ×3, first 2 shown]
	v_mov_b32_e32 v1, v22
	s_cmp_eq_u32 s1, 32
	s_cbranch_scc0 .LBB13_9
; %bb.8:
	s_delay_alu instid0(VALU_DEP_1) | instskip(SKIP_1) | instid1(VALU_DEP_1)
	v_mov_b32_dpp v1, v22 quad_perm:[1,0,3,2] row_mask:0xf bank_mask:0xf
	s_mov_b32 s2, 0x76543210
	v_cmp_gt_f32_e32 vcc_lo, v22, v1
	v_cndmask_b32_e32 v1, v1, v22, vcc_lo
	s_delay_alu instid0(VALU_DEP_1) | instskip(NEXT) | instid1(VALU_DEP_1)
	v_mov_b32_dpp v2, v1 quad_perm:[2,3,0,1] row_mask:0xf bank_mask:0xf
	v_cmp_gt_f32_e32 vcc_lo, v1, v2
	v_cndmask_b32_e32 v1, v2, v1, vcc_lo
	s_delay_alu instid0(VALU_DEP_1) | instskip(NEXT) | instid1(VALU_DEP_1)
	v_mov_b32_dpp v2, v1 row_xmask:7 row_mask:0xf bank_mask:0xf
	v_cmp_gt_f32_e32 vcc_lo, v1, v2
	v_cndmask_b32_e32 v1, v2, v1, vcc_lo
	s_delay_alu instid0(VALU_DEP_1) | instskip(NEXT) | instid1(VALU_DEP_1)
	v_mov_b32_dpp v2, v1 row_xmask:15 row_mask:0xf bank_mask:0xf
	v_cmp_gt_f32_e32 vcc_lo, v1, v2
	v_cndmask_b32_e32 v1, v2, v1, vcc_lo
	s_delay_alu instid0(VALU_DEP_1) | instskip(NEXT) | instid1(VALU_DEP_1)
	v_permlanex16_b32 v2, v1, s2, 0xfedcba98 op_sel:[1,1]
	v_cmp_gt_f32_e32 vcc_lo, v1, v2
	v_cndmask_b32_e32 v1, v2, v1, vcc_lo
.LBB13_9:
	s_mov_b32 s2, 0
	s_branch .LBB13_14
.LBB13_10:
	s_mov_b32 s1, 0
                                        ; implicit-def: $vgpr19
                                        ; implicit-def: $vgpr1_vgpr2
	s_and_b32 vcc_lo, exec_lo, s31
	s_cbranch_vccnz .LBB13_38
	s_branch .LBB13_41
.LBB13_11:
                                        ; implicit-def: $vgpr1
	s_branch .LBB13_21
.LBB13_12:
                                        ; implicit-def: $vgpr1
	s_branch .LBB13_18
.LBB13_13:
	s_mov_b32 s2, -1
                                        ; implicit-def: $vgpr1
.LBB13_14:
	s_delay_alu instid0(SALU_CYCLE_1)
	s_and_not1_b32 vcc_lo, exec_lo, s2
	s_cbranch_vccnz .LBB13_17
; %bb.15:
	v_mov_b32_e32 v1, v22
	s_cmp_eq_u32 s1, 16
	s_cbranch_scc0 .LBB13_17
; %bb.16:
	s_delay_alu instid0(VALU_DEP_1) | instskip(NEXT) | instid1(VALU_DEP_1)
	v_mov_b32_dpp v1, v22 quad_perm:[1,0,3,2] row_mask:0xf bank_mask:0xf
	v_cmp_gt_f32_e32 vcc_lo, v22, v1
	v_cndmask_b32_e32 v1, v1, v22, vcc_lo
	s_delay_alu instid0(VALU_DEP_1) | instskip(NEXT) | instid1(VALU_DEP_1)
	v_mov_b32_dpp v2, v1 quad_perm:[2,3,0,1] row_mask:0xf bank_mask:0xf
	v_cmp_gt_f32_e32 vcc_lo, v1, v2
	v_cndmask_b32_e32 v1, v2, v1, vcc_lo
	s_delay_alu instid0(VALU_DEP_1) | instskip(NEXT) | instid1(VALU_DEP_1)
	v_mov_b32_dpp v2, v1 row_half_mirror row_mask:0xf bank_mask:0xf
	v_cmp_gt_f32_e32 vcc_lo, v1, v2
	v_cndmask_b32_e32 v1, v2, v1, vcc_lo
	s_delay_alu instid0(VALU_DEP_1) | instskip(NEXT) | instid1(VALU_DEP_1)
	v_mov_b32_dpp v2, v1 row_mirror row_mask:0xf bank_mask:0xf
	v_cmp_gt_f32_e32 vcc_lo, v1, v2
	v_cndmask_b32_e32 v1, v2, v1, vcc_lo
.LBB13_17:
	s_cbranch_execnz .LBB13_20
.LBB13_18:
	v_mov_b32_e32 v1, v22
	s_cmp_eq_u32 s1, 8
	s_cbranch_scc0 .LBB13_20
; %bb.19:
	s_delay_alu instid0(VALU_DEP_1) | instskip(NEXT) | instid1(VALU_DEP_1)
	v_mov_b32_dpp v1, v22 quad_perm:[1,0,3,2] row_mask:0xf bank_mask:0xf
	v_cmp_gt_f32_e32 vcc_lo, v22, v1
	v_cndmask_b32_e32 v1, v1, v22, vcc_lo
	s_delay_alu instid0(VALU_DEP_1) | instskip(NEXT) | instid1(VALU_DEP_1)
	v_mov_b32_dpp v2, v1 quad_perm:[2,3,0,1] row_mask:0xf bank_mask:0xf
	v_cmp_gt_f32_e32 vcc_lo, v1, v2
	v_cndmask_b32_e32 v1, v2, v1, vcc_lo
	s_delay_alu instid0(VALU_DEP_1) | instskip(NEXT) | instid1(VALU_DEP_1)
	v_mov_b32_dpp v2, v1 row_half_mirror row_mask:0xf bank_mask:0xf
	v_cmp_gt_f32_e32 vcc_lo, v1, v2
	v_cndmask_b32_e32 v1, v2, v1, vcc_lo
.LBB13_20:
	s_cbranch_execnz .LBB13_28
.LBB13_21:
	s_cmp_lt_i32 s1, 4
	s_cbranch_scc1 .LBB13_24
; %bb.22:
	v_mov_b32_e32 v1, v22
	s_cmp_eq_u32 s1, 4
	s_cbranch_scc0 .LBB13_25
; %bb.23:
	s_delay_alu instid0(VALU_DEP_1) | instskip(NEXT) | instid1(VALU_DEP_1)
	v_mov_b32_dpp v1, v22 quad_perm:[1,0,3,2] row_mask:0xf bank_mask:0xf
	v_cmp_gt_f32_e32 vcc_lo, v22, v1
	v_cndmask_b32_e32 v1, v1, v22, vcc_lo
	s_delay_alu instid0(VALU_DEP_1) | instskip(NEXT) | instid1(VALU_DEP_1)
	v_mov_b32_dpp v2, v1 quad_perm:[2,3,0,1] row_mask:0xf bank_mask:0xf
	v_cmp_gt_f32_e32 vcc_lo, v1, v2
	v_cndmask_b32_e32 v1, v2, v1, vcc_lo
	s_cbranch_execz .LBB13_26
	s_branch .LBB13_28
.LBB13_24:
                                        ; implicit-def: $vgpr1
	s_branch .LBB13_26
.LBB13_25:
	s_cbranch_execnz .LBB13_28
.LBB13_26:
	v_mov_b32_e32 v1, v22
	s_cmp_lg_u32 s1, 2
	s_cbranch_scc1 .LBB13_28
; %bb.27:
	s_delay_alu instid0(VALU_DEP_1) | instskip(NEXT) | instid1(VALU_DEP_1)
	v_mov_b32_dpp v1, v22 quad_perm:[1,0,3,2] row_mask:0xf bank_mask:0xf
	v_cmp_gt_f32_e32 vcc_lo, v22, v1
	v_cndmask_b32_e32 v1, v1, v22, vcc_lo
.LBB13_28:
	v_cvt_f32_u32_e32 v2, s1
	s_sub_i32 s2, 0, s1
	s_mov_b32 s31, 0
	s_delay_alu instid0(VALU_DEP_1) | instskip(SKIP_2) | instid1(VALU_DEP_1)
	v_rcp_iflag_f32_e32 v2, v2
	s_waitcnt_depctr 0xfff
	v_mul_f32_e32 v2, 0x4f7ffffe, v2
	v_cvt_u32_f32_e32 v2, v2
	s_delay_alu instid0(VALU_DEP_1) | instskip(NEXT) | instid1(VALU_DEP_1)
	v_mul_lo_u32 v23, s2, v2
	v_mul_hi_u32 v23, v2, v23
	s_delay_alu instid0(VALU_DEP_1) | instskip(NEXT) | instid1(VALU_DEP_1)
	v_add_nc_u32_e32 v2, v2, v23
	v_mul_hi_u32 v2, v0, v2
	s_delay_alu instid0(VALU_DEP_1) | instskip(SKIP_1) | instid1(VALU_DEP_2)
	v_mul_lo_u32 v23, v2, s1
	v_add_nc_u32_e32 v24, 1, v2
	v_sub_nc_u32_e32 v23, v0, v23
	s_delay_alu instid0(VALU_DEP_1) | instskip(SKIP_1) | instid1(VALU_DEP_2)
	v_subrev_nc_u32_e32 v25, s1, v23
	v_cmp_le_u32_e32 vcc_lo, s1, v23
	v_dual_cndmask_b32 v2, v2, v24 :: v_dual_cndmask_b32 v23, v23, v25
	s_delay_alu instid0(VALU_DEP_1) | instskip(NEXT) | instid1(VALU_DEP_2)
	v_add_nc_u32_e32 v24, 1, v2
	v_cmp_le_u32_e32 vcc_lo, s1, v23
	s_delay_alu instid0(VALU_DEP_2) | instskip(SKIP_2) | instid1(VALU_DEP_3)
	v_cndmask_b32_e32 v23, v2, v24, vcc_lo
	v_cmp_gt_u32_e32 vcc_lo, s5, v19
	v_mul_f32_e32 v19, 0x3b124925, v1
	v_mul_lo_u32 v2, v23, s1
	s_delay_alu instid0(VALU_DEP_1) | instskip(NEXT) | instid1(VALU_DEP_1)
	v_sub_nc_u32_e32 v2, v0, v2
	v_cmp_eq_u32_e64 s1, 0, v2
                                        ; implicit-def: $vgpr1_vgpr2
	s_delay_alu instid0(VALU_DEP_1) | instskip(SKIP_2) | instid1(SALU_CYCLE_1)
	s_and_b32 s2, s1, vcc_lo
	s_mov_b32 s1, 0
	s_and_saveexec_b32 s3, s2
	s_xor_b32 s8, exec_lo, s3
	s_cbranch_execz .LBB13_37
; %bb.29:
	s_bitcmp0_b32 s11, 0
	s_mov_b32 s6, 0
	s_cbranch_scc0 .LBB13_34
; %bb.30:
	s_ashr_i32 s1, s5, 31
	s_mul_hi_u32 s3, s5, s34
	s_mul_i32 s1, s1, s34
	s_mul_i32 s2, s5, s34
	s_add_i32 s3, s3, s1
	s_mov_b32 s11, s7
	s_delay_alu instid0(SALU_CYCLE_1) | instskip(NEXT) | instid1(SALU_CYCLE_1)
	s_or_b64 s[14:15], s[2:3], s[10:11]
	s_mov_b32 s7, s15
	s_delay_alu instid0(SALU_CYCLE_1)
	s_cmp_lg_u64 s[6:7], 0
	s_cbranch_scc0 .LBB13_45
; %bb.31:
	s_add_u32 s14, s10, s11
	s_mov_b32 s6, s11
	s_mov_b32 s7, s11
	s_addc_u32 s15, s11, s11
	s_delay_alu instid0(SALU_CYCLE_1) | instskip(NEXT) | instid1(SALU_CYCLE_1)
	s_xor_b64 s[14:15], s[14:15], s[6:7]
	v_cvt_f32_u32_e32 v1, s14
	v_cvt_f32_u32_e32 v2, s15
	s_sub_u32 s18, 0, s14
	s_subb_u32 s19, 0, s15
	s_delay_alu instid0(VALU_DEP_1) | instskip(NEXT) | instid1(VALU_DEP_1)
	v_fmamk_f32 v1, v2, 0x4f800000, v1
	v_rcp_f32_e32 v1, v1
	s_waitcnt_depctr 0xfff
	v_mul_f32_e32 v1, 0x5f7ffffc, v1
	s_delay_alu instid0(VALU_DEP_1) | instskip(NEXT) | instid1(VALU_DEP_1)
	v_mul_f32_e32 v2, 0x2f800000, v1
	v_trunc_f32_e32 v2, v2
	s_delay_alu instid0(VALU_DEP_1) | instskip(SKIP_1) | instid1(VALU_DEP_2)
	v_fmamk_f32 v1, v2, 0xcf800000, v1
	v_cvt_u32_f32_e32 v2, v2
	v_cvt_u32_f32_e32 v1, v1
	s_delay_alu instid0(VALU_DEP_2) | instskip(NEXT) | instid1(VALU_DEP_2)
	v_readfirstlane_b32 s1, v2
	v_readfirstlane_b32 s11, v1
	s_delay_alu instid0(VALU_DEP_2) | instskip(NEXT) | instid1(VALU_DEP_1)
	s_mul_i32 s20, s18, s1
	s_mul_hi_u32 s22, s18, s11
	s_mul_i32 s21, s19, s11
	s_add_i32 s20, s22, s20
	s_mul_i32 s23, s18, s11
	s_add_i32 s20, s20, s21
	s_mul_hi_u32 s22, s11, s23
	s_mul_hi_u32 s24, s1, s23
	s_mul_i32 s21, s1, s23
	s_mul_hi_u32 s23, s11, s20
	s_mul_i32 s11, s11, s20
	s_mul_hi_u32 s25, s1, s20
	s_add_u32 s11, s22, s11
	s_addc_u32 s22, 0, s23
	s_add_u32 s11, s11, s21
	s_mul_i32 s20, s1, s20
	s_addc_u32 s11, s22, s24
	s_addc_u32 s21, s25, 0
	s_add_u32 s11, s11, s20
	s_addc_u32 s20, 0, s21
	v_add_co_u32 v1, s11, v1, s11
	s_delay_alu instid0(VALU_DEP_1) | instskip(SKIP_1) | instid1(VALU_DEP_1)
	s_cmp_lg_u32 s11, 0
	s_addc_u32 s1, s1, s20
	v_readfirstlane_b32 s11, v1
	s_mul_i32 s20, s18, s1
	s_delay_alu instid0(VALU_DEP_1)
	s_mul_hi_u32 s21, s18, s11
	s_mul_i32 s19, s19, s11
	s_add_i32 s20, s21, s20
	s_mul_i32 s18, s18, s11
	s_add_i32 s20, s20, s19
	s_mul_hi_u32 s21, s1, s18
	s_mul_i32 s22, s1, s18
	s_mul_hi_u32 s18, s11, s18
	s_mul_hi_u32 s23, s11, s20
	s_mul_i32 s11, s11, s20
	s_mul_hi_u32 s19, s1, s20
	s_add_u32 s11, s18, s11
	s_addc_u32 s18, 0, s23
	s_add_u32 s11, s11, s22
	s_mul_i32 s20, s1, s20
	s_addc_u32 s11, s18, s21
	s_addc_u32 s18, s19, 0
	s_add_u32 s11, s11, s20
	s_addc_u32 s18, 0, s18
	v_add_co_u32 v1, s11, v1, s11
	s_delay_alu instid0(VALU_DEP_1) | instskip(SKIP_2) | instid1(SALU_CYCLE_1)
	s_cmp_lg_u32 s11, 0
	s_addc_u32 s1, s1, s18
	s_ashr_i32 s18, s3, 31
	s_add_u32 s20, s2, s18
	s_addc_u32 s21, s3, s18
	v_readfirstlane_b32 s3, v1
	s_mov_b32 s19, s18
	s_delay_alu instid0(SALU_CYCLE_1) | instskip(NEXT) | instid1(SALU_CYCLE_1)
	s_xor_b64 s[20:21], s[20:21], s[18:19]
	s_mul_i32 s22, s20, s1
	s_delay_alu instid0(VALU_DEP_1)
	s_mul_hi_u32 s23, s20, s3
	s_mul_hi_u32 s11, s20, s1
	;; [unrolled: 1-line block ×3, first 2 shown]
	s_mul_i32 s3, s21, s3
	s_add_u32 s22, s23, s22
	s_addc_u32 s11, 0, s11
	s_mul_hi_u32 s24, s21, s1
	s_add_u32 s3, s22, s3
	s_mul_i32 s1, s21, s1
	s_addc_u32 s3, s11, s25
	s_addc_u32 s11, s24, 0
	s_add_u32 s3, s3, s1
	s_addc_u32 s11, 0, s11
	s_mul_i32 s24, s14, s3
	s_mul_hi_u32 s1, s14, s3
	s_mul_i32 s23, s14, s11
	v_sub_co_u32 v1, s20, s20, s24
	s_mul_i32 s22, s15, s3
	s_add_i32 s1, s1, s23
	s_delay_alu instid0(SALU_CYCLE_1) | instskip(NEXT) | instid1(VALU_DEP_1)
	s_add_i32 s1, s1, s22
	v_sub_co_u32 v2, s23, v1, s14
	s_sub_i32 s22, s21, s1
	s_cmp_lg_u32 s20, 0
	s_subb_u32 s22, s22, s15
	s_cmp_lg_u32 s23, 0
	v_cmp_le_u32_e32 vcc_lo, s14, v2
	s_subb_u32 s22, s22, 0
	s_delay_alu instid0(SALU_CYCLE_1)
	s_cmp_ge_u32 s22, s15
	v_cndmask_b32_e64 v2, 0, -1, vcc_lo
	s_cselect_b32 s23, -1, 0
	s_cmp_eq_u32 s22, s15
	s_cselect_b32 vcc_lo, -1, 0
	s_add_u32 s22, s3, 1
	v_cndmask_b32_e32 v2, s23, v2, vcc_lo
	s_addc_u32 s23, s11, 0
	s_add_u32 s24, s3, 2
	s_addc_u32 s25, s11, 0
	s_cmp_lg_u32 s20, 0
	v_cmp_le_u32_e32 vcc_lo, s14, v1
	s_subb_u32 s1, s21, s1
	v_mov_b32_e32 v24, s24
	s_cmp_ge_u32 s1, s15
	v_cndmask_b32_e64 v1, 0, -1, vcc_lo
	s_cselect_b32 s14, -1, 0
	s_cmp_eq_u32 s1, s15
	v_cmp_ne_u32_e32 vcc_lo, 0, v2
	v_mov_b32_e32 v2, s25
	s_cselect_b32 s1, -1, 0
	s_xor_b64 s[6:7], s[18:19], s[6:7]
	v_cndmask_b32_e64 v1, s14, v1, s1
	v_cndmask_b32_e32 v24, s22, v24, vcc_lo
	v_cndmask_b32_e32 v2, s23, v2, vcc_lo
	s_delay_alu instid0(VALU_DEP_3) | instskip(NEXT) | instid1(VALU_DEP_2)
	v_cmp_ne_u32_e32 vcc_lo, 0, v1
	v_cndmask_b32_e32 v1, s11, v2, vcc_lo
	s_delay_alu instid0(VALU_DEP_4) | instskip(NEXT) | instid1(VALU_DEP_2)
	v_cndmask_b32_e32 v2, s3, v24, vcc_lo
	v_xor_b32_e32 v24, s7, v1
	s_delay_alu instid0(VALU_DEP_2) | instskip(NEXT) | instid1(VALU_DEP_1)
	v_xor_b32_e32 v2, s6, v2
	v_sub_co_u32 v1, vcc_lo, v2, s6
	s_delay_alu instid0(VALU_DEP_3)
	v_subrev_co_ci_u32_e32 v2, vcc_lo, s7, v24, vcc_lo
	s_cbranch_execnz .LBB13_33
.LBB13_32:
	v_cvt_f32_u32_e32 v1, s10
	s_sub_i32 s3, 0, s10
	s_delay_alu instid0(VALU_DEP_1) | instskip(SKIP_2) | instid1(VALU_DEP_1)
	v_rcp_iflag_f32_e32 v1, v1
	s_waitcnt_depctr 0xfff
	v_mul_f32_e32 v1, 0x4f7ffffe, v1
	v_cvt_u32_f32_e32 v1, v1
	s_delay_alu instid0(VALU_DEP_1) | instskip(NEXT) | instid1(VALU_DEP_1)
	v_readfirstlane_b32 s1, v1
	s_mul_i32 s3, s3, s1
	s_delay_alu instid0(SALU_CYCLE_1) | instskip(NEXT) | instid1(SALU_CYCLE_1)
	s_mul_hi_u32 s3, s1, s3
	s_add_i32 s1, s1, s3
	s_delay_alu instid0(SALU_CYCLE_1) | instskip(NEXT) | instid1(SALU_CYCLE_1)
	s_mul_hi_u32 s1, s2, s1
	s_mul_i32 s3, s1, s10
	s_delay_alu instid0(SALU_CYCLE_1)
	s_sub_i32 s2, s2, s3
	s_add_i32 s3, s1, 1
	s_sub_i32 s6, s2, s10
	s_cmp_ge_u32 s2, s10
	s_cselect_b32 s1, s3, s1
	s_cselect_b32 s2, s6, s2
	s_add_i32 s6, s1, 1
	s_cmp_ge_u32 s2, s10
	s_mov_b32 s3, 0
	s_cselect_b32 s2, s6, s1
	s_delay_alu instid0(SALU_CYCLE_1)
	v_dual_mov_b32 v1, s2 :: v_dual_mov_b32 v2, s3
.LBB13_33:
	s_delay_alu instid0(VALU_DEP_1) | instskip(NEXT) | instid1(VALU_DEP_2)
	v_add_co_u32 v1, vcc_lo, v1, v23
	v_add_co_ci_u32_e32 v2, vcc_lo, 0, v2, vcc_lo
	s_branch .LBB13_36
.LBB13_34:
                                        ; implicit-def: $vgpr1_vgpr2
	s_cbranch_execz .LBB13_36
; %bb.35:
	v_mul_lo_u32 v1, v23, s4
	s_delay_alu instid0(VALU_DEP_1) | instskip(SKIP_1) | instid1(VALU_DEP_2)
	v_ashrrev_i32_e32 v2, 31, v1
	v_add_co_u32 v1, vcc_lo, v1, s34
	v_add_co_ci_u32_e32 v2, vcc_lo, 0, v2, vcc_lo
.LBB13_36:
	s_mov_b32 s1, exec_lo
.LBB13_37:
	s_or_b32 exec_lo, exec_lo, s8
	s_delay_alu instid0(SALU_CYCLE_1)
	s_and_b32 vcc_lo, exec_lo, s31
	s_cbranch_vccz .LBB13_41
.LBB13_38:
	v_mov_b32_dpp v1, v22 quad_perm:[1,0,3,2] row_mask:0xf bank_mask:0xf
	s_delay_alu instid0(VALU_DEP_1) | instskip(SKIP_1) | instid1(VALU_DEP_1)
	v_cmp_gt_f32_e32 vcc_lo, v22, v1
	v_cndmask_b32_e32 v1, v1, v22, vcc_lo
	v_mov_b32_dpp v2, v1 quad_perm:[2,3,0,1] row_mask:0xf bank_mask:0xf
	s_delay_alu instid0(VALU_DEP_1) | instskip(SKIP_1) | instid1(VALU_DEP_1)
	v_cmp_gt_f32_e32 vcc_lo, v1, v2
	v_cndmask_b32_e32 v1, v2, v1, vcc_lo
	v_mov_b32_dpp v2, v1 row_xmask:7 row_mask:0xf bank_mask:0xf
	s_delay_alu instid0(VALU_DEP_1) | instskip(SKIP_1) | instid1(VALU_DEP_1)
	v_cmp_gt_f32_e32 vcc_lo, v1, v2
	v_cndmask_b32_e32 v1, v2, v1, vcc_lo
	v_mov_b32_dpp v2, v1 row_xmask:15 row_mask:0xf bank_mask:0xf
	s_delay_alu instid0(VALU_DEP_1)
	v_cmp_gt_f32_e32 vcc_lo, v1, v2
	s_and_saveexec_b32 s1, s0
	s_cbranch_execz .LBB13_40
; %bb.39:
	v_cndmask_b32_e32 v1, v2, v1, vcc_lo
	v_lshrrev_b32_e32 v2, 3, v0
	s_mov_b32 s0, 0x76543210
	s_delay_alu instid0(VALU_DEP_1) | instskip(NEXT) | instid1(VALU_DEP_3)
	v_and_b32_e32 v2, 0x7c, v2
	v_permlanex16_b32 v19, v1, s0, 0xfedcba98 op_sel:[1,1]
	s_delay_alu instid0(VALU_DEP_1)
	v_cmp_gt_f32_e32 vcc_lo, v1, v19
	v_cndmask_b32_e32 v1, v19, v1, vcc_lo
	ds_store_b32 v2, v1
.LBB13_40:
	s_or_b32 exec_lo, exec_lo, s1
	s_waitcnt lgkmcnt(0)
	s_barrier
	buffer_gl0_inv
	ds_load_b32 v1, v10
	v_cmp_eq_u32_e64 s1, 0, v0
	s_waitcnt lgkmcnt(0)
	v_mov_b32_dpp v2, v1 quad_perm:[1,0,3,2] row_mask:0xf bank_mask:0xf
	s_delay_alu instid0(VALU_DEP_1) | instskip(SKIP_1) | instid1(VALU_DEP_1)
	v_cmp_gt_f32_e32 vcc_lo, v1, v2
	v_cndmask_b32_e32 v1, v2, v1, vcc_lo
	v_mov_b32_dpp v2, v1 quad_perm:[2,3,0,1] row_mask:0xf bank_mask:0xf
	s_delay_alu instid0(VALU_DEP_1) | instskip(SKIP_1) | instid1(VALU_DEP_1)
	v_cmp_gt_f32_e32 vcc_lo, v1, v2
	v_cndmask_b32_e32 v1, v2, v1, vcc_lo
	v_mov_b32_dpp v2, v1 row_xmask:7 row_mask:0xf bank_mask:0xf
	s_delay_alu instid0(VALU_DEP_1) | instskip(SKIP_1) | instid1(VALU_DEP_1)
	v_cmp_gt_f32_e32 vcc_lo, v1, v2
	v_cndmask_b32_e32 v1, v2, v1, vcc_lo
	v_mul_f32_e32 v19, 0x3b124925, v1
	v_dual_mov_b32 v1, s34 :: v_dual_mov_b32 v2, s35
.LBB13_41:
	s_and_saveexec_b32 s0, s1
	s_cbranch_execz .LBB13_43
; %bb.42:
	s_delay_alu instid0(VALU_DEP_1) | instskip(NEXT) | instid1(VALU_DEP_1)
	v_lshlrev_b64 v[0:1], 2, v[1:2]
	v_add_co_u32 v0, vcc_lo, s16, v0
	s_delay_alu instid0(VALU_DEP_2)
	v_add_co_ci_u32_e32 v1, vcc_lo, s17, v1, vcc_lo
	global_store_b32 v[0:1], v19, off
.LBB13_43:
	s_or_b32 exec_lo, exec_lo, s0
	;;#ASMSTART
	v_rcp_f32 v2, v19
	;;#ASMEND
	v_dual_mul_f32 v0, v20, v2 :: v_dual_mov_b32 v19, 0x43e00000
	v_dual_mul_f32 v1, v21, v2 :: v_dual_mov_b32 v10, 0xc3e00000
	v_mul_f32_e32 v17, v17, v2
	v_mul_f32_e32 v18, v18, v2
	;;#ASMSTART
	v_med3_f32 v0, v0, v10, v19
v_med3_f32 v1, v1, v10, v19
v_cvt_pk_fp8_f32 v20, v0, v1
	;;#ASMEND
	;;#ASMSTART
	v_med3_f32 v17, v17, v10, v19
v_med3_f32 v18, v18, v10, v19
v_cvt_pk_fp8_f32 v0, v17, v18
	;;#ASMEND
	v_perm_b32 v1, v0, v20, 0x5040100
	v_and_b32_e32 v0, 0xffffff00, v0
	s_add_i32 s0, s5, 3
	v_mul_f32_e32 v16, v16, v2
	s_ashr_i32 s1, s0, 31
	v_lshrrev_b32_e32 v17, 16, v1
	s_lshr_b32 s1, s1, 30
	v_mul_f32_e32 v13, v13, v2
	v_mul_f32_e32 v14, v14, v2
	s_add_i32 s0, s0, s1
	v_and_b32_e32 v17, 0xff, v17
	s_ashr_i32 s1, s9, 31
	s_mul_hi_u32 s3, s9, s34
	s_mul_i32 s1, s1, s34
	s_and_b32 s2, s0, -4
	v_or_b32_e32 v0, v17, v0
	v_mul_f32_e32 v15, v15, v2
	s_mul_i32 s0, s9, s34
	s_add_i32 s3, s3, s1
	s_add_u32 s0, s12, s0
	v_lshlrev_b32_e32 v0, 16, v0
	;;#ASMSTART
	v_med3_f32 v15, v15, v10, v19
v_med3_f32 v16, v16, v10, v19
v_cvt_pk_fp8_f32 v17, v15, v16
	;;#ASMEND
	;;#ASMSTART
	v_med3_f32 v13, v13, v10, v19
v_med3_f32 v14, v14, v10, v19
v_cvt_pk_fp8_f32 v15, v13, v14
	;;#ASMEND
	v_lshlrev_b32_e32 v13, 16, v15
	s_addc_u32 s1, s13, s3
	v_and_or_b32 v0, 0xffff, v1, v0
	s_and_b32 s1, s1, 0xffff
	s_mov_b32 s3, -1
	v_and_or_b32 v1, 0xffff, v17, v13
	v_mul_f32_e32 v11, v11, v2
	v_mul_f32_e32 v12, v12, v2
	;; [unrolled: 1-line block ×4, first 2 shown]
	buffer_store_b64 v[0:1], v9, s[0:3], 0 offen
	;;#ASMSTART
	s_nop 0
	;;#ASMEND
	;;#ASMSTART
	v_med3_f32 v11, v11, v10, v19
v_med3_f32 v12, v12, v10, v19
v_cvt_pk_fp8_f32 v0, v11, v12
	;;#ASMEND
	;;#ASMSTART
	v_med3_f32 v7, v7, v10, v19
v_med3_f32 v8, v8, v10, v19
v_cvt_pk_fp8_f32 v1, v7, v8
	;;#ASMEND
	v_perm_b32 v0, v1, v0, 0x5040100
	v_and_b32_e32 v1, 0xffffff00, v1
	v_mul_f32_e32 v5, v5, v2
	v_mul_f32_e32 v6, v6, v2
	;; [unrolled: 1-line block ×3, first 2 shown]
	v_lshrrev_b32_e32 v7, 16, v0
	v_mul_f32_e32 v2, v4, v2
	;;#ASMSTART
	v_med3_f32 v5, v5, v10, v19
v_med3_f32 v6, v6, v10, v19
v_cvt_pk_fp8_f32 v4, v5, v6
	;;#ASMEND
	;;#ASMSTART
	v_med3_f32 v3, v3, v10, v19
v_med3_f32 v2, v2, v10, v19
v_cvt_pk_fp8_f32 v5, v3, v2
	;;#ASMEND
	v_lshlrev_b32_e32 v2, 16, v5
	v_and_b32_e32 v7, 0xff, v7
	s_movk_i32 s4, 0x100
	s_delay_alu instid0(VALU_DEP_1) | instskip(NEXT) | instid1(VALU_DEP_1)
	v_or_b32_e32 v1, v7, v1
	v_lshlrev_b32_e32 v3, 16, v1
	v_and_or_b32 v1, 0xffff, v4, v2
	s_delay_alu instid0(VALU_DEP_2)
	v_and_or_b32 v0, 0xffff, v0, v3
	buffer_store_b64 v[0:1], v9, s[0:3], s4 offen
	;;#ASMSTART
	s_nop 0
	;;#ASMEND
.LBB13_44:
	s_nop 0
	s_sendmsg sendmsg(MSG_DEALLOC_VGPRS)
	s_endpgm
.LBB13_45:
                                        ; implicit-def: $vgpr1_vgpr2
	s_branch .LBB13_32
	.section	.rodata,"a",@progbits
	.p2align	6, 0x0
	.amdhsa_kernel _ZN5aiter24add_rmsnorm_quant_kernelIDF16_DB8_Li256ELi16ELb1ELb1ELb1ELi1EEEvPT0_PT_PfS5_S5_S5_diiiiiiib
		.amdhsa_group_segment_fixed_size 64
		.amdhsa_private_segment_fixed_size 0
		.amdhsa_kernarg_size 88
		.amdhsa_user_sgpr_count 15
		.amdhsa_user_sgpr_dispatch_ptr 0
		.amdhsa_user_sgpr_queue_ptr 0
		.amdhsa_user_sgpr_kernarg_segment_ptr 1
		.amdhsa_user_sgpr_dispatch_id 0
		.amdhsa_user_sgpr_private_segment_size 0
		.amdhsa_wavefront_size32 1
		.amdhsa_uses_dynamic_stack 0
		.amdhsa_enable_private_segment 0
		.amdhsa_system_sgpr_workgroup_id_x 1
		.amdhsa_system_sgpr_workgroup_id_y 0
		.amdhsa_system_sgpr_workgroup_id_z 0
		.amdhsa_system_sgpr_workgroup_info 0
		.amdhsa_system_vgpr_workitem_id 0
		.amdhsa_next_free_vgpr 48
		.amdhsa_next_free_sgpr 40
		.amdhsa_reserve_vcc 1
		.amdhsa_float_round_mode_32 0
		.amdhsa_float_round_mode_16_64 0
		.amdhsa_float_denorm_mode_32 3
		.amdhsa_float_denorm_mode_16_64 3
		.amdhsa_dx10_clamp 1
		.amdhsa_ieee_mode 1
		.amdhsa_fp16_overflow 0
		.amdhsa_workgroup_processor_mode 1
		.amdhsa_memory_ordered 1
		.amdhsa_forward_progress 0
		.amdhsa_shared_vgpr_count 0
		.amdhsa_exception_fp_ieee_invalid_op 0
		.amdhsa_exception_fp_denorm_src 0
		.amdhsa_exception_fp_ieee_div_zero 0
		.amdhsa_exception_fp_ieee_overflow 0
		.amdhsa_exception_fp_ieee_underflow 0
		.amdhsa_exception_fp_ieee_inexact 0
		.amdhsa_exception_int_div_zero 0
	.end_amdhsa_kernel
	.section	.text._ZN5aiter24add_rmsnorm_quant_kernelIDF16_DB8_Li256ELi16ELb1ELb1ELb1ELi1EEEvPT0_PT_PfS5_S5_S5_diiiiiiib,"axG",@progbits,_ZN5aiter24add_rmsnorm_quant_kernelIDF16_DB8_Li256ELi16ELb1ELb1ELb1ELi1EEEvPT0_PT_PfS5_S5_S5_diiiiiiib,comdat
.Lfunc_end13:
	.size	_ZN5aiter24add_rmsnorm_quant_kernelIDF16_DB8_Li256ELi16ELb1ELb1ELb1ELi1EEEvPT0_PT_PfS5_S5_S5_diiiiiiib, .Lfunc_end13-_ZN5aiter24add_rmsnorm_quant_kernelIDF16_DB8_Li256ELi16ELb1ELb1ELb1ELi1EEEvPT0_PT_PfS5_S5_S5_diiiiiiib
                                        ; -- End function
	.section	.AMDGPU.csdata,"",@progbits
; Kernel info:
; codeLenInByte = 4584
; NumSgprs: 42
; NumVgprs: 48
; ScratchSize: 0
; MemoryBound: 0
; FloatMode: 240
; IeeeMode: 1
; LDSByteSize: 64 bytes/workgroup (compile time only)
; SGPRBlocks: 5
; VGPRBlocks: 5
; NumSGPRsForWavesPerEU: 42
; NumVGPRsForWavesPerEU: 48
; Occupancy: 16
; WaveLimiterHint : 0
; COMPUTE_PGM_RSRC2:SCRATCH_EN: 0
; COMPUTE_PGM_RSRC2:USER_SGPR: 15
; COMPUTE_PGM_RSRC2:TRAP_HANDLER: 0
; COMPUTE_PGM_RSRC2:TGID_X_EN: 1
; COMPUTE_PGM_RSRC2:TGID_Y_EN: 0
; COMPUTE_PGM_RSRC2:TGID_Z_EN: 0
; COMPUTE_PGM_RSRC2:TIDIG_COMP_CNT: 0
	.section	.text._ZN5aiter24add_rmsnorm_quant_kernelItDB8_Li256ELi16ELb1ELb1ELb1ELi1EEEvPT0_PT_PfS5_S5_S5_diiiiiiib,"axG",@progbits,_ZN5aiter24add_rmsnorm_quant_kernelItDB8_Li256ELi16ELb1ELb1ELb1ELi1EEEvPT0_PT_PfS5_S5_S5_diiiiiiib,comdat
	.protected	_ZN5aiter24add_rmsnorm_quant_kernelItDB8_Li256ELi16ELb1ELb1ELb1ELi1EEEvPT0_PT_PfS5_S5_S5_diiiiiiib ; -- Begin function _ZN5aiter24add_rmsnorm_quant_kernelItDB8_Li256ELi16ELb1ELb1ELb1ELi1EEEvPT0_PT_PfS5_S5_S5_diiiiiiib
	.globl	_ZN5aiter24add_rmsnorm_quant_kernelItDB8_Li256ELi16ELb1ELb1ELb1ELi1EEEvPT0_PT_PfS5_S5_S5_diiiiiiib
	.p2align	8
	.type	_ZN5aiter24add_rmsnorm_quant_kernelItDB8_Li256ELi16ELb1ELb1ELb1ELi1EEEvPT0_PT_PfS5_S5_S5_diiiiiiib,@function
_ZN5aiter24add_rmsnorm_quant_kernelItDB8_Li256ELi16ELb1ELb1ELb1ELi1EEEvPT0_PT_PfS5_S5_S5_diiiiiiib: ; @_ZN5aiter24add_rmsnorm_quant_kernelItDB8_Li256ELi16ELb1ELb1ELb1ELi1EEEvPT0_PT_PfS5_S5_S5_diiiiiiib
; %bb.0:
	s_load_b256 s[4:11], s[0:1], 0x38
	s_mov_b32 s34, s15
	s_mov_b32 s35, 0
	s_waitcnt lgkmcnt(0)
	s_ashr_i32 s3, s4, 31
	s_mov_b32 s2, s4
	s_delay_alu instid0(SALU_CYCLE_1) | instskip(NEXT) | instid1(VALU_DEP_1)
	v_cmp_ge_i64_e64 s2, s[34:35], s[2:3]
	s_and_b32 vcc_lo, exec_lo, s2
	s_cbranch_vccnz .LBB14_44
; %bb.1:
	s_load_b256 s[12:19], s[0:1], 0x0
	s_ashr_i32 s2, s6, 31
	s_mul_hi_u32 s3, s6, s34
	s_mul_i32 s20, s2, s34
	v_lshlrev_b32_e32 v17, 4, v0
	s_add_i32 s3, s3, s20
	s_load_b256 s[20:27], s[0:1], 0x20
	s_mul_i32 s2, s6, s34
	v_lshlrev_b32_e32 v1, 3, v0
	v_and_b32_e32 v2, 0x3e00, v17
	s_lshl_b64 s[0:1], s[2:3], 1
	s_mov_b32 s31, -1
	s_delay_alu instid0(SALU_CYCLE_1) | instskip(NEXT) | instid1(VALU_DEP_1)
	s_mov_b32 s39, s31
	v_and_or_b32 v9, 0xf8, v1, v2
	s_delay_alu instid0(VALU_DEP_1)
	v_lshlrev_b32_e32 v37, 1, v9
	s_waitcnt lgkmcnt(0)
	s_add_u32 s28, s18, s0
	s_addc_u32 s0, s19, s1
	s_add_i32 s2, s5, 1
	s_and_b32 s29, s0, 0xffff
	s_lshr_b32 s3, s2, 31
	s_ashr_i32 s0, s7, 31
	s_add_i32 s2, s2, s3
	s_mul_hi_u32 s3, s7, s34
	s_lshl_b32 s2, s2, 1
	s_mul_i32 s0, s0, s34
	s_and_b32 s30, s2, -4
	s_mul_i32 s2, s7, s34
	s_add_i32 s3, s3, s0
	s_movk_i32 s1, 0x200
	s_lshl_b64 s[2:3], s[2:3], 1
	s_and_b32 s37, s23, 0xffff
	s_clause 0x1
	buffer_load_b128 v[10:13], v37, s[28:31], 0 offen glc slc
	buffer_load_b128 v[18:21], v37, s[28:31], s1 offen glc slc
	s_add_u32 s28, s20, s2
	s_addc_u32 s0, s21, s3
	s_mov_b32 s36, s22
	s_and_b32 s29, s0, 0xffff
	s_clause 0x1
	buffer_load_b128 v[22:25], v37, s[28:31], 0 offen glc slc
	buffer_load_b128 v[26:29], v37, s[28:31], s1 offen glc slc
	s_mov_b32 s38, s30
	s_ashr_i32 s0, s8, 31
	s_mul_hi_u32 s3, s8, s34
	s_mul_i32 s0, s0, s34
	s_mul_i32 s2, s8, s34
	s_add_i32 s3, s3, s0
	s_delay_alu instid0(SALU_CYCLE_1) | instskip(NEXT) | instid1(SALU_CYCLE_1)
	s_lshl_b64 s[2:3], s[2:3], 1
	s_add_u32 s28, s14, s2
	s_addc_u32 s0, s15, s3
	s_delay_alu instid0(SALU_CYCLE_1)
	s_and_b32 s29, s0, 0xffff
	s_waitcnt vmcnt(3)
	v_lshrrev_b32_e32 v14, 16, v10
	v_lshrrev_b32_e32 v15, 16, v11
	s_waitcnt vmcnt(2)
	v_lshrrev_b32_e32 v34, 16, v18
	v_and_b32_e32 v35, 0xffff, v18
	v_and_b32_e32 v16, 0xffff, v11
	v_lshrrev_b32_e32 v30, 16, v12
	s_waitcnt vmcnt(1)
	v_lshrrev_b32_e32 v18, 16, v23
	v_cvt_f32_u32_e32 v15, v15
	v_lshrrev_b32_e32 v36, 16, v19
	v_lshrrev_b32_e32 v39, 16, v20
	;; [unrolled: 1-line block ×3, first 2 shown]
	v_cvt_f32_u32_e32 v18, v18
	v_and_b32_e32 v31, 0xffff, v12
	v_cvt_f32_u32_e32 v12, v14
	v_and_b32_e32 v14, 0xffff, v23
	v_and_b32_e32 v40, 0xffff, v20
	v_cvt_f32_u32_e32 v16, v16
	v_lshrrev_b32_e32 v20, 16, v24
	v_lshrrev_b32_e32 v32, 16, v13
	v_cvt_f32_u32_e32 v14, v14
	v_and_b32_e32 v38, 0xffff, v19
	v_and_b32_e32 v19, 0xffff, v24
	;; [unrolled: 1-line block ×3, first 2 shown]
	v_cvt_f32_u32_e32 v11, v11
	v_cvt_f32_u32_e32 v20, v20
	v_and_b32_e32 v13, 0xffff, v22
	v_cvt_f32_u32_e32 v19, v19
	s_delay_alu instid0(VALU_DEP_4)
	v_dual_add_f32 v11, v12, v11 :: v_dual_and_b32 v10, 0xffff, v10
	s_waitcnt vmcnt(0)
	v_lshrrev_b32_e32 v24, 16, v26
	v_cvt_f32_u32_e32 v13, v13
	v_lshrrev_b32_e32 v41, 16, v21
	v_cvt_f32_u32_e32 v10, v10
	;; [unrolled: 2-line block ×3, first 2 shown]
	v_and_b32_e32 v42, 0xffff, v21
	s_delay_alu instid0(VALU_DEP_4) | instskip(SKIP_4) | instid1(VALU_DEP_4)
	v_add_f32_e32 v12, v10, v13
	v_dual_mul_f32 v10, v11, v11 :: v_dual_add_f32 v13, v16, v14
	v_add_f32_e32 v14, v15, v18
	v_cvt_f32_u32_e32 v16, v31
	v_cvt_f32_u32_e32 v18, v30
	v_fmac_f32_e32 v10, v12, v12
	s_clause 0x1
	buffer_load_b128 v[5:8], v37, s[36:39], 0 offen
	buffer_load_b128 v[1:4], v37, s[36:39], s1 offen
	v_cvt_f32_u32_e32 v22, v22
	v_dual_add_f32 v15, v16, v19 :: v_dual_add_f32 v16, v18, v20
	v_fmac_f32_e32 v10, v13, v13
	v_cvt_f32_u32_e32 v20, v32
	v_and_b32_e32 v30, 0xffff, v29
	v_lshrrev_b32_e32 v29, 16, v29
	v_perm_b32 v31, v16, v15, 0x7060302
	v_fmac_f32_e32 v10, v14, v14
	v_cvt_f32_u32_e32 v19, v33
	v_cvt_f32_u32_e32 v30, v30
	;; [unrolled: 1-line block ×3, first 2 shown]
	s_delay_alu instid0(VALU_DEP_4) | instskip(NEXT) | instid1(VALU_DEP_1)
	v_dual_fmac_f32 v10, v15, v15 :: v_dual_and_b32 v21, 0xffff, v25
	v_dual_fmac_f32 v10, v16, v16 :: v_dual_and_b32 v25, 0xffff, v27
	s_delay_alu instid0(VALU_DEP_2) | instskip(SKIP_2) | instid1(VALU_DEP_4)
	v_cvt_f32_u32_e32 v21, v21
	v_and_b32_e32 v23, 0xffff, v26
	v_lshrrev_b32_e32 v26, 16, v27
	v_cvt_f32_u32_e32 v25, v25
	s_delay_alu instid0(VALU_DEP_4)
	v_dual_add_f32 v18, v19, v21 :: v_dual_and_b32 v27, 0xffff, v28
	v_cvt_f32_u32_e32 v21, v35
	v_cvt_f32_u32_e32 v23, v23
	v_add_f32_e32 v19, v20, v22
	v_cvt_f32_u32_e32 v22, v34
	v_fmac_f32_e32 v10, v18, v18
	v_cvt_f32_u32_e32 v26, v26
	v_add_f32_e32 v20, v21, v23
	v_cvt_f32_u32_e32 v23, v38
	v_add_f32_e32 v21, v22, v24
	v_cvt_f32_u32_e32 v24, v36
	v_lshrrev_b32_e32 v28, 16, v28
	v_cvt_f32_u32_e32 v27, v27
	v_add_f32_e32 v22, v23, v25
	s_delay_alu instid0(VALU_DEP_4)
	v_dual_add_f32 v23, v24, v26 :: v_dual_and_b32 v38, 31, v0
	v_cvt_f32_u32_e32 v25, v40
	v_cvt_f32_u32_e32 v26, v39
	;; [unrolled: 1-line block ×3, first 2 shown]
	v_perm_b32 v32, v19, v18, 0x7060302
	v_perm_b32 v34, v23, v22, 0x7060302
	v_add_f32_e32 v24, v25, v27
	v_cvt_f32_u32_e32 v27, v42
	v_add_f32_e32 v25, v26, v28
	v_cvt_f32_u32_e32 v28, v41
	v_fmac_f32_e32 v10, v19, v19
	v_perm_b32 v33, v21, v20, 0x7060302
	v_add_f32_e32 v26, v27, v30
	v_perm_b32 v30, v14, v13, 0x7060302
	v_add_f32_e32 v27, v28, v29
	v_fmac_f32_e32 v10, v20, v20
	v_perm_b32 v29, v11, v12, 0x7060302
	v_perm_b32 v35, v25, v24, 0x7060302
	v_cmp_eq_u32_e64 s0, 31, v38
	v_perm_b32 v36, v27, v26, 0x7060302
	v_fmac_f32_e32 v10, v21, v21
	buffer_store_b128 v[29:32], v37, s[28:31], 0 offen glc slc
	;;#ASMSTART
	s_nop 0
	;;#ASMEND
	buffer_store_b128 v[33:36], v37, s[28:31], s1 offen glc slc
	v_fmac_f32_e32 v10, v22, v22
	;;#ASMSTART
	s_nop 0
	;;#ASMEND
	s_delay_alu instid0(VALU_DEP_1) | instskip(NEXT) | instid1(VALU_DEP_1)
	v_fmac_f32_e32 v10, v23, v23
	v_fmac_f32_e32 v10, v24, v24
	s_delay_alu instid0(VALU_DEP_1) | instskip(NEXT) | instid1(VALU_DEP_1)
	v_fmac_f32_e32 v10, v25, v25
	v_fmac_f32_e32 v10, v26, v26
	s_delay_alu instid0(VALU_DEP_1) | instskip(NEXT) | instid1(VALU_DEP_1)
	v_fmac_f32_e32 v10, v27, v27
	v_mov_b32_dpp v28, v10 quad_perm:[1,0,3,2] row_mask:0xf bank_mask:0xf
	s_delay_alu instid0(VALU_DEP_1) | instskip(NEXT) | instid1(VALU_DEP_1)
	v_add_f32_e32 v10, v10, v28
	v_mov_b32_dpp v28, v10 quad_perm:[2,3,0,1] row_mask:0xf bank_mask:0xf
	s_delay_alu instid0(VALU_DEP_1) | instskip(NEXT) | instid1(VALU_DEP_1)
	v_add_f32_e32 v10, v10, v28
	v_mov_b32_dpp v28, v10 row_xmask:7 row_mask:0xf bank_mask:0xf
	s_delay_alu instid0(VALU_DEP_1) | instskip(NEXT) | instid1(VALU_DEP_1)
	v_add_f32_e32 v10, v10, v28
	v_mov_b32_dpp v28, v10 row_xmask:15 row_mask:0xf bank_mask:0xf
	s_and_saveexec_b32 s1, s0
	s_cbranch_execz .LBB14_3
; %bb.2:
	s_delay_alu instid0(VALU_DEP_1) | instskip(SKIP_2) | instid1(VALU_DEP_2)
	v_add_f32_e32 v10, v10, v28
	s_mov_b32 s2, 0x76543210
	v_lshrrev_b32_e32 v28, 3, v0
	v_permlanex16_b32 v29, v10, s2, 0xfedcba98 op_sel:[1,1]
	s_delay_alu instid0(VALU_DEP_2) | instskip(NEXT) | instid1(VALU_DEP_2)
	v_and_b32_e32 v28, 0x7c, v28
	v_add_f32_e32 v10, v10, v29
	ds_store_b32 v28, v10 offset:32
.LBB14_3:
	s_or_b32 exec_lo, exec_lo, s1
	v_and_b32_e32 v10, 7, v0
	s_waitcnt vmcnt(0) lgkmcnt(0)
	s_waitcnt_vscnt null, 0x0
	s_barrier
	buffer_gl0_inv
	v_cvt_f32_i32_e32 v30, s5
	v_dual_mov_b32 v37, 0x2edbe6ff :: v_dual_lshlrev_b32 v10, 2, v10
	s_cmp_lg_u32 s10, 0
	v_and_b32_e32 v35, 0xffff, v2
	v_lshrrev_b32_e32 v2, 16, v2
	ds_load_b32 v28, v10 offset:32
	v_cvt_f32_u32_e32 v35, v35
	v_cvt_f32_u32_e32 v2, v2
	s_waitcnt lgkmcnt(0)
	v_mov_b32_dpp v29, v28 quad_perm:[1,0,3,2] row_mask:0xf bank_mask:0xf
	s_delay_alu instid0(VALU_DEP_1) | instskip(NEXT) | instid1(VALU_DEP_1)
	v_add_f32_e32 v28, v28, v29
	v_mov_b32_dpp v29, v28 quad_perm:[2,3,0,1] row_mask:0xf bank_mask:0xf
	s_delay_alu instid0(VALU_DEP_1) | instskip(NEXT) | instid1(VALU_DEP_1)
	v_add_f32_e32 v28, v28, v29
	v_mov_b32_dpp v29, v28 row_xmask:7 row_mask:0xf bank_mask:0xf
	s_delay_alu instid0(VALU_DEP_1) | instskip(NEXT) | instid1(VALU_DEP_1)
	v_add_f32_e32 v28, v28, v29
	v_div_scale_f32 v29, null, v30, v30, v28
	v_div_scale_f32 v33, vcc_lo, v28, v30, v28
	s_delay_alu instid0(VALU_DEP_2) | instskip(SKIP_2) | instid1(VALU_DEP_1)
	v_rcp_f32_e32 v31, v29
	s_waitcnt_depctr 0xfff
	v_fma_f32 v32, -v29, v31, 1.0
	v_fmac_f32_e32 v31, v32, v31
	s_delay_alu instid0(VALU_DEP_1) | instskip(NEXT) | instid1(VALU_DEP_1)
	v_mul_f32_e32 v32, v33, v31
	v_fma_f32 v34, -v29, v32, v33
	s_delay_alu instid0(VALU_DEP_1) | instskip(NEXT) | instid1(VALU_DEP_1)
	v_fmac_f32_e32 v32, v34, v31
	v_fma_f32 v29, -v29, v32, v33
	v_and_b32_e32 v33, 0xffff, v1
	v_lshrrev_b32_e32 v1, 16, v1
	s_delay_alu instid0(VALU_DEP_3)
	v_div_fmas_f32 v29, v29, v31, v32
	v_and_b32_e32 v31, 0xffff, v7
	v_lshrrev_b32_e32 v7, 16, v7
	v_cvt_f32_u32_e32 v33, v33
	v_cvt_f32_u32_e32 v1, v1
	v_div_fixup_f32 v28, v29, v30, v28
	v_cvt_f32_u32_e32 v31, v31
	v_cvt_f32_u32_e32 v7, v7
	s_delay_alu instid0(VALU_DEP_3) | instskip(NEXT) | instid1(VALU_DEP_1)
	v_cvt_f64_f32_e32 v[28:29], v28
	v_add_f64 v[28:29], v[28:29], s[24:25]
	s_delay_alu instid0(VALU_DEP_1) | instskip(SKIP_2) | instid1(VALU_DEP_2)
	v_cvt_f32_f64_e32 v28, v[28:29]
	v_and_b32_e32 v29, 0xffff, v5
	v_lshrrev_b32_e32 v5, 16, v5
	v_cvt_f32_u32_e32 v29, v29
	s_delay_alu instid0(VALU_DEP_2) | instskip(SKIP_2) | instid1(VALU_DEP_2)
	v_cvt_f32_u32_e32 v5, v5
	v_mul_f32_e32 v34, 0x4b800000, v28
	v_cmp_gt_f32_e32 vcc_lo, 0x800000, v28
	v_cndmask_b32_e32 v28, v28, v34, vcc_lo
	s_delay_alu instid0(VALU_DEP_1) | instskip(SKIP_2) | instid1(VALU_DEP_1)
	v_rsq_f32_e32 v28, v28
	s_waitcnt_depctr 0xfff
	v_mul_f32_e32 v38, 0x45800000, v28
	v_cndmask_b32_e32 v28, v28, v38, vcc_lo
	v_and_b32_e32 v30, 0xffff, v6
	v_lshrrev_b32_e32 v6, 16, v6
	v_and_b32_e32 v34, 0xffff, v3
	v_lshrrev_b32_e32 v3, 16, v3
	v_mul_f32_e32 v11, v11, v28
	v_mul_f32_e32 v40, v20, v28
	v_and_b32_e32 v36, 0xffff, v4
	v_and_b32_e32 v32, 0xffff, v8
	v_lshrrev_b32_e32 v8, 16, v8
	v_cvt_f32_u32_e32 v6, v6
	v_cvt_f32_u32_e32 v3, v3
	v_mul_f32_e32 v14, v14, v28
	v_mul_f32_e32 v41, v21, v28
	;; [unrolled: 1-line block ×3, first 2 shown]
	v_dual_mul_f32 v26, v26, v28 :: v_dual_mul_f32 v21, v11, v5
	v_mul_f32_e32 v11, v40, v33
	v_cvt_f32_u32_e32 v36, v36
	v_lshrrev_b32_e32 v4, 16, v4
	v_cvt_f32_u32_e32 v30, v30
	v_cvt_f32_u32_e32 v8, v8
	v_mul_f32_e32 v39, v19, v28
	v_dual_mul_f32 v19, v14, v6 :: v_dual_mul_f32 v6, v25, v3
	v_mul_f32_e32 v3, v26, v36
	v_mul_f32_e32 v13, v13, v28
	v_cvt_f32_u32_e32 v4, v4
	v_mul_f32_e32 v38, v18, v28
	v_mul_f32_e32 v27, v27, v28
	v_mul_f32_e32 v12, v12, v28
	v_mul_f32_e32 v18, v13, v30
	v_mul_f32_e32 v14, v39, v8
	v_mul_f32_e32 v16, v16, v28
	v_mul_f32_e32 v4, v27, v4
	v_cvt_f32_u32_e32 v32, v32
	s_delay_alu instid0(VALU_DEP_4) | instskip(NEXT) | instid1(VALU_DEP_4)
	v_dual_mul_f32 v22, v22, v28 :: v_dual_and_b32 v27, 0x7fffffff, v14
	v_dual_mul_f32 v16, v16, v7 :: v_dual_mul_f32 v23, v23, v28
	v_cvt_f32_u32_e32 v34, v34
	s_delay_alu instid0(VALU_DEP_3) | instskip(SKIP_1) | instid1(VALU_DEP_4)
	v_dual_mul_f32 v24, v24, v28 :: v_dual_mul_f32 v7, v22, v35
	v_and_b32_e32 v22, 0x7fffffff, v18
	v_dual_mul_f32 v8, v23, v2 :: v_dual_and_b32 v23, 0x7fffffff, v19
	v_dual_mul_f32 v15, v15, v28 :: v_dual_mul_f32 v20, v12, v29
	v_mul_f32_e32 v12, v41, v1
	v_dual_mul_f32 v5, v24, v34 :: v_dual_and_b32 v2, 0x7fffffff, v21
	s_delay_alu instid0(VALU_DEP_3) | instskip(NEXT) | instid1(VALU_DEP_4)
	v_mul_f32_e32 v15, v15, v31
	v_and_b32_e32 v1, 0x7fffffff, v20
	v_and_b32_e32 v33, 0x7fffffff, v6
	v_mul_f32_e32 v13, v38, v32
	;;#ASMSTART
	v_max3_f32 v1, v37, v1, v2

	;;#ASMEND
	;;#ASMSTART
	v_max3_f32 v1, v1, v22, v23

	;;#ASMEND
	v_and_b32_e32 v24, 0x7fffffff, v15
	v_and_b32_e32 v25, 0x7fffffff, v16
	;;#ASMSTART
	v_max3_f32 v1, v1, v24, v25

	;;#ASMEND
	v_and_b32_e32 v26, 0x7fffffff, v13
	;;#ASMSTART
	v_max3_f32 v1, v1, v26, v27

	;;#ASMEND
	v_and_b32_e32 v28, 0x7fffffff, v11
	v_and_b32_e32 v29, 0x7fffffff, v12
	;;#ASMSTART
	v_max3_f32 v1, v1, v28, v29

	;;#ASMEND
	v_and_b32_e32 v30, 0x7fffffff, v7
	;; [unrolled: 6-line block ×3, first 2 shown]
	v_and_b32_e32 v34, 0x7fffffff, v3
	v_and_b32_e32 v35, 0x7fffffff, v4
	;;#ASMSTART
	v_max3_f32 v1, v1, v32, v33

	;;#ASMEND
	;;#ASMSTART
	v_max3_f32 v22, v1, v34, v35

	;;#ASMEND
	s_cbranch_scc0 .LBB14_10
; %bb.4:
	s_ashr_i32 s7, s10, 31
	s_delay_alu instid0(SALU_CYCLE_1) | instskip(NEXT) | instid1(SALU_CYCLE_1)
	s_lshr_b32 s1, s7, 28
	s_add_i32 s1, s10, s1
	s_delay_alu instid0(SALU_CYCLE_1) | instskip(NEXT) | instid1(SALU_CYCLE_1)
	s_ashr_i32 s1, s1, 4
	s_cmp_lt_i32 s1, 8
	s_cbranch_scc1 .LBB14_11
; %bb.5:
	s_cmp_lt_i32 s1, 16
	s_cbranch_scc1 .LBB14_12
; %bb.6:
	;; [unrolled: 3-line block ×3, first 2 shown]
	v_mov_b32_e32 v1, v22
	s_cmp_eq_u32 s1, 32
	s_cbranch_scc0 .LBB14_9
; %bb.8:
	s_delay_alu instid0(VALU_DEP_1) | instskip(SKIP_1) | instid1(VALU_DEP_1)
	v_mov_b32_dpp v1, v22 quad_perm:[1,0,3,2] row_mask:0xf bank_mask:0xf
	s_mov_b32 s2, 0x76543210
	v_cmp_gt_f32_e32 vcc_lo, v22, v1
	v_cndmask_b32_e32 v1, v1, v22, vcc_lo
	s_delay_alu instid0(VALU_DEP_1) | instskip(NEXT) | instid1(VALU_DEP_1)
	v_mov_b32_dpp v2, v1 quad_perm:[2,3,0,1] row_mask:0xf bank_mask:0xf
	v_cmp_gt_f32_e32 vcc_lo, v1, v2
	v_cndmask_b32_e32 v1, v2, v1, vcc_lo
	s_delay_alu instid0(VALU_DEP_1) | instskip(NEXT) | instid1(VALU_DEP_1)
	v_mov_b32_dpp v2, v1 row_xmask:7 row_mask:0xf bank_mask:0xf
	v_cmp_gt_f32_e32 vcc_lo, v1, v2
	v_cndmask_b32_e32 v1, v2, v1, vcc_lo
	s_delay_alu instid0(VALU_DEP_1) | instskip(NEXT) | instid1(VALU_DEP_1)
	v_mov_b32_dpp v2, v1 row_xmask:15 row_mask:0xf bank_mask:0xf
	v_cmp_gt_f32_e32 vcc_lo, v1, v2
	v_cndmask_b32_e32 v1, v2, v1, vcc_lo
	s_delay_alu instid0(VALU_DEP_1) | instskip(NEXT) | instid1(VALU_DEP_1)
	v_permlanex16_b32 v2, v1, s2, 0xfedcba98 op_sel:[1,1]
	v_cmp_gt_f32_e32 vcc_lo, v1, v2
	v_cndmask_b32_e32 v1, v2, v1, vcc_lo
.LBB14_9:
	s_mov_b32 s2, 0
	s_branch .LBB14_14
.LBB14_10:
	s_mov_b32 s1, 0
                                        ; implicit-def: $vgpr17
                                        ; implicit-def: $vgpr1_vgpr2
	s_and_b32 vcc_lo, exec_lo, s31
	s_cbranch_vccnz .LBB14_38
	s_branch .LBB14_41
.LBB14_11:
                                        ; implicit-def: $vgpr1
	s_branch .LBB14_21
.LBB14_12:
                                        ; implicit-def: $vgpr1
	s_branch .LBB14_18
.LBB14_13:
	s_mov_b32 s2, -1
                                        ; implicit-def: $vgpr1
.LBB14_14:
	s_delay_alu instid0(SALU_CYCLE_1)
	s_and_not1_b32 vcc_lo, exec_lo, s2
	s_cbranch_vccnz .LBB14_17
; %bb.15:
	v_mov_b32_e32 v1, v22
	s_cmp_eq_u32 s1, 16
	s_cbranch_scc0 .LBB14_17
; %bb.16:
	s_delay_alu instid0(VALU_DEP_1) | instskip(NEXT) | instid1(VALU_DEP_1)
	v_mov_b32_dpp v1, v22 quad_perm:[1,0,3,2] row_mask:0xf bank_mask:0xf
	v_cmp_gt_f32_e32 vcc_lo, v22, v1
	v_cndmask_b32_e32 v1, v1, v22, vcc_lo
	s_delay_alu instid0(VALU_DEP_1) | instskip(NEXT) | instid1(VALU_DEP_1)
	v_mov_b32_dpp v2, v1 quad_perm:[2,3,0,1] row_mask:0xf bank_mask:0xf
	v_cmp_gt_f32_e32 vcc_lo, v1, v2
	v_cndmask_b32_e32 v1, v2, v1, vcc_lo
	s_delay_alu instid0(VALU_DEP_1) | instskip(NEXT) | instid1(VALU_DEP_1)
	v_mov_b32_dpp v2, v1 row_half_mirror row_mask:0xf bank_mask:0xf
	v_cmp_gt_f32_e32 vcc_lo, v1, v2
	v_cndmask_b32_e32 v1, v2, v1, vcc_lo
	s_delay_alu instid0(VALU_DEP_1) | instskip(NEXT) | instid1(VALU_DEP_1)
	v_mov_b32_dpp v2, v1 row_mirror row_mask:0xf bank_mask:0xf
	v_cmp_gt_f32_e32 vcc_lo, v1, v2
	v_cndmask_b32_e32 v1, v2, v1, vcc_lo
.LBB14_17:
	s_cbranch_execnz .LBB14_20
.LBB14_18:
	v_mov_b32_e32 v1, v22
	s_cmp_eq_u32 s1, 8
	s_cbranch_scc0 .LBB14_20
; %bb.19:
	s_delay_alu instid0(VALU_DEP_1) | instskip(NEXT) | instid1(VALU_DEP_1)
	v_mov_b32_dpp v1, v22 quad_perm:[1,0,3,2] row_mask:0xf bank_mask:0xf
	v_cmp_gt_f32_e32 vcc_lo, v22, v1
	v_cndmask_b32_e32 v1, v1, v22, vcc_lo
	s_delay_alu instid0(VALU_DEP_1) | instskip(NEXT) | instid1(VALU_DEP_1)
	v_mov_b32_dpp v2, v1 quad_perm:[2,3,0,1] row_mask:0xf bank_mask:0xf
	v_cmp_gt_f32_e32 vcc_lo, v1, v2
	v_cndmask_b32_e32 v1, v2, v1, vcc_lo
	s_delay_alu instid0(VALU_DEP_1) | instskip(NEXT) | instid1(VALU_DEP_1)
	v_mov_b32_dpp v2, v1 row_half_mirror row_mask:0xf bank_mask:0xf
	v_cmp_gt_f32_e32 vcc_lo, v1, v2
	v_cndmask_b32_e32 v1, v2, v1, vcc_lo
.LBB14_20:
	s_cbranch_execnz .LBB14_28
.LBB14_21:
	s_cmp_lt_i32 s1, 4
	s_cbranch_scc1 .LBB14_24
; %bb.22:
	v_mov_b32_e32 v1, v22
	s_cmp_eq_u32 s1, 4
	s_cbranch_scc0 .LBB14_25
; %bb.23:
	s_delay_alu instid0(VALU_DEP_1) | instskip(NEXT) | instid1(VALU_DEP_1)
	v_mov_b32_dpp v1, v22 quad_perm:[1,0,3,2] row_mask:0xf bank_mask:0xf
	v_cmp_gt_f32_e32 vcc_lo, v22, v1
	v_cndmask_b32_e32 v1, v1, v22, vcc_lo
	s_delay_alu instid0(VALU_DEP_1) | instskip(NEXT) | instid1(VALU_DEP_1)
	v_mov_b32_dpp v2, v1 quad_perm:[2,3,0,1] row_mask:0xf bank_mask:0xf
	v_cmp_gt_f32_e32 vcc_lo, v1, v2
	v_cndmask_b32_e32 v1, v2, v1, vcc_lo
	s_cbranch_execz .LBB14_26
	s_branch .LBB14_28
.LBB14_24:
                                        ; implicit-def: $vgpr1
	s_branch .LBB14_26
.LBB14_25:
	s_cbranch_execnz .LBB14_28
.LBB14_26:
	v_mov_b32_e32 v1, v22
	s_cmp_lg_u32 s1, 2
	s_cbranch_scc1 .LBB14_28
; %bb.27:
	s_delay_alu instid0(VALU_DEP_1) | instskip(NEXT) | instid1(VALU_DEP_1)
	v_mov_b32_dpp v1, v22 quad_perm:[1,0,3,2] row_mask:0xf bank_mask:0xf
	v_cmp_gt_f32_e32 vcc_lo, v22, v1
	v_cndmask_b32_e32 v1, v1, v22, vcc_lo
.LBB14_28:
	v_cvt_f32_u32_e32 v2, s1
	s_sub_i32 s2, 0, s1
	s_mov_b32 s31, 0
	s_delay_alu instid0(VALU_DEP_1) | instskip(SKIP_2) | instid1(VALU_DEP_1)
	v_rcp_iflag_f32_e32 v2, v2
	s_waitcnt_depctr 0xfff
	v_mul_f32_e32 v2, 0x4f7ffffe, v2
	v_cvt_u32_f32_e32 v2, v2
	s_delay_alu instid0(VALU_DEP_1) | instskip(NEXT) | instid1(VALU_DEP_1)
	v_mul_lo_u32 v23, s2, v2
	v_mul_hi_u32 v23, v2, v23
	s_delay_alu instid0(VALU_DEP_1) | instskip(NEXT) | instid1(VALU_DEP_1)
	v_add_nc_u32_e32 v2, v2, v23
	v_mul_hi_u32 v2, v0, v2
	s_delay_alu instid0(VALU_DEP_1) | instskip(SKIP_1) | instid1(VALU_DEP_2)
	v_mul_lo_u32 v23, v2, s1
	v_add_nc_u32_e32 v24, 1, v2
	v_sub_nc_u32_e32 v23, v0, v23
	s_delay_alu instid0(VALU_DEP_1) | instskip(SKIP_1) | instid1(VALU_DEP_2)
	v_subrev_nc_u32_e32 v25, s1, v23
	v_cmp_le_u32_e32 vcc_lo, s1, v23
	v_dual_cndmask_b32 v2, v2, v24 :: v_dual_cndmask_b32 v23, v23, v25
	s_delay_alu instid0(VALU_DEP_1) | instskip(NEXT) | instid1(VALU_DEP_2)
	v_add_nc_u32_e32 v24, 1, v2
	v_cmp_le_u32_e32 vcc_lo, s1, v23
	s_delay_alu instid0(VALU_DEP_2) | instskip(SKIP_2) | instid1(VALU_DEP_3)
	v_cndmask_b32_e32 v23, v2, v24, vcc_lo
	v_cmp_gt_u32_e32 vcc_lo, s5, v17
	v_mul_f32_e32 v17, 0x3b124925, v1
	v_mul_lo_u32 v2, v23, s1
	s_delay_alu instid0(VALU_DEP_1) | instskip(NEXT) | instid1(VALU_DEP_1)
	v_sub_nc_u32_e32 v2, v0, v2
	v_cmp_eq_u32_e64 s1, 0, v2
                                        ; implicit-def: $vgpr1_vgpr2
	s_delay_alu instid0(VALU_DEP_1) | instskip(SKIP_2) | instid1(SALU_CYCLE_1)
	s_and_b32 s2, s1, vcc_lo
	s_mov_b32 s1, 0
	s_and_saveexec_b32 s3, s2
	s_xor_b32 s8, exec_lo, s3
	s_cbranch_execz .LBB14_37
; %bb.29:
	s_bitcmp0_b32 s11, 0
	s_mov_b32 s6, 0
	s_cbranch_scc0 .LBB14_34
; %bb.30:
	s_ashr_i32 s1, s5, 31
	s_mul_hi_u32 s3, s5, s34
	s_mul_i32 s1, s1, s34
	s_mul_i32 s2, s5, s34
	s_add_i32 s3, s3, s1
	s_mov_b32 s11, s7
	s_delay_alu instid0(SALU_CYCLE_1) | instskip(NEXT) | instid1(SALU_CYCLE_1)
	s_or_b64 s[14:15], s[2:3], s[10:11]
	s_mov_b32 s7, s15
	s_delay_alu instid0(SALU_CYCLE_1)
	s_cmp_lg_u64 s[6:7], 0
	s_cbranch_scc0 .LBB14_45
; %bb.31:
	s_add_u32 s14, s10, s11
	s_mov_b32 s6, s11
	s_mov_b32 s7, s11
	s_addc_u32 s15, s11, s11
	s_delay_alu instid0(SALU_CYCLE_1) | instskip(NEXT) | instid1(SALU_CYCLE_1)
	s_xor_b64 s[14:15], s[14:15], s[6:7]
	v_cvt_f32_u32_e32 v1, s14
	v_cvt_f32_u32_e32 v2, s15
	s_sub_u32 s18, 0, s14
	s_subb_u32 s19, 0, s15
	s_delay_alu instid0(VALU_DEP_1) | instskip(NEXT) | instid1(VALU_DEP_1)
	v_fmamk_f32 v1, v2, 0x4f800000, v1
	v_rcp_f32_e32 v1, v1
	s_waitcnt_depctr 0xfff
	v_mul_f32_e32 v1, 0x5f7ffffc, v1
	s_delay_alu instid0(VALU_DEP_1) | instskip(NEXT) | instid1(VALU_DEP_1)
	v_mul_f32_e32 v2, 0x2f800000, v1
	v_trunc_f32_e32 v2, v2
	s_delay_alu instid0(VALU_DEP_1) | instskip(SKIP_1) | instid1(VALU_DEP_2)
	v_fmamk_f32 v1, v2, 0xcf800000, v1
	v_cvt_u32_f32_e32 v2, v2
	v_cvt_u32_f32_e32 v1, v1
	s_delay_alu instid0(VALU_DEP_2) | instskip(NEXT) | instid1(VALU_DEP_2)
	v_readfirstlane_b32 s1, v2
	v_readfirstlane_b32 s11, v1
	s_delay_alu instid0(VALU_DEP_2) | instskip(NEXT) | instid1(VALU_DEP_1)
	s_mul_i32 s20, s18, s1
	s_mul_hi_u32 s22, s18, s11
	s_mul_i32 s21, s19, s11
	s_add_i32 s20, s22, s20
	s_mul_i32 s23, s18, s11
	s_add_i32 s20, s20, s21
	s_mul_hi_u32 s22, s11, s23
	s_mul_hi_u32 s24, s1, s23
	s_mul_i32 s21, s1, s23
	s_mul_hi_u32 s23, s11, s20
	s_mul_i32 s11, s11, s20
	s_mul_hi_u32 s25, s1, s20
	s_add_u32 s11, s22, s11
	s_addc_u32 s22, 0, s23
	s_add_u32 s11, s11, s21
	s_mul_i32 s20, s1, s20
	s_addc_u32 s11, s22, s24
	s_addc_u32 s21, s25, 0
	s_add_u32 s11, s11, s20
	s_addc_u32 s20, 0, s21
	v_add_co_u32 v1, s11, v1, s11
	s_delay_alu instid0(VALU_DEP_1) | instskip(SKIP_1) | instid1(VALU_DEP_1)
	s_cmp_lg_u32 s11, 0
	s_addc_u32 s1, s1, s20
	v_readfirstlane_b32 s11, v1
	s_mul_i32 s20, s18, s1
	s_delay_alu instid0(VALU_DEP_1)
	s_mul_hi_u32 s21, s18, s11
	s_mul_i32 s19, s19, s11
	s_add_i32 s20, s21, s20
	s_mul_i32 s18, s18, s11
	s_add_i32 s20, s20, s19
	s_mul_hi_u32 s21, s1, s18
	s_mul_i32 s22, s1, s18
	s_mul_hi_u32 s18, s11, s18
	s_mul_hi_u32 s23, s11, s20
	s_mul_i32 s11, s11, s20
	s_mul_hi_u32 s19, s1, s20
	s_add_u32 s11, s18, s11
	s_addc_u32 s18, 0, s23
	s_add_u32 s11, s11, s22
	s_mul_i32 s20, s1, s20
	s_addc_u32 s11, s18, s21
	s_addc_u32 s18, s19, 0
	s_add_u32 s11, s11, s20
	s_addc_u32 s18, 0, s18
	v_add_co_u32 v1, s11, v1, s11
	s_delay_alu instid0(VALU_DEP_1) | instskip(SKIP_2) | instid1(SALU_CYCLE_1)
	s_cmp_lg_u32 s11, 0
	s_addc_u32 s1, s1, s18
	s_ashr_i32 s18, s3, 31
	s_add_u32 s20, s2, s18
	s_addc_u32 s21, s3, s18
	v_readfirstlane_b32 s3, v1
	s_mov_b32 s19, s18
	s_delay_alu instid0(SALU_CYCLE_1) | instskip(NEXT) | instid1(SALU_CYCLE_1)
	s_xor_b64 s[20:21], s[20:21], s[18:19]
	s_mul_i32 s22, s20, s1
	s_delay_alu instid0(VALU_DEP_1)
	s_mul_hi_u32 s23, s20, s3
	s_mul_hi_u32 s11, s20, s1
	;; [unrolled: 1-line block ×3, first 2 shown]
	s_mul_i32 s3, s21, s3
	s_add_u32 s22, s23, s22
	s_addc_u32 s11, 0, s11
	s_mul_hi_u32 s24, s21, s1
	s_add_u32 s3, s22, s3
	s_mul_i32 s1, s21, s1
	s_addc_u32 s3, s11, s25
	s_addc_u32 s11, s24, 0
	s_add_u32 s3, s3, s1
	s_addc_u32 s11, 0, s11
	s_mul_i32 s24, s14, s3
	s_mul_hi_u32 s1, s14, s3
	s_mul_i32 s23, s14, s11
	v_sub_co_u32 v1, s20, s20, s24
	s_mul_i32 s22, s15, s3
	s_add_i32 s1, s1, s23
	s_delay_alu instid0(SALU_CYCLE_1) | instskip(NEXT) | instid1(VALU_DEP_1)
	s_add_i32 s1, s1, s22
	v_sub_co_u32 v2, s23, v1, s14
	s_sub_i32 s22, s21, s1
	s_cmp_lg_u32 s20, 0
	s_subb_u32 s22, s22, s15
	s_cmp_lg_u32 s23, 0
	v_cmp_le_u32_e32 vcc_lo, s14, v2
	s_subb_u32 s22, s22, 0
	s_delay_alu instid0(SALU_CYCLE_1)
	s_cmp_ge_u32 s22, s15
	v_cndmask_b32_e64 v2, 0, -1, vcc_lo
	s_cselect_b32 s23, -1, 0
	s_cmp_eq_u32 s22, s15
	s_cselect_b32 vcc_lo, -1, 0
	s_add_u32 s22, s3, 1
	v_cndmask_b32_e32 v2, s23, v2, vcc_lo
	s_addc_u32 s23, s11, 0
	s_add_u32 s24, s3, 2
	s_addc_u32 s25, s11, 0
	s_cmp_lg_u32 s20, 0
	v_cmp_le_u32_e32 vcc_lo, s14, v1
	s_subb_u32 s1, s21, s1
	v_mov_b32_e32 v24, s24
	s_cmp_ge_u32 s1, s15
	v_cndmask_b32_e64 v1, 0, -1, vcc_lo
	s_cselect_b32 s14, -1, 0
	s_cmp_eq_u32 s1, s15
	v_cmp_ne_u32_e32 vcc_lo, 0, v2
	v_mov_b32_e32 v2, s25
	s_cselect_b32 s1, -1, 0
	s_xor_b64 s[6:7], s[18:19], s[6:7]
	v_cndmask_b32_e64 v1, s14, v1, s1
	v_cndmask_b32_e32 v24, s22, v24, vcc_lo
	v_cndmask_b32_e32 v2, s23, v2, vcc_lo
	s_delay_alu instid0(VALU_DEP_3) | instskip(NEXT) | instid1(VALU_DEP_2)
	v_cmp_ne_u32_e32 vcc_lo, 0, v1
	v_cndmask_b32_e32 v1, s11, v2, vcc_lo
	s_delay_alu instid0(VALU_DEP_4) | instskip(NEXT) | instid1(VALU_DEP_2)
	v_cndmask_b32_e32 v2, s3, v24, vcc_lo
	v_xor_b32_e32 v24, s7, v1
	s_delay_alu instid0(VALU_DEP_2) | instskip(NEXT) | instid1(VALU_DEP_1)
	v_xor_b32_e32 v2, s6, v2
	v_sub_co_u32 v1, vcc_lo, v2, s6
	s_delay_alu instid0(VALU_DEP_3)
	v_subrev_co_ci_u32_e32 v2, vcc_lo, s7, v24, vcc_lo
	s_cbranch_execnz .LBB14_33
.LBB14_32:
	v_cvt_f32_u32_e32 v1, s10
	s_sub_i32 s3, 0, s10
	s_delay_alu instid0(VALU_DEP_1) | instskip(SKIP_2) | instid1(VALU_DEP_1)
	v_rcp_iflag_f32_e32 v1, v1
	s_waitcnt_depctr 0xfff
	v_mul_f32_e32 v1, 0x4f7ffffe, v1
	v_cvt_u32_f32_e32 v1, v1
	s_delay_alu instid0(VALU_DEP_1) | instskip(NEXT) | instid1(VALU_DEP_1)
	v_readfirstlane_b32 s1, v1
	s_mul_i32 s3, s3, s1
	s_delay_alu instid0(SALU_CYCLE_1) | instskip(NEXT) | instid1(SALU_CYCLE_1)
	s_mul_hi_u32 s3, s1, s3
	s_add_i32 s1, s1, s3
	s_delay_alu instid0(SALU_CYCLE_1) | instskip(NEXT) | instid1(SALU_CYCLE_1)
	s_mul_hi_u32 s1, s2, s1
	s_mul_i32 s3, s1, s10
	s_delay_alu instid0(SALU_CYCLE_1)
	s_sub_i32 s2, s2, s3
	s_add_i32 s3, s1, 1
	s_sub_i32 s6, s2, s10
	s_cmp_ge_u32 s2, s10
	s_cselect_b32 s1, s3, s1
	s_cselect_b32 s2, s6, s2
	s_add_i32 s6, s1, 1
	s_cmp_ge_u32 s2, s10
	s_mov_b32 s3, 0
	s_cselect_b32 s2, s6, s1
	s_delay_alu instid0(SALU_CYCLE_1)
	v_dual_mov_b32 v1, s2 :: v_dual_mov_b32 v2, s3
.LBB14_33:
	s_delay_alu instid0(VALU_DEP_1) | instskip(NEXT) | instid1(VALU_DEP_2)
	v_add_co_u32 v1, vcc_lo, v1, v23
	v_add_co_ci_u32_e32 v2, vcc_lo, 0, v2, vcc_lo
	s_branch .LBB14_36
.LBB14_34:
                                        ; implicit-def: $vgpr1_vgpr2
	s_cbranch_execz .LBB14_36
; %bb.35:
	v_mul_lo_u32 v1, v23, s4
	s_delay_alu instid0(VALU_DEP_1) | instskip(SKIP_1) | instid1(VALU_DEP_2)
	v_ashrrev_i32_e32 v2, 31, v1
	v_add_co_u32 v1, vcc_lo, v1, s34
	v_add_co_ci_u32_e32 v2, vcc_lo, 0, v2, vcc_lo
.LBB14_36:
	s_mov_b32 s1, exec_lo
.LBB14_37:
	s_or_b32 exec_lo, exec_lo, s8
	s_delay_alu instid0(SALU_CYCLE_1)
	s_and_b32 vcc_lo, exec_lo, s31
	s_cbranch_vccz .LBB14_41
.LBB14_38:
	v_mov_b32_dpp v1, v22 quad_perm:[1,0,3,2] row_mask:0xf bank_mask:0xf
	s_delay_alu instid0(VALU_DEP_1) | instskip(SKIP_1) | instid1(VALU_DEP_1)
	v_cmp_gt_f32_e32 vcc_lo, v22, v1
	v_cndmask_b32_e32 v1, v1, v22, vcc_lo
	v_mov_b32_dpp v2, v1 quad_perm:[2,3,0,1] row_mask:0xf bank_mask:0xf
	s_delay_alu instid0(VALU_DEP_1) | instskip(SKIP_1) | instid1(VALU_DEP_1)
	v_cmp_gt_f32_e32 vcc_lo, v1, v2
	v_cndmask_b32_e32 v1, v2, v1, vcc_lo
	v_mov_b32_dpp v2, v1 row_xmask:7 row_mask:0xf bank_mask:0xf
	s_delay_alu instid0(VALU_DEP_1) | instskip(SKIP_1) | instid1(VALU_DEP_1)
	v_cmp_gt_f32_e32 vcc_lo, v1, v2
	v_cndmask_b32_e32 v1, v2, v1, vcc_lo
	v_mov_b32_dpp v2, v1 row_xmask:15 row_mask:0xf bank_mask:0xf
	s_delay_alu instid0(VALU_DEP_1)
	v_cmp_gt_f32_e32 vcc_lo, v1, v2
	s_and_saveexec_b32 s1, s0
	s_cbranch_execz .LBB14_40
; %bb.39:
	v_cndmask_b32_e32 v1, v2, v1, vcc_lo
	v_lshrrev_b32_e32 v2, 3, v0
	s_mov_b32 s0, 0x76543210
	s_delay_alu instid0(VALU_DEP_1) | instskip(NEXT) | instid1(VALU_DEP_3)
	v_and_b32_e32 v2, 0x7c, v2
	v_permlanex16_b32 v17, v1, s0, 0xfedcba98 op_sel:[1,1]
	s_delay_alu instid0(VALU_DEP_1)
	v_cmp_gt_f32_e32 vcc_lo, v1, v17
	v_cndmask_b32_e32 v1, v17, v1, vcc_lo
	ds_store_b32 v2, v1
.LBB14_40:
	s_or_b32 exec_lo, exec_lo, s1
	s_waitcnt lgkmcnt(0)
	s_barrier
	buffer_gl0_inv
	ds_load_b32 v1, v10
	v_cmp_eq_u32_e64 s1, 0, v0
	s_waitcnt lgkmcnt(0)
	v_mov_b32_dpp v2, v1 quad_perm:[1,0,3,2] row_mask:0xf bank_mask:0xf
	s_delay_alu instid0(VALU_DEP_1) | instskip(SKIP_1) | instid1(VALU_DEP_1)
	v_cmp_gt_f32_e32 vcc_lo, v1, v2
	v_cndmask_b32_e32 v1, v2, v1, vcc_lo
	v_mov_b32_dpp v2, v1 quad_perm:[2,3,0,1] row_mask:0xf bank_mask:0xf
	s_delay_alu instid0(VALU_DEP_1) | instskip(SKIP_1) | instid1(VALU_DEP_1)
	v_cmp_gt_f32_e32 vcc_lo, v1, v2
	v_cndmask_b32_e32 v1, v2, v1, vcc_lo
	v_mov_b32_dpp v2, v1 row_xmask:7 row_mask:0xf bank_mask:0xf
	s_delay_alu instid0(VALU_DEP_1) | instskip(SKIP_1) | instid1(VALU_DEP_1)
	v_cmp_gt_f32_e32 vcc_lo, v1, v2
	v_cndmask_b32_e32 v1, v2, v1, vcc_lo
	v_mul_f32_e32 v17, 0x3b124925, v1
	v_dual_mov_b32 v1, s34 :: v_dual_mov_b32 v2, s35
.LBB14_41:
	s_and_saveexec_b32 s0, s1
	s_cbranch_execz .LBB14_43
; %bb.42:
	s_delay_alu instid0(VALU_DEP_1) | instskip(NEXT) | instid1(VALU_DEP_1)
	v_lshlrev_b64 v[0:1], 2, v[1:2]
	v_add_co_u32 v0, vcc_lo, s16, v0
	s_delay_alu instid0(VALU_DEP_2)
	v_add_co_ci_u32_e32 v1, vcc_lo, s17, v1, vcc_lo
	global_store_b32 v[0:1], v17, off
.LBB14_43:
	s_or_b32 exec_lo, exec_lo, s0
	;;#ASMSTART
	v_rcp_f32 v2, v17
	;;#ASMEND
	v_dual_mul_f32 v0, v20, v2 :: v_dual_mov_b32 v17, 0x43e00000
	v_dual_mul_f32 v1, v21, v2 :: v_dual_mov_b32 v10, 0xc3e00000
	v_mul_f32_e32 v18, v18, v2
	v_mul_f32_e32 v19, v19, v2
	;;#ASMSTART
	v_med3_f32 v0, v0, v10, v17
v_med3_f32 v1, v1, v10, v17
v_cvt_pk_fp8_f32 v20, v0, v1
	;;#ASMEND
	;;#ASMSTART
	v_med3_f32 v18, v18, v10, v17
v_med3_f32 v19, v19, v10, v17
v_cvt_pk_fp8_f32 v0, v18, v19
	;;#ASMEND
	v_perm_b32 v1, v0, v20, 0x5040100
	v_and_b32_e32 v0, 0xffffff00, v0
	s_add_i32 s0, s5, 3
	v_mul_f32_e32 v16, v16, v2
	s_ashr_i32 s1, s0, 31
	v_lshrrev_b32_e32 v18, 16, v1
	s_lshr_b32 s1, s1, 30
	v_mul_f32_e32 v13, v13, v2
	v_mul_f32_e32 v14, v14, v2
	s_add_i32 s0, s0, s1
	v_and_b32_e32 v18, 0xff, v18
	s_ashr_i32 s1, s9, 31
	s_mul_hi_u32 s3, s9, s34
	s_mul_i32 s1, s1, s34
	s_and_b32 s2, s0, -4
	v_or_b32_e32 v0, v18, v0
	v_mul_f32_e32 v15, v15, v2
	s_mul_i32 s0, s9, s34
	s_add_i32 s3, s3, s1
	s_add_u32 s0, s12, s0
	v_lshlrev_b32_e32 v0, 16, v0
	;;#ASMSTART
	v_med3_f32 v15, v15, v10, v17
v_med3_f32 v16, v16, v10, v17
v_cvt_pk_fp8_f32 v18, v15, v16
	;;#ASMEND
	;;#ASMSTART
	v_med3_f32 v13, v13, v10, v17
v_med3_f32 v14, v14, v10, v17
v_cvt_pk_fp8_f32 v15, v13, v14
	;;#ASMEND
	v_lshlrev_b32_e32 v13, 16, v15
	s_addc_u32 s1, s13, s3
	v_and_or_b32 v0, 0xffff, v1, v0
	s_and_b32 s1, s1, 0xffff
	s_mov_b32 s3, -1
	v_and_or_b32 v1, 0xffff, v18, v13
	v_mul_f32_e32 v11, v11, v2
	v_mul_f32_e32 v12, v12, v2
	;; [unrolled: 1-line block ×4, first 2 shown]
	buffer_store_b64 v[0:1], v9, s[0:3], 0 offen
	;;#ASMSTART
	s_nop 0
	;;#ASMEND
	;;#ASMSTART
	v_med3_f32 v11, v11, v10, v17
v_med3_f32 v12, v12, v10, v17
v_cvt_pk_fp8_f32 v0, v11, v12
	;;#ASMEND
	;;#ASMSTART
	v_med3_f32 v7, v7, v10, v17
v_med3_f32 v8, v8, v10, v17
v_cvt_pk_fp8_f32 v1, v7, v8
	;;#ASMEND
	v_perm_b32 v0, v1, v0, 0x5040100
	v_and_b32_e32 v1, 0xffffff00, v1
	v_mul_f32_e32 v5, v5, v2
	v_mul_f32_e32 v6, v6, v2
	;; [unrolled: 1-line block ×3, first 2 shown]
	v_lshrrev_b32_e32 v7, 16, v0
	v_mul_f32_e32 v2, v4, v2
	;;#ASMSTART
	v_med3_f32 v5, v5, v10, v17
v_med3_f32 v6, v6, v10, v17
v_cvt_pk_fp8_f32 v4, v5, v6
	;;#ASMEND
	;;#ASMSTART
	v_med3_f32 v3, v3, v10, v17
v_med3_f32 v2, v2, v10, v17
v_cvt_pk_fp8_f32 v5, v3, v2
	;;#ASMEND
	v_lshlrev_b32_e32 v2, 16, v5
	v_and_b32_e32 v7, 0xff, v7
	s_movk_i32 s4, 0x100
	s_delay_alu instid0(VALU_DEP_1) | instskip(NEXT) | instid1(VALU_DEP_1)
	v_or_b32_e32 v1, v7, v1
	v_lshlrev_b32_e32 v3, 16, v1
	v_and_or_b32 v1, 0xffff, v4, v2
	s_delay_alu instid0(VALU_DEP_2)
	v_and_or_b32 v0, 0xffff, v0, v3
	buffer_store_b64 v[0:1], v9, s[0:3], s4 offen
	;;#ASMSTART
	s_nop 0
	;;#ASMEND
.LBB14_44:
	s_nop 0
	s_sendmsg sendmsg(MSG_DEALLOC_VGPRS)
	s_endpgm
.LBB14_45:
                                        ; implicit-def: $vgpr1_vgpr2
	s_branch .LBB14_32
	.section	.rodata,"a",@progbits
	.p2align	6, 0x0
	.amdhsa_kernel _ZN5aiter24add_rmsnorm_quant_kernelItDB8_Li256ELi16ELb1ELb1ELb1ELi1EEEvPT0_PT_PfS5_S5_S5_diiiiiiib
		.amdhsa_group_segment_fixed_size 64
		.amdhsa_private_segment_fixed_size 0
		.amdhsa_kernarg_size 88
		.amdhsa_user_sgpr_count 15
		.amdhsa_user_sgpr_dispatch_ptr 0
		.amdhsa_user_sgpr_queue_ptr 0
		.amdhsa_user_sgpr_kernarg_segment_ptr 1
		.amdhsa_user_sgpr_dispatch_id 0
		.amdhsa_user_sgpr_private_segment_size 0
		.amdhsa_wavefront_size32 1
		.amdhsa_uses_dynamic_stack 0
		.amdhsa_enable_private_segment 0
		.amdhsa_system_sgpr_workgroup_id_x 1
		.amdhsa_system_sgpr_workgroup_id_y 0
		.amdhsa_system_sgpr_workgroup_id_z 0
		.amdhsa_system_sgpr_workgroup_info 0
		.amdhsa_system_vgpr_workitem_id 0
		.amdhsa_next_free_vgpr 43
		.amdhsa_next_free_sgpr 40
		.amdhsa_reserve_vcc 1
		.amdhsa_float_round_mode_32 0
		.amdhsa_float_round_mode_16_64 0
		.amdhsa_float_denorm_mode_32 3
		.amdhsa_float_denorm_mode_16_64 3
		.amdhsa_dx10_clamp 1
		.amdhsa_ieee_mode 1
		.amdhsa_fp16_overflow 0
		.amdhsa_workgroup_processor_mode 1
		.amdhsa_memory_ordered 1
		.amdhsa_forward_progress 0
		.amdhsa_shared_vgpr_count 0
		.amdhsa_exception_fp_ieee_invalid_op 0
		.amdhsa_exception_fp_denorm_src 0
		.amdhsa_exception_fp_ieee_div_zero 0
		.amdhsa_exception_fp_ieee_overflow 0
		.amdhsa_exception_fp_ieee_underflow 0
		.amdhsa_exception_fp_ieee_inexact 0
		.amdhsa_exception_int_div_zero 0
	.end_amdhsa_kernel
	.section	.text._ZN5aiter24add_rmsnorm_quant_kernelItDB8_Li256ELi16ELb1ELb1ELb1ELi1EEEvPT0_PT_PfS5_S5_S5_diiiiiiib,"axG",@progbits,_ZN5aiter24add_rmsnorm_quant_kernelItDB8_Li256ELi16ELb1ELb1ELb1ELi1EEEvPT0_PT_PfS5_S5_S5_diiiiiiib,comdat
.Lfunc_end14:
	.size	_ZN5aiter24add_rmsnorm_quant_kernelItDB8_Li256ELi16ELb1ELb1ELb1ELi1EEEvPT0_PT_PfS5_S5_S5_diiiiiiib, .Lfunc_end14-_ZN5aiter24add_rmsnorm_quant_kernelItDB8_Li256ELi16ELb1ELb1ELb1ELi1EEEvPT0_PT_PfS5_S5_S5_diiiiiiib
                                        ; -- End function
	.section	.AMDGPU.csdata,"",@progbits
; Kernel info:
; codeLenInByte = 4760
; NumSgprs: 42
; NumVgprs: 43
; ScratchSize: 0
; MemoryBound: 0
; FloatMode: 240
; IeeeMode: 1
; LDSByteSize: 64 bytes/workgroup (compile time only)
; SGPRBlocks: 5
; VGPRBlocks: 5
; NumSGPRsForWavesPerEU: 42
; NumVGPRsForWavesPerEU: 43
; Occupancy: 16
; WaveLimiterHint : 0
; COMPUTE_PGM_RSRC2:SCRATCH_EN: 0
; COMPUTE_PGM_RSRC2:USER_SGPR: 15
; COMPUTE_PGM_RSRC2:TRAP_HANDLER: 0
; COMPUTE_PGM_RSRC2:TGID_X_EN: 1
; COMPUTE_PGM_RSRC2:TGID_Y_EN: 0
; COMPUTE_PGM_RSRC2:TGID_Z_EN: 0
; COMPUTE_PGM_RSRC2:TIDIG_COMP_CNT: 0
	.section	.text._ZN5aiter24add_rmsnorm_quant_kernelIDF16_DB8_Li256ELi16ELb1ELb1ELb0ELi1EEEvPT0_PT_PfS5_S5_S5_diiiiiiib,"axG",@progbits,_ZN5aiter24add_rmsnorm_quant_kernelIDF16_DB8_Li256ELi16ELb1ELb1ELb0ELi1EEEvPT0_PT_PfS5_S5_S5_diiiiiiib,comdat
	.protected	_ZN5aiter24add_rmsnorm_quant_kernelIDF16_DB8_Li256ELi16ELb1ELb1ELb0ELi1EEEvPT0_PT_PfS5_S5_S5_diiiiiiib ; -- Begin function _ZN5aiter24add_rmsnorm_quant_kernelIDF16_DB8_Li256ELi16ELb1ELb1ELb0ELi1EEEvPT0_PT_PfS5_S5_S5_diiiiiiib
	.globl	_ZN5aiter24add_rmsnorm_quant_kernelIDF16_DB8_Li256ELi16ELb1ELb1ELb0ELi1EEEvPT0_PT_PfS5_S5_S5_diiiiiiib
	.p2align	8
	.type	_ZN5aiter24add_rmsnorm_quant_kernelIDF16_DB8_Li256ELi16ELb1ELb1ELb0ELi1EEEvPT0_PT_PfS5_S5_S5_diiiiiiib,@function
_ZN5aiter24add_rmsnorm_quant_kernelIDF16_DB8_Li256ELi16ELb1ELb1ELb0ELi1EEEvPT0_PT_PfS5_S5_S5_diiiiiiib: ; @_ZN5aiter24add_rmsnorm_quant_kernelIDF16_DB8_Li256ELi16ELb1ELb1ELb0ELi1EEEvPT0_PT_PfS5_S5_S5_diiiiiiib
; %bb.0:
	s_mov_b32 s34, s15
	s_load_b256 s[12:19], s[0:1], 0x38
	s_mov_b32 s35, 0
	s_waitcnt lgkmcnt(0)
	s_ashr_i32 s3, s12, 31
	s_mov_b32 s2, s12
	s_delay_alu instid0(SALU_CYCLE_1) | instskip(NEXT) | instid1(VALU_DEP_1)
	v_cmp_ge_i64_e64 s2, s[34:35], s[2:3]
	s_and_b32 vcc_lo, exec_lo, s2
	s_cbranch_vccnz .LBB15_44
; %bb.1:
	s_clause 0x1
	s_load_b256 s[4:11], s[0:1], 0x0
	s_load_b256 s[20:27], s[0:1], 0x20
	s_ashr_i32 s1, s14, 31
	s_mul_hi_u32 s2, s14, s34
	s_mul_i32 s1, s1, s34
	s_mul_i32 s0, s14, s34
	s_add_i32 s1, s2, s1
	s_mul_hi_u32 s3, s15, s34
	s_lshl_b64 s[0:1], s[0:1], 1
	v_lshlrev_b32_e32 v35, 5, v0
	s_mul_i32 s2, s15, s34
	s_mov_b32 s31, -1
	v_and_b32_e32 v36, 31, v0
	s_waitcnt lgkmcnt(0)
	s_add_u32 s28, s10, s0
	s_addc_u32 s0, s11, s1
	s_add_i32 s10, s13, 1
	s_ashr_i32 s11, s15, 31
	s_lshr_b32 s14, s10, 31
	s_mul_i32 s11, s11, s34
	s_add_i32 s10, s10, s14
	s_and_b32 s29, s0, 0xffff
	s_lshl_b32 s0, s10, 1
	s_add_i32 s3, s3, s11
	s_and_b32 s30, s0, -4
	s_lshl_b64 s[2:3], s[2:3], 1
	s_and_b32 s1, s23, 0xffff
	s_clause 0x1
	buffer_load_b128 v[13:16], v35, s[28:31], 0 offen
	buffer_load_b128 v[21:24], v35, s[28:31], 16 offen
	s_add_u32 s28, s20, s2
	s_addc_u32 s0, s21, s3
	s_mov_b32 s3, s31
	s_and_b32 s29, s0, 0xffff
	s_clause 0x1
	buffer_load_b128 v[17:20], v35, s[28:31], 0 offen
	buffer_load_b128 v[25:28], v35, s[28:31], 16 offen
	s_mov_b32 s0, s22
	s_mov_b32 s2, s30
	s_waitcnt vmcnt(3)
	v_cvt_f32_f16_e32 v12, v13
	v_lshrrev_b32_e32 v9, 16, v13
	v_cvt_f32_f16_e32 v13, v14
	s_waitcnt vmcnt(1)
	v_lshrrev_b32_e32 v10, 16, v17
	v_cvt_f32_f16_e32 v17, v17
	v_cvt_f32_f16_e32 v9, v9
	s_delay_alu instid0(VALU_DEP_3) | instskip(NEXT) | instid1(VALU_DEP_3)
	v_cvt_f32_f16_e32 v10, v10
	v_add_f32_e32 v12, v12, v17
	s_clause 0x1
	buffer_load_b128 v[5:8], v35, s[0:3], 0 offen
	buffer_load_b128 v[1:4], v35, s[0:3], 16 offen
	v_cvt_f32_f16_e32 v17, v15
	s_ashr_i32 s0, s16, 31
	v_add_f32_e32 v11, v9, v10
	v_lshrrev_b32_e32 v9, 16, v14
	v_cvt_f32_f16_e32 v10, v18
	v_lshrrev_b32_e32 v14, 16, v18
	v_lshrrev_b32_e32 v18, 16, v19
	s_mul_hi_u32 s1, s16, s34
	v_cvt_f32_f16_e32 v9, v9
	v_add_f32_e32 v13, v13, v10
	v_cvt_f32_f16_e32 v14, v14
	v_lshrrev_b32_e32 v10, 16, v15
	v_cvt_f32_f16_e32 v15, v19
	v_cvt_f32_f16_e32 v18, v18
	;; [unrolled: 1-line block ×3, first 2 shown]
	v_lshrrev_b32_e32 v20, 16, v20
	v_cvt_f32_f16_e32 v10, v10
	v_add_f32_e32 v15, v17, v15
	v_add_f32_e32 v14, v9, v14
	v_cvt_f32_f16_e32 v9, v16
	v_lshrrev_b32_e32 v17, 16, v16
	v_add_f32_e32 v16, v10, v18
	v_cvt_f32_f16_e32 v10, v21
	v_cvt_f32_f16_e32 v20, v20
	s_mul_i32 s2, s0, s34
	v_cvt_f32_f16_e32 v18, v17
	v_add_f32_e32 v17, v9, v19
	v_lshrrev_b32_e32 v9, 16, v21
	s_waitcnt vmcnt(2)
	v_cvt_f32_f16_e32 v19, v25
	v_lshrrev_b32_e32 v21, 16, v25
	v_add_f32_e32 v18, v18, v20
	v_cvt_f32_f16_e32 v25, v22
	v_cvt_f32_f16_e32 v9, v9
	v_add_f32_e32 v19, v10, v19
	v_cvt_f32_f16_e32 v20, v21
	v_mul_f32_e32 v29, v11, v11
	v_lshrrev_b32_e32 v10, 16, v22
	v_lshrrev_b32_e32 v22, 16, v26
	v_cvt_f32_f16_e32 v21, v26
	v_add_f32_e32 v20, v9, v20
	v_cvt_f32_f16_e32 v9, v23
	v_cvt_f32_f16_e32 v10, v10
	;; [unrolled: 1-line block ×3, first 2 shown]
	v_fmac_f32_e32 v29, v12, v12
	v_lshrrev_b32_e32 v23, 16, v23
	v_lshrrev_b32_e32 v26, 16, v27
	s_delay_alu instid0(VALU_DEP_4) | instskip(SKIP_1) | instid1(VALU_DEP_4)
	v_dual_add_f32 v21, v25, v21 :: v_dual_add_f32 v22, v10, v22
	v_cvt_f32_f16_e32 v25, v27
	v_cvt_f32_f16_e32 v27, v23
	s_delay_alu instid0(VALU_DEP_4)
	v_cvt_f32_f16_e32 v26, v26
	v_fmac_f32_e32 v29, v13, v13
	v_cvt_f32_f16_e32 v10, v24
	v_add_f32_e32 v23, v9, v25
	v_lshrrev_b32_e32 v9, 16, v24
	v_add_f32_e32 v24, v27, v26
	v_fmac_f32_e32 v29, v14, v14
	v_cvt_f32_f16_e32 v25, v28
	v_lshrrev_b32_e32 v28, 16, v28
	v_cvt_f32_f16_e32 v9, v9
	s_mul_i32 s0, s16, s34
	v_fmac_f32_e32 v29, v15, v15
	v_add_f32_e32 v25, v10, v25
	v_cvt_f32_f16_e32 v26, v28
	s_add_i32 s1, s1, s2
	v_cvt_f16_f32_e32 v10, v12
	v_fmac_f32_e32 v29, v16, v16
	s_lshl_b64 s[0:1], s[0:1], 1
	v_add_f32_e32 v26, v9, v26
	v_cvt_f16_f32_e32 v27, v13
	v_cvt_f16_f32_e32 v28, v15
	v_fmac_f32_e32 v29, v17, v17
	v_cvt_f16_f32_e32 v30, v17
	v_cvt_f16_f32_e32 v31, v19
	v_cvt_f16_f32_e32 v32, v21
	v_cvt_f16_f32_e32 v33, v23
	v_fmac_f32_e32 v29, v18, v18
	v_cvt_f16_f32_e32 v34, v25
	v_cvt_f16_f32_e32 v37, v11
	;; [unrolled: 5-line block ×3, first 2 shown]
	v_cvt_f16_f32_e32 v42, v22
	v_cvt_f16_f32_e32 v43, v24
	v_fmac_f32_e32 v29, v20, v20
	v_cvt_f16_f32_e32 v44, v26
	s_add_u32 s28, s6, s0
	s_addc_u32 s0, s7, s1
	v_pack_b32_f16 v30, v30, v40
	v_fmac_f32_e32 v29, v21, v21
	s_and_b32 s29, s0, 0xffff
	v_pack_b32_f16 v34, v34, v44
	v_pack_b32_f16 v33, v33, v43
	;; [unrolled: 1-line block ×3, first 2 shown]
	v_fmac_f32_e32 v29, v22, v22
	v_pack_b32_f16 v31, v31, v41
	v_cmp_eq_u32_e64 s0, 31, v36
	s_delay_alu instid0(VALU_DEP_3) | instskip(NEXT) | instid1(VALU_DEP_1)
	v_fmac_f32_e32 v29, v23, v23
	v_fmac_f32_e32 v29, v24, v24
	s_delay_alu instid0(VALU_DEP_1) | instskip(NEXT) | instid1(VALU_DEP_1)
	v_fmac_f32_e32 v29, v25, v25
	v_fmac_f32_e32 v29, v26, v26
	s_delay_alu instid0(VALU_DEP_1) | instskip(NEXT) | instid1(VALU_DEP_1)
	v_mov_b32_dpp v9, v29 quad_perm:[1,0,3,2] row_mask:0xf bank_mask:0xf
	v_add_f32_e32 v9, v29, v9
	s_delay_alu instid0(VALU_DEP_1) | instskip(NEXT) | instid1(VALU_DEP_1)
	v_mov_b32_dpp v29, v9 quad_perm:[2,3,0,1] row_mask:0xf bank_mask:0xf
	v_add_f32_e32 v9, v9, v29
	v_pack_b32_f16 v29, v28, v39
	v_pack_b32_f16 v28, v27, v38
	;; [unrolled: 1-line block ×3, first 2 shown]
	s_delay_alu instid0(VALU_DEP_4)
	v_mov_b32_dpp v45, v9 row_xmask:7 row_mask:0xf bank_mask:0xf
	buffer_store_b128 v[27:30], v35, s[28:31], 0 offen
	;;#ASMSTART
	s_nop 0
	;;#ASMEND
	v_add_f32_e32 v9, v9, v45
	buffer_store_b128 v[31:34], v35, s[28:31], 16 offen
	;;#ASMSTART
	s_nop 0
	;;#ASMEND
	v_mov_b32_dpp v10, v9 row_xmask:15 row_mask:0xf bank_mask:0xf
	s_and_saveexec_b32 s1, s0
	s_cbranch_execz .LBB15_3
; %bb.2:
	s_delay_alu instid0(VALU_DEP_1) | instskip(SKIP_2) | instid1(VALU_DEP_2)
	v_add_f32_e32 v9, v9, v10
	s_mov_b32 s2, 0x76543210
	v_lshrrev_b32_e32 v10, 3, v0
	v_permlanex16_b32 v27, v9, s2, 0xfedcba98 op_sel:[1,1]
	s_delay_alu instid0(VALU_DEP_1)
	v_dual_add_f32 v9, v9, v27 :: v_dual_and_b32 v10, 0x7c, v10
	ds_store_b32 v10, v9 offset:32
.LBB15_3:
	s_or_b32 exec_lo, exec_lo, s1
	v_and_b32_e32 v9, 7, v0
	s_waitcnt vmcnt(0) lgkmcnt(0)
	s_waitcnt_vscnt null, 0x0
	s_barrier
	buffer_gl0_inv
	v_cvt_f32_i32_e32 v28, s13
	v_lshlrev_b32_e32 v10, 2, v9
	v_cvt_f32_f16_e32 v35, v4
	v_lshrrev_b32_e32 v4, 16, v4
	v_cvt_f32_f16_e32 v34, v3
	v_cvt_f32_f16_e32 v33, v2
	ds_load_b32 v9, v10 offset:32
	v_lshrrev_b32_e32 v2, 16, v2
	v_cvt_f32_f16_e32 v4, v4
	v_lshrrev_b32_e32 v3, 16, v3
	s_cmp_lg_u32 s18, 0
	v_mov_b32_e32 v36, 0x2edbe6ff
	v_cvt_f32_f16_e32 v2, v2
	s_delay_alu instid0(VALU_DEP_3) | instskip(SKIP_2) | instid1(VALU_DEP_1)
	v_cvt_f32_f16_e32 v3, v3
	s_waitcnt lgkmcnt(0)
	v_mov_b32_dpp v27, v9 quad_perm:[1,0,3,2] row_mask:0xf bank_mask:0xf
	v_add_f32_e32 v9, v9, v27
	s_delay_alu instid0(VALU_DEP_1) | instskip(NEXT) | instid1(VALU_DEP_1)
	v_mov_b32_dpp v27, v9 quad_perm:[2,3,0,1] row_mask:0xf bank_mask:0xf
	v_add_f32_e32 v9, v9, v27
	s_delay_alu instid0(VALU_DEP_1) | instskip(NEXT) | instid1(VALU_DEP_1)
	v_mov_b32_dpp v27, v9 row_xmask:7 row_mask:0xf bank_mask:0xf
	v_add_f32_e32 v9, v9, v27
	s_delay_alu instid0(VALU_DEP_1) | instskip(SKIP_1) | instid1(VALU_DEP_2)
	v_div_scale_f32 v27, null, v28, v28, v9
	v_div_scale_f32 v31, vcc_lo, v9, v28, v9
	v_rcp_f32_e32 v29, v27
	s_waitcnt_depctr 0xfff
	v_fma_f32 v30, -v27, v29, 1.0
	s_delay_alu instid0(VALU_DEP_1) | instskip(NEXT) | instid1(VALU_DEP_1)
	v_fmac_f32_e32 v29, v30, v29
	v_mul_f32_e32 v30, v31, v29
	s_delay_alu instid0(VALU_DEP_1) | instskip(NEXT) | instid1(VALU_DEP_1)
	v_fma_f32 v32, -v27, v30, v31
	v_fmac_f32_e32 v30, v32, v29
	v_cvt_f32_f16_e32 v32, v1
	v_lshrrev_b32_e32 v1, 16, v1
	s_delay_alu instid0(VALU_DEP_3) | instskip(SKIP_2) | instid1(VALU_DEP_4)
	v_fma_f32 v27, -v27, v30, v31
	v_cvt_f32_f16_e32 v31, v8
	v_lshrrev_b32_e32 v8, 16, v8
	v_cvt_f32_f16_e32 v1, v1
	s_delay_alu instid0(VALU_DEP_4) | instskip(SKIP_3) | instid1(VALU_DEP_4)
	v_div_fmas_f32 v27, v27, v29, v30
	v_cvt_f32_f16_e32 v30, v6
	v_lshrrev_b32_e32 v6, 16, v6
	v_cvt_f32_f16_e32 v8, v8
	v_div_fixup_f32 v9, v27, v28, v9
	s_delay_alu instid0(VALU_DEP_3) | instskip(NEXT) | instid1(VALU_DEP_2)
	v_cvt_f32_f16_e32 v6, v6
	v_cvt_f64_f32_e32 v[27:28], v9
	s_delay_alu instid0(VALU_DEP_1) | instskip(NEXT) | instid1(VALU_DEP_1)
	v_add_f64 v[27:28], v[27:28], s[24:25]
	v_cvt_f32_f64_e32 v27, v[27:28]
	v_cvt_f32_f16_e32 v28, v5
	v_lshrrev_b32_e32 v5, 16, v5
	s_delay_alu instid0(VALU_DEP_1) | instskip(NEXT) | instid1(VALU_DEP_4)
	v_cvt_f32_f16_e32 v5, v5
	v_mul_f32_e32 v29, 0x4b800000, v27
	v_cmp_gt_f32_e32 vcc_lo, 0x800000, v27
	s_delay_alu instid0(VALU_DEP_2) | instskip(SKIP_2) | instid1(VALU_DEP_3)
	v_cndmask_b32_e32 v27, v27, v29, vcc_lo
	v_cvt_f32_f16_e32 v29, v7
	v_lshrrev_b32_e32 v7, 16, v7
	v_rsq_f32_e32 v27, v27
	s_delay_alu instid0(VALU_DEP_1) | instskip(SKIP_2) | instid1(VALU_DEP_1)
	v_cvt_f32_f16_e32 v7, v7
	s_waitcnt_depctr 0xfff
	v_mul_f32_e32 v37, 0x45800000, v27
	v_cndmask_b32_e32 v27, v27, v37, vcc_lo
	s_delay_alu instid0(VALU_DEP_1) | instskip(NEXT) | instid1(VALU_DEP_1)
	v_mul_f32_e32 v16, v16, v27
	v_dual_mul_f32 v16, v16, v7 :: v_dual_lshlrev_b32 v9, 4, v0
	v_mul_f32_e32 v14, v14, v27
	v_mul_f32_e32 v12, v12, v27
	;; [unrolled: 1-line block ×5, first 2 shown]
	v_dual_mul_f32 v18, v14, v6 :: v_dual_mul_f32 v39, v19, v27
	v_mul_f32_e32 v19, v12, v28
	v_dual_mul_f32 v14, v38, v8 :: v_dual_mul_f32 v23, v23, v27
	v_mul_f32_e32 v26, v26, v27
	v_mul_f32_e32 v15, v15, v27
	v_mul_f32_e32 v22, v22, v27
	s_delay_alu instid0(VALU_DEP_3) | instskip(NEXT) | instid1(VALU_DEP_3)
	v_dual_mul_f32 v13, v13, v27 :: v_dual_mul_f32 v4, v26, v4
	v_dual_mul_f32 v40, v20, v27 :: v_dual_mul_f32 v15, v15, v29
	s_delay_alu instid0(VALU_DEP_3) | instskip(SKIP_1) | instid1(VALU_DEP_3)
	v_dual_mul_f32 v11, v11, v27 :: v_dual_mul_f32 v8, v22, v2
	v_and_b32_e32 v22, 0x7fffffff, v18
	v_dual_mul_f32 v12, v40, v1 :: v_dual_mul_f32 v25, v25, v27
	s_delay_alu instid0(VALU_DEP_3) | instskip(SKIP_3) | instid1(VALU_DEP_4)
	v_dual_mul_f32 v20, v11, v5 :: v_dual_mul_f32 v37, v17, v27
	v_mul_f32_e32 v17, v13, v30
	v_mul_f32_e32 v11, v39, v32
	v_and_b32_e32 v1, 0x7fffffff, v19
	v_dual_mul_f32 v13, v37, v31 :: v_dual_and_b32 v2, 0x7fffffff, v20
	v_and_b32_e32 v30, 0x7fffffff, v8
	v_mul_f32_e32 v6, v24, v3
	v_dual_mul_f32 v7, v21, v33 :: v_dual_and_b32 v24, 0x7fffffff, v16
	v_and_b32_e32 v21, 0x7fffffff, v17
	;;#ASMSTART
	v_max3_f32 v1, v36, v1, v2

	;;#ASMEND
	v_and_b32_e32 v26, 0x7fffffff, v14
	v_dual_mul_f32 v5, v23, v34 :: v_dual_and_b32 v28, 0x7fffffff, v12
	v_dual_mul_f32 v3, v25, v35 :: v_dual_and_b32 v32, 0x7fffffff, v6
	;;#ASMSTART
	v_max3_f32 v1, v1, v21, v22

	;;#ASMEND
	v_and_b32_e32 v23, 0x7fffffff, v15
	;;#ASMSTART
	v_max3_f32 v1, v1, v23, v24

	;;#ASMEND
	v_and_b32_e32 v25, 0x7fffffff, v13
	;; [unrolled: 5-line block ×5, first 2 shown]
	v_and_b32_e32 v33, 0x7fffffff, v3
	v_and_b32_e32 v34, 0x7fffffff, v4
	;;#ASMSTART
	v_max3_f32 v1, v1, v31, v32

	;;#ASMEND
	;;#ASMSTART
	v_max3_f32 v21, v1, v33, v34

	;;#ASMEND
	s_cbranch_scc0 .LBB15_10
; %bb.4:
	s_ashr_i32 s7, s18, 31
	s_delay_alu instid0(SALU_CYCLE_1) | instskip(NEXT) | instid1(SALU_CYCLE_1)
	s_lshr_b32 s1, s7, 28
	s_add_i32 s1, s18, s1
	s_delay_alu instid0(SALU_CYCLE_1) | instskip(NEXT) | instid1(SALU_CYCLE_1)
	s_ashr_i32 s1, s1, 4
	s_cmp_lt_i32 s1, 8
	s_cbranch_scc1 .LBB15_11
; %bb.5:
	s_cmp_lt_i32 s1, 16
	s_cbranch_scc1 .LBB15_12
; %bb.6:
	;; [unrolled: 3-line block ×3, first 2 shown]
	v_mov_b32_e32 v1, v21
	s_cmp_eq_u32 s1, 32
	s_cbranch_scc0 .LBB15_9
; %bb.8:
	s_delay_alu instid0(VALU_DEP_1) | instskip(SKIP_1) | instid1(VALU_DEP_1)
	v_mov_b32_dpp v1, v21 quad_perm:[1,0,3,2] row_mask:0xf bank_mask:0xf
	s_mov_b32 s2, 0x76543210
	v_cmp_gt_f32_e32 vcc_lo, v21, v1
	v_cndmask_b32_e32 v1, v1, v21, vcc_lo
	s_delay_alu instid0(VALU_DEP_1) | instskip(NEXT) | instid1(VALU_DEP_1)
	v_mov_b32_dpp v2, v1 quad_perm:[2,3,0,1] row_mask:0xf bank_mask:0xf
	v_cmp_gt_f32_e32 vcc_lo, v1, v2
	v_cndmask_b32_e32 v1, v2, v1, vcc_lo
	s_delay_alu instid0(VALU_DEP_1) | instskip(NEXT) | instid1(VALU_DEP_1)
	v_mov_b32_dpp v2, v1 row_xmask:7 row_mask:0xf bank_mask:0xf
	v_cmp_gt_f32_e32 vcc_lo, v1, v2
	v_cndmask_b32_e32 v1, v2, v1, vcc_lo
	s_delay_alu instid0(VALU_DEP_1) | instskip(NEXT) | instid1(VALU_DEP_1)
	v_mov_b32_dpp v2, v1 row_xmask:15 row_mask:0xf bank_mask:0xf
	v_cmp_gt_f32_e32 vcc_lo, v1, v2
	v_cndmask_b32_e32 v1, v2, v1, vcc_lo
	s_delay_alu instid0(VALU_DEP_1) | instskip(NEXT) | instid1(VALU_DEP_1)
	v_permlanex16_b32 v2, v1, s2, 0xfedcba98 op_sel:[1,1]
	v_cmp_gt_f32_e32 vcc_lo, v1, v2
	v_cndmask_b32_e32 v1, v2, v1, vcc_lo
.LBB15_9:
	s_mov_b32 s2, 0
	s_branch .LBB15_14
.LBB15_10:
	s_mov_b32 s1, 0
                                        ; implicit-def: $vgpr22
                                        ; implicit-def: $vgpr1_vgpr2
	s_and_b32 vcc_lo, exec_lo, s31
	s_cbranch_vccnz .LBB15_38
	s_branch .LBB15_41
.LBB15_11:
                                        ; implicit-def: $vgpr1
	s_branch .LBB15_21
.LBB15_12:
                                        ; implicit-def: $vgpr1
	s_branch .LBB15_18
.LBB15_13:
	s_mov_b32 s2, -1
                                        ; implicit-def: $vgpr1
.LBB15_14:
	s_delay_alu instid0(SALU_CYCLE_1)
	s_and_not1_b32 vcc_lo, exec_lo, s2
	s_cbranch_vccnz .LBB15_17
; %bb.15:
	v_mov_b32_e32 v1, v21
	s_cmp_eq_u32 s1, 16
	s_cbranch_scc0 .LBB15_17
; %bb.16:
	s_delay_alu instid0(VALU_DEP_1) | instskip(NEXT) | instid1(VALU_DEP_1)
	v_mov_b32_dpp v1, v21 quad_perm:[1,0,3,2] row_mask:0xf bank_mask:0xf
	v_cmp_gt_f32_e32 vcc_lo, v21, v1
	v_cndmask_b32_e32 v1, v1, v21, vcc_lo
	s_delay_alu instid0(VALU_DEP_1) | instskip(NEXT) | instid1(VALU_DEP_1)
	v_mov_b32_dpp v2, v1 quad_perm:[2,3,0,1] row_mask:0xf bank_mask:0xf
	v_cmp_gt_f32_e32 vcc_lo, v1, v2
	v_cndmask_b32_e32 v1, v2, v1, vcc_lo
	s_delay_alu instid0(VALU_DEP_1) | instskip(NEXT) | instid1(VALU_DEP_1)
	v_mov_b32_dpp v2, v1 row_half_mirror row_mask:0xf bank_mask:0xf
	v_cmp_gt_f32_e32 vcc_lo, v1, v2
	v_cndmask_b32_e32 v1, v2, v1, vcc_lo
	s_delay_alu instid0(VALU_DEP_1) | instskip(NEXT) | instid1(VALU_DEP_1)
	v_mov_b32_dpp v2, v1 row_mirror row_mask:0xf bank_mask:0xf
	v_cmp_gt_f32_e32 vcc_lo, v1, v2
	v_cndmask_b32_e32 v1, v2, v1, vcc_lo
.LBB15_17:
	s_cbranch_execnz .LBB15_20
.LBB15_18:
	v_mov_b32_e32 v1, v21
	s_cmp_eq_u32 s1, 8
	s_cbranch_scc0 .LBB15_20
; %bb.19:
	s_delay_alu instid0(VALU_DEP_1) | instskip(NEXT) | instid1(VALU_DEP_1)
	v_mov_b32_dpp v1, v21 quad_perm:[1,0,3,2] row_mask:0xf bank_mask:0xf
	v_cmp_gt_f32_e32 vcc_lo, v21, v1
	v_cndmask_b32_e32 v1, v1, v21, vcc_lo
	s_delay_alu instid0(VALU_DEP_1) | instskip(NEXT) | instid1(VALU_DEP_1)
	v_mov_b32_dpp v2, v1 quad_perm:[2,3,0,1] row_mask:0xf bank_mask:0xf
	v_cmp_gt_f32_e32 vcc_lo, v1, v2
	v_cndmask_b32_e32 v1, v2, v1, vcc_lo
	s_delay_alu instid0(VALU_DEP_1) | instskip(NEXT) | instid1(VALU_DEP_1)
	v_mov_b32_dpp v2, v1 row_half_mirror row_mask:0xf bank_mask:0xf
	v_cmp_gt_f32_e32 vcc_lo, v1, v2
	v_cndmask_b32_e32 v1, v2, v1, vcc_lo
.LBB15_20:
	s_cbranch_execnz .LBB15_28
.LBB15_21:
	s_cmp_lt_i32 s1, 4
	s_cbranch_scc1 .LBB15_24
; %bb.22:
	v_mov_b32_e32 v1, v21
	s_cmp_eq_u32 s1, 4
	s_cbranch_scc0 .LBB15_25
; %bb.23:
	s_delay_alu instid0(VALU_DEP_1) | instskip(NEXT) | instid1(VALU_DEP_1)
	v_mov_b32_dpp v1, v21 quad_perm:[1,0,3,2] row_mask:0xf bank_mask:0xf
	v_cmp_gt_f32_e32 vcc_lo, v21, v1
	v_cndmask_b32_e32 v1, v1, v21, vcc_lo
	s_delay_alu instid0(VALU_DEP_1) | instskip(NEXT) | instid1(VALU_DEP_1)
	v_mov_b32_dpp v2, v1 quad_perm:[2,3,0,1] row_mask:0xf bank_mask:0xf
	v_cmp_gt_f32_e32 vcc_lo, v1, v2
	v_cndmask_b32_e32 v1, v2, v1, vcc_lo
	s_cbranch_execz .LBB15_26
	s_branch .LBB15_28
.LBB15_24:
                                        ; implicit-def: $vgpr1
	s_branch .LBB15_26
.LBB15_25:
	s_cbranch_execnz .LBB15_28
.LBB15_26:
	v_mov_b32_e32 v1, v21
	s_cmp_lg_u32 s1, 2
	s_cbranch_scc1 .LBB15_28
; %bb.27:
	s_delay_alu instid0(VALU_DEP_1) | instskip(NEXT) | instid1(VALU_DEP_1)
	v_mov_b32_dpp v1, v21 quad_perm:[1,0,3,2] row_mask:0xf bank_mask:0xf
	v_cmp_gt_f32_e32 vcc_lo, v21, v1
	v_cndmask_b32_e32 v1, v1, v21, vcc_lo
.LBB15_28:
	v_cvt_f32_u32_e32 v2, s1
	s_sub_i32 s2, 0, s1
	s_mov_b32 s31, 0
	s_delay_alu instid0(VALU_DEP_1) | instskip(SKIP_2) | instid1(VALU_DEP_1)
	v_rcp_iflag_f32_e32 v2, v2
	s_waitcnt_depctr 0xfff
	v_mul_f32_e32 v2, 0x4f7ffffe, v2
	v_cvt_u32_f32_e32 v2, v2
	s_delay_alu instid0(VALU_DEP_1) | instskip(NEXT) | instid1(VALU_DEP_1)
	v_mul_lo_u32 v22, s2, v2
	v_mul_hi_u32 v22, v2, v22
	s_delay_alu instid0(VALU_DEP_1) | instskip(NEXT) | instid1(VALU_DEP_1)
	v_add_nc_u32_e32 v2, v2, v22
	v_mul_hi_u32 v2, v0, v2
	s_delay_alu instid0(VALU_DEP_1) | instskip(NEXT) | instid1(VALU_DEP_1)
	v_mul_lo_u32 v22, v2, s1
	v_sub_nc_u32_e32 v22, v0, v22
	s_delay_alu instid0(VALU_DEP_1) | instskip(SKIP_1) | instid1(VALU_DEP_2)
	v_subrev_nc_u32_e32 v24, s1, v22
	v_cmp_le_u32_e32 vcc_lo, s1, v22
	v_dual_cndmask_b32 v22, v22, v24 :: v_dual_add_nc_u32 v23, 1, v2
	s_delay_alu instid0(VALU_DEP_1) | instskip(NEXT) | instid1(VALU_DEP_2)
	v_cndmask_b32_e32 v2, v2, v23, vcc_lo
	v_cmp_le_u32_e32 vcc_lo, s1, v22
	s_delay_alu instid0(VALU_DEP_2) | instskip(NEXT) | instid1(VALU_DEP_1)
	v_dual_mul_f32 v22, 0x3b124925, v1 :: v_dual_add_nc_u32 v23, 1, v2
	v_cndmask_b32_e32 v23, v2, v23, vcc_lo
	v_cmp_gt_u32_e32 vcc_lo, s13, v9
	s_delay_alu instid0(VALU_DEP_2) | instskip(NEXT) | instid1(VALU_DEP_1)
	v_mul_lo_u32 v2, v23, s1
	v_sub_nc_u32_e32 v2, v0, v2
	s_delay_alu instid0(VALU_DEP_1) | instskip(NEXT) | instid1(VALU_DEP_1)
	v_cmp_eq_u32_e64 s1, 0, v2
                                        ; implicit-def: $vgpr1_vgpr2
	s_and_b32 s2, s1, vcc_lo
	s_mov_b32 s1, 0
	s_and_saveexec_b32 s3, s2
	s_delay_alu instid0(SALU_CYCLE_1)
	s_xor_b32 s14, exec_lo, s3
	s_cbranch_execz .LBB15_37
; %bb.29:
	s_bitcmp0_b32 s19, 0
	s_mov_b32 s6, 0
	s_cbranch_scc0 .LBB15_34
; %bb.30:
	s_ashr_i32 s1, s13, 31
	s_mul_hi_u32 s3, s13, s34
	s_mul_i32 s1, s1, s34
	s_mul_i32 s2, s13, s34
	s_add_i32 s3, s3, s1
	s_mov_b32 s19, s7
	s_delay_alu instid0(SALU_CYCLE_1) | instskip(NEXT) | instid1(SALU_CYCLE_1)
	s_or_b64 s[10:11], s[2:3], s[18:19]
	s_mov_b32 s7, s11
	s_delay_alu instid0(SALU_CYCLE_1)
	s_cmp_lg_u64 s[6:7], 0
	s_cbranch_scc0 .LBB15_45
; %bb.31:
	s_add_u32 s10, s18, s19
	s_mov_b32 s6, s19
	s_mov_b32 s7, s19
	s_addc_u32 s11, s19, s19
	s_delay_alu instid0(SALU_CYCLE_1) | instskip(NEXT) | instid1(SALU_CYCLE_1)
	s_xor_b64 s[10:11], s[10:11], s[6:7]
	v_cvt_f32_u32_e32 v1, s10
	v_cvt_f32_u32_e32 v2, s11
	s_sub_u32 s16, 0, s10
	s_subb_u32 s19, 0, s11
	s_delay_alu instid0(VALU_DEP_1) | instskip(NEXT) | instid1(VALU_DEP_1)
	v_fmamk_f32 v1, v2, 0x4f800000, v1
	v_rcp_f32_e32 v1, v1
	s_waitcnt_depctr 0xfff
	v_mul_f32_e32 v1, 0x5f7ffffc, v1
	s_delay_alu instid0(VALU_DEP_1) | instskip(NEXT) | instid1(VALU_DEP_1)
	v_mul_f32_e32 v2, 0x2f800000, v1
	v_trunc_f32_e32 v2, v2
	s_delay_alu instid0(VALU_DEP_1) | instskip(SKIP_1) | instid1(VALU_DEP_2)
	v_fmamk_f32 v1, v2, 0xcf800000, v1
	v_cvt_u32_f32_e32 v2, v2
	v_cvt_u32_f32_e32 v1, v1
	s_delay_alu instid0(VALU_DEP_2) | instskip(NEXT) | instid1(VALU_DEP_2)
	v_readfirstlane_b32 s1, v2
	v_readfirstlane_b32 s15, v1
	s_delay_alu instid0(VALU_DEP_2) | instskip(NEXT) | instid1(VALU_DEP_1)
	s_mul_i32 s20, s16, s1
	s_mul_hi_u32 s22, s16, s15
	s_mul_i32 s21, s19, s15
	s_add_i32 s20, s22, s20
	s_mul_i32 s23, s16, s15
	s_add_i32 s20, s20, s21
	s_mul_hi_u32 s22, s15, s23
	s_mul_hi_u32 s24, s1, s23
	s_mul_i32 s21, s1, s23
	s_mul_hi_u32 s23, s15, s20
	s_mul_i32 s15, s15, s20
	s_mul_hi_u32 s25, s1, s20
	s_add_u32 s15, s22, s15
	s_addc_u32 s22, 0, s23
	s_add_u32 s15, s15, s21
	s_mul_i32 s20, s1, s20
	s_addc_u32 s15, s22, s24
	s_addc_u32 s21, s25, 0
	s_add_u32 s15, s15, s20
	s_addc_u32 s20, 0, s21
	v_add_co_u32 v1, s15, v1, s15
	s_delay_alu instid0(VALU_DEP_1) | instskip(SKIP_1) | instid1(VALU_DEP_1)
	s_cmp_lg_u32 s15, 0
	s_addc_u32 s1, s1, s20
	v_readfirstlane_b32 s15, v1
	s_mul_i32 s20, s16, s1
	s_delay_alu instid0(VALU_DEP_1)
	s_mul_hi_u32 s21, s16, s15
	s_mul_i32 s19, s19, s15
	s_add_i32 s20, s21, s20
	s_mul_i32 s16, s16, s15
	s_add_i32 s20, s20, s19
	s_mul_hi_u32 s21, s1, s16
	s_mul_i32 s22, s1, s16
	s_mul_hi_u32 s16, s15, s16
	s_mul_hi_u32 s23, s15, s20
	s_mul_i32 s15, s15, s20
	s_mul_hi_u32 s19, s1, s20
	s_add_u32 s15, s16, s15
	s_addc_u32 s16, 0, s23
	s_add_u32 s15, s15, s22
	s_mul_i32 s20, s1, s20
	s_addc_u32 s15, s16, s21
	s_addc_u32 s16, s19, 0
	s_add_u32 s15, s15, s20
	s_addc_u32 s16, 0, s16
	v_add_co_u32 v1, s15, v1, s15
	s_delay_alu instid0(VALU_DEP_1) | instskip(SKIP_2) | instid1(SALU_CYCLE_1)
	s_cmp_lg_u32 s15, 0
	s_addc_u32 s1, s1, s16
	s_ashr_i32 s20, s3, 31
	s_add_u32 s22, s2, s20
	s_addc_u32 s23, s3, s20
	v_readfirstlane_b32 s3, v1
	s_mov_b32 s21, s20
	s_delay_alu instid0(SALU_CYCLE_1) | instskip(NEXT) | instid1(SALU_CYCLE_1)
	s_xor_b64 s[22:23], s[22:23], s[20:21]
	s_mul_i32 s16, s22, s1
	s_delay_alu instid0(VALU_DEP_1)
	s_mul_hi_u32 s19, s22, s3
	s_mul_hi_u32 s15, s22, s1
	;; [unrolled: 1-line block ×3, first 2 shown]
	s_mul_i32 s3, s23, s3
	s_add_u32 s16, s19, s16
	s_addc_u32 s15, 0, s15
	s_mul_hi_u32 s24, s23, s1
	s_add_u32 s3, s16, s3
	s_mul_i32 s1, s23, s1
	s_addc_u32 s3, s15, s25
	s_addc_u32 s15, s24, 0
	s_add_u32 s3, s3, s1
	s_addc_u32 s15, 0, s15
	s_mul_hi_u32 s1, s10, s3
	s_mul_i32 s19, s10, s15
	s_mul_i32 s24, s10, s3
	s_add_i32 s1, s1, s19
	v_sub_co_u32 v1, s19, s22, s24
	s_mul_i32 s16, s11, s3
	s_delay_alu instid0(SALU_CYCLE_1) | instskip(NEXT) | instid1(VALU_DEP_1)
	s_add_i32 s1, s1, s16
	v_sub_co_u32 v2, s22, v1, s10
	s_sub_i32 s16, s23, s1
	s_cmp_lg_u32 s19, 0
	s_subb_u32 s16, s16, s11
	s_cmp_lg_u32 s22, 0
	v_cmp_le_u32_e32 vcc_lo, s10, v2
	s_subb_u32 s16, s16, 0
	s_delay_alu instid0(SALU_CYCLE_1)
	s_cmp_ge_u32 s16, s11
	v_cndmask_b32_e64 v2, 0, -1, vcc_lo
	s_cselect_b32 s22, -1, 0
	s_cmp_eq_u32 s16, s11
	s_cselect_b32 vcc_lo, -1, 0
	s_add_u32 s16, s3, 1
	v_cndmask_b32_e32 v2, s22, v2, vcc_lo
	s_addc_u32 s22, s15, 0
	s_add_u32 s24, s3, 2
	s_addc_u32 s25, s15, 0
	s_cmp_lg_u32 s19, 0
	v_cmp_le_u32_e32 vcc_lo, s10, v1
	s_subb_u32 s1, s23, s1
	v_mov_b32_e32 v24, s24
	s_cmp_ge_u32 s1, s11
	v_cndmask_b32_e64 v1, 0, -1, vcc_lo
	s_cselect_b32 s10, -1, 0
	s_cmp_eq_u32 s1, s11
	v_cmp_ne_u32_e32 vcc_lo, 0, v2
	v_mov_b32_e32 v2, s25
	s_cselect_b32 s1, -1, 0
	s_xor_b64 s[6:7], s[20:21], s[6:7]
	v_cndmask_b32_e64 v1, s10, v1, s1
	v_cndmask_b32_e32 v24, s16, v24, vcc_lo
	v_cndmask_b32_e32 v2, s22, v2, vcc_lo
	s_delay_alu instid0(VALU_DEP_3) | instskip(NEXT) | instid1(VALU_DEP_2)
	v_cmp_ne_u32_e32 vcc_lo, 0, v1
	v_cndmask_b32_e32 v1, s15, v2, vcc_lo
	s_delay_alu instid0(VALU_DEP_4) | instskip(NEXT) | instid1(VALU_DEP_2)
	v_cndmask_b32_e32 v2, s3, v24, vcc_lo
	v_xor_b32_e32 v24, s7, v1
	s_delay_alu instid0(VALU_DEP_2) | instskip(NEXT) | instid1(VALU_DEP_1)
	v_xor_b32_e32 v2, s6, v2
	v_sub_co_u32 v1, vcc_lo, v2, s6
	s_delay_alu instid0(VALU_DEP_3)
	v_subrev_co_ci_u32_e32 v2, vcc_lo, s7, v24, vcc_lo
	s_cbranch_execnz .LBB15_33
.LBB15_32:
	v_cvt_f32_u32_e32 v1, s18
	s_sub_i32 s3, 0, s18
	s_delay_alu instid0(VALU_DEP_1) | instskip(SKIP_2) | instid1(VALU_DEP_1)
	v_rcp_iflag_f32_e32 v1, v1
	s_waitcnt_depctr 0xfff
	v_mul_f32_e32 v1, 0x4f7ffffe, v1
	v_cvt_u32_f32_e32 v1, v1
	s_delay_alu instid0(VALU_DEP_1) | instskip(NEXT) | instid1(VALU_DEP_1)
	v_readfirstlane_b32 s1, v1
	s_mul_i32 s3, s3, s1
	s_delay_alu instid0(SALU_CYCLE_1) | instskip(NEXT) | instid1(SALU_CYCLE_1)
	s_mul_hi_u32 s3, s1, s3
	s_add_i32 s1, s1, s3
	s_delay_alu instid0(SALU_CYCLE_1) | instskip(NEXT) | instid1(SALU_CYCLE_1)
	s_mul_hi_u32 s1, s2, s1
	s_mul_i32 s3, s1, s18
	s_delay_alu instid0(SALU_CYCLE_1)
	s_sub_i32 s2, s2, s3
	s_add_i32 s3, s1, 1
	s_sub_i32 s6, s2, s18
	s_cmp_ge_u32 s2, s18
	s_cselect_b32 s1, s3, s1
	s_cselect_b32 s2, s6, s2
	s_add_i32 s6, s1, 1
	s_cmp_ge_u32 s2, s18
	s_mov_b32 s3, 0
	s_cselect_b32 s2, s6, s1
	s_delay_alu instid0(SALU_CYCLE_1)
	v_dual_mov_b32 v1, s2 :: v_dual_mov_b32 v2, s3
.LBB15_33:
	s_delay_alu instid0(VALU_DEP_1) | instskip(NEXT) | instid1(VALU_DEP_2)
	v_add_co_u32 v1, vcc_lo, v1, v23
	v_add_co_ci_u32_e32 v2, vcc_lo, 0, v2, vcc_lo
	s_branch .LBB15_36
.LBB15_34:
                                        ; implicit-def: $vgpr1_vgpr2
	s_cbranch_execz .LBB15_36
; %bb.35:
	v_mul_lo_u32 v1, v23, s12
	s_delay_alu instid0(VALU_DEP_1) | instskip(SKIP_1) | instid1(VALU_DEP_2)
	v_ashrrev_i32_e32 v2, 31, v1
	v_add_co_u32 v1, vcc_lo, v1, s34
	v_add_co_ci_u32_e32 v2, vcc_lo, 0, v2, vcc_lo
.LBB15_36:
	s_mov_b32 s1, exec_lo
.LBB15_37:
	s_or_b32 exec_lo, exec_lo, s14
	s_delay_alu instid0(SALU_CYCLE_1)
	s_and_b32 vcc_lo, exec_lo, s31
	s_cbranch_vccz .LBB15_41
.LBB15_38:
	v_mov_b32_dpp v1, v21 quad_perm:[1,0,3,2] row_mask:0xf bank_mask:0xf
	s_delay_alu instid0(VALU_DEP_1) | instskip(SKIP_1) | instid1(VALU_DEP_1)
	v_cmp_gt_f32_e32 vcc_lo, v21, v1
	v_cndmask_b32_e32 v1, v1, v21, vcc_lo
	v_mov_b32_dpp v2, v1 quad_perm:[2,3,0,1] row_mask:0xf bank_mask:0xf
	s_delay_alu instid0(VALU_DEP_1) | instskip(SKIP_1) | instid1(VALU_DEP_1)
	v_cmp_gt_f32_e32 vcc_lo, v1, v2
	v_cndmask_b32_e32 v1, v2, v1, vcc_lo
	v_mov_b32_dpp v2, v1 row_xmask:7 row_mask:0xf bank_mask:0xf
	s_delay_alu instid0(VALU_DEP_1) | instskip(SKIP_1) | instid1(VALU_DEP_1)
	v_cmp_gt_f32_e32 vcc_lo, v1, v2
	v_cndmask_b32_e32 v1, v2, v1, vcc_lo
	v_mov_b32_dpp v2, v1 row_xmask:15 row_mask:0xf bank_mask:0xf
	s_delay_alu instid0(VALU_DEP_1)
	v_cmp_gt_f32_e32 vcc_lo, v1, v2
	s_and_saveexec_b32 s1, s0
	s_cbranch_execz .LBB15_40
; %bb.39:
	v_cndmask_b32_e32 v1, v2, v1, vcc_lo
	v_lshrrev_b32_e32 v2, 3, v0
	s_mov_b32 s0, 0x76543210
	s_delay_alu instid0(VALU_DEP_1) | instskip(NEXT) | instid1(VALU_DEP_3)
	v_and_b32_e32 v2, 0x7c, v2
	v_permlanex16_b32 v21, v1, s0, 0xfedcba98 op_sel:[1,1]
	s_delay_alu instid0(VALU_DEP_1)
	v_cmp_gt_f32_e32 vcc_lo, v1, v21
	v_cndmask_b32_e32 v1, v21, v1, vcc_lo
	ds_store_b32 v2, v1
.LBB15_40:
	s_or_b32 exec_lo, exec_lo, s1
	s_waitcnt lgkmcnt(0)
	s_barrier
	buffer_gl0_inv
	ds_load_b32 v1, v10
	v_cmp_eq_u32_e64 s1, 0, v0
	s_waitcnt lgkmcnt(0)
	v_mov_b32_dpp v2, v1 quad_perm:[1,0,3,2] row_mask:0xf bank_mask:0xf
	s_delay_alu instid0(VALU_DEP_1) | instskip(SKIP_1) | instid1(VALU_DEP_1)
	v_cmp_gt_f32_e32 vcc_lo, v1, v2
	v_cndmask_b32_e32 v1, v2, v1, vcc_lo
	v_mov_b32_dpp v2, v1 quad_perm:[2,3,0,1] row_mask:0xf bank_mask:0xf
	s_delay_alu instid0(VALU_DEP_1) | instskip(SKIP_1) | instid1(VALU_DEP_1)
	v_cmp_gt_f32_e32 vcc_lo, v1, v2
	v_cndmask_b32_e32 v1, v2, v1, vcc_lo
	v_mov_b32_dpp v2, v1 row_xmask:7 row_mask:0xf bank_mask:0xf
	s_delay_alu instid0(VALU_DEP_1) | instskip(SKIP_1) | instid1(VALU_DEP_1)
	v_cmp_gt_f32_e32 vcc_lo, v1, v2
	v_cndmask_b32_e32 v1, v2, v1, vcc_lo
	v_dual_mul_f32 v22, 0x3b124925, v1 :: v_dual_mov_b32 v1, s34
	v_mov_b32_e32 v2, s35
.LBB15_41:
	s_and_saveexec_b32 s0, s1
	s_cbranch_execz .LBB15_43
; %bb.42:
	s_delay_alu instid0(VALU_DEP_1) | instskip(NEXT) | instid1(VALU_DEP_1)
	v_lshlrev_b64 v[0:1], 2, v[1:2]
	v_add_co_u32 v0, vcc_lo, s8, v0
	s_delay_alu instid0(VALU_DEP_2)
	v_add_co_ci_u32_e32 v1, vcc_lo, s9, v1, vcc_lo
	global_store_b32 v[0:1], v22, off
.LBB15_43:
	s_or_b32 exec_lo, exec_lo, s0
	;;#ASMSTART
	v_rcp_f32 v2, v22
	;;#ASMEND
	v_dual_mul_f32 v0, v19, v2 :: v_dual_mov_b32 v19, 0x43e00000
	v_dual_mul_f32 v1, v20, v2 :: v_dual_mov_b32 v10, 0xc3e00000
	v_mul_f32_e32 v17, v17, v2
	v_mul_f32_e32 v18, v18, v2
	;;#ASMSTART
	v_med3_f32 v0, v0, v10, v19
v_med3_f32 v1, v1, v10, v19
v_cvt_pk_fp8_f32 v20, v0, v1
	;;#ASMEND
	s_add_i32 s0, s13, 3
	;;#ASMSTART
	v_med3_f32 v17, v17, v10, v19
v_med3_f32 v18, v18, v10, v19
v_cvt_pk_fp8_f32 v0, v17, v18
	;;#ASMEND
	v_perm_b32 v1, v0, v20, 0x5040100
	s_ashr_i32 s2, s0, 31
	v_mul_f32_e32 v15, v15, v2
	s_lshr_b32 s2, s2, 30
	v_mul_f32_e32 v16, v16, v2
	s_ashr_i32 s1, s17, 31
	v_mul_f32_e32 v13, v13, v2
	v_mul_f32_e32 v14, v14, v2
	v_perm_b32 v0, v1, v0, 0x1060504
	;;#ASMSTART
	v_med3_f32 v15, v15, v10, v19
v_med3_f32 v16, v16, v10, v19
v_cvt_pk_fp8_f32 v1, v15, v16
	;;#ASMEND
	v_mul_f32_e32 v11, v11, v2
	v_mul_f32_e32 v12, v12, v2
	s_add_i32 s0, s0, s2
	;;#ASMSTART
	v_med3_f32 v13, v13, v10, v19
v_med3_f32 v14, v14, v10, v19
v_cvt_pk_fp8_f32 v15, v13, v14
	;;#ASMEND
	v_mul_f32_e32 v7, v7, v2
	v_mul_f32_e32 v8, v8, v2
	;; [unrolled: 1-line block ×6, first 2 shown]
	;;#ASMSTART
	v_med3_f32 v11, v11, v10, v19
v_med3_f32 v12, v12, v10, v19
v_cvt_pk_fp8_f32 v2, v11, v12
	;;#ASMEND
	s_mul_hi_u32 s3, s17, s34
	s_mul_i32 s1, s1, s34
	;;#ASMSTART
	v_med3_f32 v7, v7, v10, v19
v_med3_f32 v8, v8, v10, v19
v_cvt_pk_fp8_f32 v11, v7, v8
	;;#ASMEND
	s_and_b32 s2, s0, -4
	s_mul_i32 s0, s17, s34
	;;#ASMSTART
	v_med3_f32 v5, v5, v10, v19
v_med3_f32 v6, v6, v10, v19
v_cvt_pk_fp8_f32 v7, v5, v6
	;;#ASMEND
	s_add_i32 s3, s3, s1
	;;#ASMSTART
	v_med3_f32 v3, v3, v10, v19
v_med3_f32 v4, v4, v10, v19
v_cvt_pk_fp8_f32 v5, v3, v4
	;;#ASMEND
	s_add_u32 s0, s4, s0
	v_perm_b32 v1, v1, v15, 0x1000504
	v_perm_b32 v2, v2, v11, 0x1000504
	;; [unrolled: 1-line block ×3, first 2 shown]
	s_addc_u32 s1, s5, s3
	s_mov_b32 s3, -1
	s_and_b32 s1, s1, 0xffff
	buffer_store_b128 v[0:3], v9, s[0:3], 0 offen
	;;#ASMSTART
	s_nop 0
	;;#ASMEND
.LBB15_44:
	s_nop 0
	s_sendmsg sendmsg(MSG_DEALLOC_VGPRS)
	s_endpgm
.LBB15_45:
                                        ; implicit-def: $vgpr1_vgpr2
	s_branch .LBB15_32
	.section	.rodata,"a",@progbits
	.p2align	6, 0x0
	.amdhsa_kernel _ZN5aiter24add_rmsnorm_quant_kernelIDF16_DB8_Li256ELi16ELb1ELb1ELb0ELi1EEEvPT0_PT_PfS5_S5_S5_diiiiiiib
		.amdhsa_group_segment_fixed_size 64
		.amdhsa_private_segment_fixed_size 0
		.amdhsa_kernarg_size 88
		.amdhsa_user_sgpr_count 15
		.amdhsa_user_sgpr_dispatch_ptr 0
		.amdhsa_user_sgpr_queue_ptr 0
		.amdhsa_user_sgpr_kernarg_segment_ptr 1
		.amdhsa_user_sgpr_dispatch_id 0
		.amdhsa_user_sgpr_private_segment_size 0
		.amdhsa_wavefront_size32 1
		.amdhsa_uses_dynamic_stack 0
		.amdhsa_enable_private_segment 0
		.amdhsa_system_sgpr_workgroup_id_x 1
		.amdhsa_system_sgpr_workgroup_id_y 0
		.amdhsa_system_sgpr_workgroup_id_z 0
		.amdhsa_system_sgpr_workgroup_info 0
		.amdhsa_system_vgpr_workitem_id 0
		.amdhsa_next_free_vgpr 46
		.amdhsa_next_free_sgpr 36
		.amdhsa_reserve_vcc 1
		.amdhsa_float_round_mode_32 0
		.amdhsa_float_round_mode_16_64 0
		.amdhsa_float_denorm_mode_32 3
		.amdhsa_float_denorm_mode_16_64 3
		.amdhsa_dx10_clamp 1
		.amdhsa_ieee_mode 1
		.amdhsa_fp16_overflow 0
		.amdhsa_workgroup_processor_mode 1
		.amdhsa_memory_ordered 1
		.amdhsa_forward_progress 0
		.amdhsa_shared_vgpr_count 0
		.amdhsa_exception_fp_ieee_invalid_op 0
		.amdhsa_exception_fp_denorm_src 0
		.amdhsa_exception_fp_ieee_div_zero 0
		.amdhsa_exception_fp_ieee_overflow 0
		.amdhsa_exception_fp_ieee_underflow 0
		.amdhsa_exception_fp_ieee_inexact 0
		.amdhsa_exception_int_div_zero 0
	.end_amdhsa_kernel
	.section	.text._ZN5aiter24add_rmsnorm_quant_kernelIDF16_DB8_Li256ELi16ELb1ELb1ELb0ELi1EEEvPT0_PT_PfS5_S5_S5_diiiiiiib,"axG",@progbits,_ZN5aiter24add_rmsnorm_quant_kernelIDF16_DB8_Li256ELi16ELb1ELb1ELb0ELi1EEEvPT0_PT_PfS5_S5_S5_diiiiiiib,comdat
.Lfunc_end15:
	.size	_ZN5aiter24add_rmsnorm_quant_kernelIDF16_DB8_Li256ELi16ELb1ELb1ELb0ELi1EEEvPT0_PT_PfS5_S5_S5_diiiiiiib, .Lfunc_end15-_ZN5aiter24add_rmsnorm_quant_kernelIDF16_DB8_Li256ELi16ELb1ELb1ELb0ELi1EEEvPT0_PT_PfS5_S5_S5_diiiiiiib
                                        ; -- End function
	.section	.AMDGPU.csdata,"",@progbits
; Kernel info:
; codeLenInByte = 4440
; NumSgprs: 38
; NumVgprs: 46
; ScratchSize: 0
; MemoryBound: 0
; FloatMode: 240
; IeeeMode: 1
; LDSByteSize: 64 bytes/workgroup (compile time only)
; SGPRBlocks: 4
; VGPRBlocks: 5
; NumSGPRsForWavesPerEU: 38
; NumVGPRsForWavesPerEU: 46
; Occupancy: 16
; WaveLimiterHint : 0
; COMPUTE_PGM_RSRC2:SCRATCH_EN: 0
; COMPUTE_PGM_RSRC2:USER_SGPR: 15
; COMPUTE_PGM_RSRC2:TRAP_HANDLER: 0
; COMPUTE_PGM_RSRC2:TGID_X_EN: 1
; COMPUTE_PGM_RSRC2:TGID_Y_EN: 0
; COMPUTE_PGM_RSRC2:TGID_Z_EN: 0
; COMPUTE_PGM_RSRC2:TIDIG_COMP_CNT: 0
	.section	.text._ZN5aiter24add_rmsnorm_quant_kernelItDB8_Li256ELi16ELb1ELb1ELb0ELi1EEEvPT0_PT_PfS5_S5_S5_diiiiiiib,"axG",@progbits,_ZN5aiter24add_rmsnorm_quant_kernelItDB8_Li256ELi16ELb1ELb1ELb0ELi1EEEvPT0_PT_PfS5_S5_S5_diiiiiiib,comdat
	.protected	_ZN5aiter24add_rmsnorm_quant_kernelItDB8_Li256ELi16ELb1ELb1ELb0ELi1EEEvPT0_PT_PfS5_S5_S5_diiiiiiib ; -- Begin function _ZN5aiter24add_rmsnorm_quant_kernelItDB8_Li256ELi16ELb1ELb1ELb0ELi1EEEvPT0_PT_PfS5_S5_S5_diiiiiiib
	.globl	_ZN5aiter24add_rmsnorm_quant_kernelItDB8_Li256ELi16ELb1ELb1ELb0ELi1EEEvPT0_PT_PfS5_S5_S5_diiiiiiib
	.p2align	8
	.type	_ZN5aiter24add_rmsnorm_quant_kernelItDB8_Li256ELi16ELb1ELb1ELb0ELi1EEEvPT0_PT_PfS5_S5_S5_diiiiiiib,@function
_ZN5aiter24add_rmsnorm_quant_kernelItDB8_Li256ELi16ELb1ELb1ELb0ELi1EEEvPT0_PT_PfS5_S5_S5_diiiiiiib: ; @_ZN5aiter24add_rmsnorm_quant_kernelItDB8_Li256ELi16ELb1ELb1ELb0ELi1EEEvPT0_PT_PfS5_S5_S5_diiiiiiib
; %bb.0:
	s_mov_b32 s34, s15
	s_load_b256 s[12:19], s[0:1], 0x38
	s_mov_b32 s35, 0
	s_waitcnt lgkmcnt(0)
	s_ashr_i32 s3, s12, 31
	s_mov_b32 s2, s12
	s_delay_alu instid0(SALU_CYCLE_1) | instskip(NEXT) | instid1(VALU_DEP_1)
	v_cmp_ge_i64_e64 s2, s[34:35], s[2:3]
	s_and_b32 vcc_lo, exec_lo, s2
	s_cbranch_vccnz .LBB16_44
; %bb.1:
	s_load_b256 s[4:11], s[0:1], 0x0
	s_ashr_i32 s2, s14, 31
	s_mul_hi_u32 s3, s14, s34
	s_mul_i32 s20, s2, s34
	s_mul_i32 s2, s14, s34
	s_add_i32 s3, s3, s20
	s_load_b256 s[20:27], s[0:1], 0x20
	s_lshl_b64 s[0:1], s[2:3], 1
	v_lshlrev_b32_e32 v35, 5, v0
	s_mov_b32 s31, -1
	s_waitcnt lgkmcnt(0)
	s_add_u32 s28, s10, s0
	s_addc_u32 s0, s11, s1
	s_add_i32 s1, s13, 1
	s_and_b32 s29, s0, 0xffff
	s_lshr_b32 s2, s1, 31
	s_ashr_i32 s0, s15, 31
	s_add_i32 s1, s1, s2
	s_mul_i32 s0, s0, s34
	s_lshl_b32 s1, s1, 1
	s_mul_i32 s2, s15, s34
	s_and_b32 s30, s1, -4
	s_mul_hi_u32 s1, s15, s34
	s_clause 0x1
	buffer_load_b128 v[9:12], v35, s[28:31], 0 offen
	buffer_load_b128 v[13:16], v35, s[28:31], 16 offen
	s_add_i32 s3, s1, s0
	s_and_b32 s1, s23, 0xffff
	s_lshl_b64 s[2:3], s[2:3], 1
	s_delay_alu instid0(SALU_CYCLE_1)
	s_add_u32 s28, s20, s2
	s_addc_u32 s0, s21, s3
	s_mov_b32 s3, s31
	s_and_b32 s29, s0, 0xffff
	s_clause 0x1
	buffer_load_b128 v[17:20], v35, s[28:31], 0 offen
	buffer_load_b128 v[21:24], v35, s[28:31], 16 offen
	s_mov_b32 s0, s22
	s_mov_b32 s2, s30
	s_waitcnt vmcnt(3)
	v_lshrrev_b32_e32 v25, 16, v9
	v_lshrrev_b32_e32 v26, 16, v10
	s_waitcnt vmcnt(2)
	v_lshrrev_b32_e32 v33, 16, v14
	v_and_b32_e32 v34, 0xffff, v14
	v_lshrrev_b32_e32 v36, 16, v15
	v_and_b32_e32 v37, 0xffff, v15
	v_lshrrev_b32_e32 v27, 16, v11
	v_lshrrev_b32_e32 v29, 16, v12
	v_and_b32_e32 v30, 0xffff, v12
	v_lshrrev_b32_e32 v31, 16, v13
	s_waitcnt vmcnt(1)
	v_and_b32_e32 v14, 0xffff, v18
	v_lshrrev_b32_e32 v15, 16, v18
	v_and_b32_e32 v32, 0xffff, v13
	v_lshrrev_b32_e32 v38, 16, v16
	v_cvt_f32_u32_e32 v12, v25
	v_and_b32_e32 v13, 0xffff, v17
	v_and_b32_e32 v25, 0xffff, v16
	v_cvt_f32_u32_e32 v14, v14
	v_and_b32_e32 v28, 0xffff, v11
	v_lshrrev_b32_e32 v11, 16, v17
	v_cvt_f32_u32_e32 v16, v26
	v_cvt_f32_u32_e32 v15, v15
	v_and_b32_e32 v9, 0xffff, v9
	v_cvt_f32_u32_e32 v13, v13
	v_cvt_f32_u32_e32 v11, v11
	v_and_b32_e32 v10, 0xffff, v10
	v_and_b32_e32 v17, 0xffff, v19
	v_cvt_f32_u32_e32 v9, v9
	v_lshrrev_b32_e32 v18, 16, v19
	v_add_f32_e32 v11, v12, v11
	v_cvt_f32_u32_e32 v10, v10
	v_cvt_f32_u32_e32 v17, v17
	v_add_f32_e32 v12, v9, v13
	s_clause 0x1
	buffer_load_b128 v[5:8], v35, s[0:3], 0 offen
	buffer_load_b128 v[1:4], v35, s[0:3], 16 offen
	v_mul_f32_e32 v9, v11, v11
	v_add_f32_e32 v13, v10, v14
	v_cvt_f32_u32_e32 v10, v28
	v_add_f32_e32 v14, v16, v15
	v_cvt_f32_u32_e32 v16, v27
	v_fmac_f32_e32 v9, v12, v12
	v_cvt_f32_u32_e32 v18, v18
	s_waitcnt vmcnt(2)
	v_and_b32_e32 v28, 0xffff, v23
	v_lshrrev_b32_e32 v23, 16, v23
	v_add_f32_e32 v15, v10, v17
	v_fmac_f32_e32 v9, v13, v13
	v_lshrrev_b32_e32 v17, 16, v20
	v_add_f32_e32 v16, v16, v18
	v_cvt_f32_u32_e32 v18, v29
	v_cvt_f32_u32_e32 v29, v23
	v_and_b32_e32 v19, 0xffff, v20
	v_dual_fmac_f32 v9, v14, v14 :: v_dual_and_b32 v20, 0xffff, v21
	v_cvt_f32_u32_e32 v10, v30
	v_cvt_f32_u32_e32 v26, v17
	s_delay_alu instid0(VALU_DEP_4) | instskip(NEXT) | instid1(VALU_DEP_4)
	v_cvt_f32_u32_e32 v19, v19
	v_fmac_f32_e32 v9, v15, v15
	v_cvt_f32_u32_e32 v20, v20
	s_ashr_i32 s0, s16, 31
	v_add_f32_e32 v18, v18, v26
	v_dual_add_f32 v17, v10, v19 :: v_dual_and_b32 v26, 0xffff, v22
	v_cvt_f32_u32_e32 v10, v32
	v_lshrrev_b32_e32 v19, 16, v21
	v_cvt_f32_u32_e32 v21, v31
	v_lshrrev_b32_e32 v22, 16, v22
	v_cvt_f32_u32_e32 v26, v26
	v_fmac_f32_e32 v9, v16, v16
	v_cvt_f32_u32_e32 v27, v19
	v_add_f32_e32 v19, v10, v20
	v_cvt_f32_u32_e32 v10, v34
	v_cvt_f32_u32_e32 v22, v22
	s_mul_hi_u32 s1, s16, s34
	v_add_f32_e32 v20, v21, v27
	v_cvt_f32_u32_e32 v27, v33
	v_add_f32_e32 v21, v10, v26
	v_cvt_f32_u32_e32 v10, v37
	v_cvt_f32_u32_e32 v26, v28
	v_and_b32_e32 v28, 0xffff, v24
	v_add_f32_e32 v22, v27, v22
	v_cvt_f32_u32_e32 v27, v36
	s_delay_alu instid0(VALU_DEP_4)
	v_dual_add_f32 v23, v10, v26 :: v_dual_and_b32 v36, 31, v0
	v_cvt_f32_u32_e32 v10, v25
	v_lshrrev_b32_e32 v25, 16, v24
	v_cvt_f32_u32_e32 v26, v28
	v_add_f32_e32 v24, v27, v29
	v_cvt_f32_u32_e32 v27, v38
	s_mul_i32 s2, s0, s34
	v_cvt_f32_u32_e32 v28, v25
	v_fmac_f32_e32 v9, v17, v17
	v_add_f32_e32 v25, v10, v26
	s_mul_i32 s0, s16, s34
	s_add_i32 s1, s1, s2
	s_delay_alu instid0(VALU_DEP_2)
	v_dual_add_f32 v26, v27, v28 :: v_dual_fmac_f32 v9, v18, v18
	s_lshl_b64 s[0:1], s[0:1], 1
	v_perm_b32 v30, v18, v17, 0x7060302
	s_add_u32 s28, s6, s0
	s_addc_u32 s0, s7, s1
	v_fmac_f32_e32 v9, v19, v19
	s_and_b32 s29, s0, 0xffff
	v_perm_b32 v29, v16, v15, 0x7060302
	v_perm_b32 v28, v14, v13, 0x7060302
	;; [unrolled: 1-line block ×3, first 2 shown]
	v_fmac_f32_e32 v9, v20, v20
	v_perm_b32 v34, v26, v25, 0x7060302
	v_perm_b32 v33, v24, v23, 0x7060302
	;; [unrolled: 1-line block ×4, first 2 shown]
	v_fmac_f32_e32 v9, v21, v21
	v_cmp_eq_u32_e64 s0, 31, v36
	buffer_store_b128 v[27:30], v35, s[28:31], 0 offen
	;;#ASMSTART
	s_nop 0
	;;#ASMEND
	buffer_store_b128 v[31:34], v35, s[28:31], 16 offen
	v_fmac_f32_e32 v9, v22, v22
	;;#ASMSTART
	s_nop 0
	;;#ASMEND
	s_delay_alu instid0(VALU_DEP_1) | instskip(NEXT) | instid1(VALU_DEP_1)
	v_fmac_f32_e32 v9, v23, v23
	v_fmac_f32_e32 v9, v24, v24
	s_delay_alu instid0(VALU_DEP_1) | instskip(NEXT) | instid1(VALU_DEP_1)
	v_fmac_f32_e32 v9, v25, v25
	v_fmac_f32_e32 v9, v26, v26
	s_delay_alu instid0(VALU_DEP_1) | instskip(NEXT) | instid1(VALU_DEP_1)
	v_mov_b32_dpp v10, v9 quad_perm:[1,0,3,2] row_mask:0xf bank_mask:0xf
	v_add_f32_e32 v9, v9, v10
	s_delay_alu instid0(VALU_DEP_1) | instskip(NEXT) | instid1(VALU_DEP_1)
	v_mov_b32_dpp v10, v9 quad_perm:[2,3,0,1] row_mask:0xf bank_mask:0xf
	v_add_f32_e32 v9, v9, v10
	s_delay_alu instid0(VALU_DEP_1) | instskip(NEXT) | instid1(VALU_DEP_1)
	v_mov_b32_dpp v10, v9 row_xmask:7 row_mask:0xf bank_mask:0xf
	v_add_f32_e32 v9, v9, v10
	s_delay_alu instid0(VALU_DEP_1)
	v_mov_b32_dpp v10, v9 row_xmask:15 row_mask:0xf bank_mask:0xf
	s_and_saveexec_b32 s1, s0
	s_cbranch_execz .LBB16_3
; %bb.2:
	s_delay_alu instid0(VALU_DEP_1) | instskip(SKIP_2) | instid1(VALU_DEP_2)
	v_add_f32_e32 v9, v9, v10
	s_mov_b32 s2, 0x76543210
	v_lshrrev_b32_e32 v10, 3, v0
	v_permlanex16_b32 v27, v9, s2, 0xfedcba98 op_sel:[1,1]
	s_delay_alu instid0(VALU_DEP_1)
	v_dual_add_f32 v9, v9, v27 :: v_dual_and_b32 v10, 0x7c, v10
	ds_store_b32 v10, v9 offset:32
.LBB16_3:
	s_or_b32 exec_lo, exec_lo, s1
	v_and_b32_e32 v9, 7, v0
	s_waitcnt vmcnt(0) lgkmcnt(0)
	s_waitcnt_vscnt null, 0x0
	s_barrier
	buffer_gl0_inv
	v_cvt_f32_i32_e32 v28, s13
	v_lshlrev_b32_e32 v10, 2, v9
	s_cmp_lg_u32 s18, 0
	v_mov_b32_e32 v36, 0x2edbe6ff
	ds_load_b32 v9, v10 offset:32
	s_waitcnt lgkmcnt(0)
	v_mov_b32_dpp v27, v9 quad_perm:[1,0,3,2] row_mask:0xf bank_mask:0xf
	s_delay_alu instid0(VALU_DEP_1) | instskip(NEXT) | instid1(VALU_DEP_1)
	v_add_f32_e32 v9, v9, v27
	v_mov_b32_dpp v27, v9 quad_perm:[2,3,0,1] row_mask:0xf bank_mask:0xf
	s_delay_alu instid0(VALU_DEP_1) | instskip(NEXT) | instid1(VALU_DEP_1)
	v_add_f32_e32 v9, v9, v27
	v_mov_b32_dpp v27, v9 row_xmask:7 row_mask:0xf bank_mask:0xf
	s_delay_alu instid0(VALU_DEP_1) | instskip(NEXT) | instid1(VALU_DEP_1)
	v_add_f32_e32 v9, v9, v27
	v_div_scale_f32 v27, null, v28, v28, v9
	v_div_scale_f32 v31, vcc_lo, v9, v28, v9
	s_delay_alu instid0(VALU_DEP_2) | instskip(SKIP_2) | instid1(VALU_DEP_1)
	v_rcp_f32_e32 v29, v27
	s_waitcnt_depctr 0xfff
	v_fma_f32 v30, -v27, v29, 1.0
	v_fmac_f32_e32 v29, v30, v29
	s_delay_alu instid0(VALU_DEP_1) | instskip(NEXT) | instid1(VALU_DEP_1)
	v_mul_f32_e32 v30, v31, v29
	v_fma_f32 v32, -v27, v30, v31
	s_delay_alu instid0(VALU_DEP_1) | instskip(NEXT) | instid1(VALU_DEP_1)
	v_fmac_f32_e32 v30, v32, v29
	v_fma_f32 v27, -v27, v30, v31
	s_delay_alu instid0(VALU_DEP_1) | instskip(SKIP_2) | instid1(VALU_DEP_3)
	v_div_fmas_f32 v27, v27, v29, v30
	v_and_b32_e32 v30, 0xffff, v7
	v_lshrrev_b32_e32 v7, 16, v7
	v_div_fixup_f32 v9, v27, v28, v9
	s_delay_alu instid0(VALU_DEP_3) | instskip(NEXT) | instid1(VALU_DEP_3)
	v_cvt_f32_u32_e32 v30, v30
	v_cvt_f32_u32_e32 v7, v7
	s_delay_alu instid0(VALU_DEP_3) | instskip(SKIP_1) | instid1(VALU_DEP_2)
	v_cvt_f64_f32_e32 v[27:28], v9
	v_lshlrev_b32_e32 v9, 4, v0
	v_add_f64 v[27:28], v[27:28], s[24:25]
	s_delay_alu instid0(VALU_DEP_1) | instskip(SKIP_2) | instid1(VALU_DEP_2)
	v_cvt_f32_f64_e32 v27, v[27:28]
	v_and_b32_e32 v28, 0xffff, v5
	v_lshrrev_b32_e32 v5, 16, v5
	v_cvt_f32_u32_e32 v28, v28
	s_delay_alu instid0(VALU_DEP_2) | instskip(SKIP_4) | instid1(VALU_DEP_4)
	v_cvt_f32_u32_e32 v5, v5
	v_mul_f32_e32 v33, 0x4b800000, v27
	v_cmp_gt_f32_e32 vcc_lo, 0x800000, v27
	v_and_b32_e32 v34, 0xffff, v2
	v_lshrrev_b32_e32 v2, 16, v2
	v_cndmask_b32_e32 v27, v27, v33, vcc_lo
	s_delay_alu instid0(VALU_DEP_3) | instskip(NEXT) | instid1(VALU_DEP_3)
	v_cvt_f32_u32_e32 v34, v34
	v_cvt_f32_u32_e32 v2, v2
	s_delay_alu instid0(VALU_DEP_3) | instskip(SKIP_2) | instid1(VALU_DEP_1)
	v_rsq_f32_e32 v27, v27
	s_waitcnt_depctr 0xfff
	v_mul_f32_e32 v37, 0x45800000, v27
	v_cndmask_b32_e32 v27, v27, v37, vcc_lo
	v_and_b32_e32 v35, 0xffff, v4
	v_lshrrev_b32_e32 v4, 16, v4
	s_delay_alu instid0(VALU_DEP_3) | instskip(NEXT) | instid1(VALU_DEP_3)
	v_mul_f32_e32 v16, v16, v27
	v_cvt_f32_u32_e32 v35, v35
	s_delay_alu instid0(VALU_DEP_3) | instskip(NEXT) | instid1(VALU_DEP_3)
	v_cvt_f32_u32_e32 v4, v4
	v_dual_mul_f32 v16, v16, v7 :: v_dual_and_b32 v29, 0xffff, v6
	v_mul_f32_e32 v12, v12, v27
	v_lshrrev_b32_e32 v6, 16, v6
	v_dual_mul_f32 v14, v14, v27 :: v_dual_and_b32 v31, 0xffff, v8
	v_lshrrev_b32_e32 v8, 16, v8
	v_dual_mul_f32 v11, v11, v27 :: v_dual_and_b32 v32, 0xffff, v1
	s_delay_alu instid0(VALU_DEP_4)
	v_cvt_f32_u32_e32 v6, v6
	v_lshrrev_b32_e32 v1, 16, v1
	v_and_b32_e32 v33, 0xffff, v3
	v_cvt_f32_u32_e32 v8, v8
	v_mul_f32_e32 v38, v18, v27
	v_mul_f32_e32 v22, v22, v27
	v_dual_mul_f32 v18, v14, v6 :: v_dual_mul_f32 v21, v21, v27
	v_lshrrev_b32_e32 v3, 16, v3
	v_cvt_f32_u32_e32 v29, v29
	v_cvt_f32_u32_e32 v1, v1
	v_mul_f32_e32 v40, v20, v27
	v_dual_mul_f32 v13, v13, v27 :: v_dual_mul_f32 v20, v11, v5
	v_mul_f32_e32 v15, v15, v27
	v_cvt_f32_u32_e32 v31, v31
	v_mul_f32_e32 v39, v19, v27
	v_mul_f32_e32 v19, v12, v28
	;; [unrolled: 1-line block ×4, first 2 shown]
	v_and_b32_e32 v2, 0x7fffffff, v20
	v_and_b32_e32 v22, 0x7fffffff, v18
	v_dual_mul_f32 v26, v26, v27 :: v_dual_mul_f32 v7, v21, v34
	v_mul_f32_e32 v37, v17, v27
	v_cvt_f32_u32_e32 v32, v32
	v_cvt_f32_u32_e32 v33, v33
	s_delay_alu instid0(VALU_DEP_4)
	v_mul_f32_e32 v4, v26, v4
	v_cvt_f32_u32_e32 v3, v3
	v_mul_f32_e32 v23, v23, v27
	v_dual_mul_f32 v24, v24, v27 :: v_dual_mul_f32 v11, v39, v32
	v_dual_mul_f32 v25, v25, v27 :: v_dual_and_b32 v26, 0x7fffffff, v14
	v_mul_f32_e32 v12, v40, v1
	v_mul_f32_e32 v17, v13, v29
	;; [unrolled: 1-line block ×4, first 2 shown]
	v_and_b32_e32 v1, 0x7fffffff, v19
	v_and_b32_e32 v28, 0x7fffffff, v12
	;;#ASMSTART
	v_max3_f32 v1, v36, v1, v2

	;;#ASMEND
	v_dual_mul_f32 v6, v24, v3 :: v_dual_and_b32 v21, 0x7fffffff, v17
	v_dual_mul_f32 v3, v25, v35 :: v_dual_and_b32 v24, 0x7fffffff, v16
	;; [unrolled: 1-line block ×3, first 2 shown]
	;;#ASMSTART
	v_max3_f32 v1, v1, v21, v22

	;;#ASMEND
	v_and_b32_e32 v23, 0x7fffffff, v15
	;;#ASMSTART
	v_max3_f32 v1, v1, v23, v24

	;;#ASMEND
	v_and_b32_e32 v25, 0x7fffffff, v13
	;; [unrolled: 5-line block ×5, first 2 shown]
	v_and_b32_e32 v32, 0x7fffffff, v6
	v_and_b32_e32 v33, 0x7fffffff, v3
	;; [unrolled: 1-line block ×3, first 2 shown]
	;;#ASMSTART
	v_max3_f32 v1, v1, v31, v32

	;;#ASMEND
	;;#ASMSTART
	v_max3_f32 v21, v1, v33, v34

	;;#ASMEND
	s_cbranch_scc0 .LBB16_10
; %bb.4:
	s_ashr_i32 s7, s18, 31
	s_delay_alu instid0(SALU_CYCLE_1) | instskip(NEXT) | instid1(SALU_CYCLE_1)
	s_lshr_b32 s1, s7, 28
	s_add_i32 s1, s18, s1
	s_delay_alu instid0(SALU_CYCLE_1) | instskip(NEXT) | instid1(SALU_CYCLE_1)
	s_ashr_i32 s1, s1, 4
	s_cmp_lt_i32 s1, 8
	s_cbranch_scc1 .LBB16_11
; %bb.5:
	s_cmp_lt_i32 s1, 16
	s_cbranch_scc1 .LBB16_12
; %bb.6:
	;; [unrolled: 3-line block ×3, first 2 shown]
	v_mov_b32_e32 v1, v21
	s_cmp_eq_u32 s1, 32
	s_cbranch_scc0 .LBB16_9
; %bb.8:
	s_delay_alu instid0(VALU_DEP_1) | instskip(SKIP_1) | instid1(VALU_DEP_1)
	v_mov_b32_dpp v1, v21 quad_perm:[1,0,3,2] row_mask:0xf bank_mask:0xf
	s_mov_b32 s2, 0x76543210
	v_cmp_gt_f32_e32 vcc_lo, v21, v1
	v_cndmask_b32_e32 v1, v1, v21, vcc_lo
	s_delay_alu instid0(VALU_DEP_1) | instskip(NEXT) | instid1(VALU_DEP_1)
	v_mov_b32_dpp v2, v1 quad_perm:[2,3,0,1] row_mask:0xf bank_mask:0xf
	v_cmp_gt_f32_e32 vcc_lo, v1, v2
	v_cndmask_b32_e32 v1, v2, v1, vcc_lo
	s_delay_alu instid0(VALU_DEP_1) | instskip(NEXT) | instid1(VALU_DEP_1)
	v_mov_b32_dpp v2, v1 row_xmask:7 row_mask:0xf bank_mask:0xf
	v_cmp_gt_f32_e32 vcc_lo, v1, v2
	v_cndmask_b32_e32 v1, v2, v1, vcc_lo
	s_delay_alu instid0(VALU_DEP_1) | instskip(NEXT) | instid1(VALU_DEP_1)
	v_mov_b32_dpp v2, v1 row_xmask:15 row_mask:0xf bank_mask:0xf
	v_cmp_gt_f32_e32 vcc_lo, v1, v2
	v_cndmask_b32_e32 v1, v2, v1, vcc_lo
	s_delay_alu instid0(VALU_DEP_1) | instskip(NEXT) | instid1(VALU_DEP_1)
	v_permlanex16_b32 v2, v1, s2, 0xfedcba98 op_sel:[1,1]
	v_cmp_gt_f32_e32 vcc_lo, v1, v2
	v_cndmask_b32_e32 v1, v2, v1, vcc_lo
.LBB16_9:
	s_mov_b32 s2, 0
	s_branch .LBB16_14
.LBB16_10:
	s_mov_b32 s1, 0
                                        ; implicit-def: $vgpr22
                                        ; implicit-def: $vgpr1_vgpr2
	s_and_b32 vcc_lo, exec_lo, s31
	s_cbranch_vccnz .LBB16_38
	s_branch .LBB16_41
.LBB16_11:
                                        ; implicit-def: $vgpr1
	s_branch .LBB16_21
.LBB16_12:
                                        ; implicit-def: $vgpr1
	s_branch .LBB16_18
.LBB16_13:
	s_mov_b32 s2, -1
                                        ; implicit-def: $vgpr1
.LBB16_14:
	s_delay_alu instid0(SALU_CYCLE_1)
	s_and_not1_b32 vcc_lo, exec_lo, s2
	s_cbranch_vccnz .LBB16_17
; %bb.15:
	v_mov_b32_e32 v1, v21
	s_cmp_eq_u32 s1, 16
	s_cbranch_scc0 .LBB16_17
; %bb.16:
	s_delay_alu instid0(VALU_DEP_1) | instskip(NEXT) | instid1(VALU_DEP_1)
	v_mov_b32_dpp v1, v21 quad_perm:[1,0,3,2] row_mask:0xf bank_mask:0xf
	v_cmp_gt_f32_e32 vcc_lo, v21, v1
	v_cndmask_b32_e32 v1, v1, v21, vcc_lo
	s_delay_alu instid0(VALU_DEP_1) | instskip(NEXT) | instid1(VALU_DEP_1)
	v_mov_b32_dpp v2, v1 quad_perm:[2,3,0,1] row_mask:0xf bank_mask:0xf
	v_cmp_gt_f32_e32 vcc_lo, v1, v2
	v_cndmask_b32_e32 v1, v2, v1, vcc_lo
	s_delay_alu instid0(VALU_DEP_1) | instskip(NEXT) | instid1(VALU_DEP_1)
	v_mov_b32_dpp v2, v1 row_half_mirror row_mask:0xf bank_mask:0xf
	v_cmp_gt_f32_e32 vcc_lo, v1, v2
	v_cndmask_b32_e32 v1, v2, v1, vcc_lo
	s_delay_alu instid0(VALU_DEP_1) | instskip(NEXT) | instid1(VALU_DEP_1)
	v_mov_b32_dpp v2, v1 row_mirror row_mask:0xf bank_mask:0xf
	v_cmp_gt_f32_e32 vcc_lo, v1, v2
	v_cndmask_b32_e32 v1, v2, v1, vcc_lo
.LBB16_17:
	s_cbranch_execnz .LBB16_20
.LBB16_18:
	v_mov_b32_e32 v1, v21
	s_cmp_eq_u32 s1, 8
	s_cbranch_scc0 .LBB16_20
; %bb.19:
	s_delay_alu instid0(VALU_DEP_1) | instskip(NEXT) | instid1(VALU_DEP_1)
	v_mov_b32_dpp v1, v21 quad_perm:[1,0,3,2] row_mask:0xf bank_mask:0xf
	v_cmp_gt_f32_e32 vcc_lo, v21, v1
	v_cndmask_b32_e32 v1, v1, v21, vcc_lo
	s_delay_alu instid0(VALU_DEP_1) | instskip(NEXT) | instid1(VALU_DEP_1)
	v_mov_b32_dpp v2, v1 quad_perm:[2,3,0,1] row_mask:0xf bank_mask:0xf
	v_cmp_gt_f32_e32 vcc_lo, v1, v2
	v_cndmask_b32_e32 v1, v2, v1, vcc_lo
	s_delay_alu instid0(VALU_DEP_1) | instskip(NEXT) | instid1(VALU_DEP_1)
	v_mov_b32_dpp v2, v1 row_half_mirror row_mask:0xf bank_mask:0xf
	v_cmp_gt_f32_e32 vcc_lo, v1, v2
	v_cndmask_b32_e32 v1, v2, v1, vcc_lo
.LBB16_20:
	s_cbranch_execnz .LBB16_28
.LBB16_21:
	s_cmp_lt_i32 s1, 4
	s_cbranch_scc1 .LBB16_24
; %bb.22:
	v_mov_b32_e32 v1, v21
	s_cmp_eq_u32 s1, 4
	s_cbranch_scc0 .LBB16_25
; %bb.23:
	s_delay_alu instid0(VALU_DEP_1) | instskip(NEXT) | instid1(VALU_DEP_1)
	v_mov_b32_dpp v1, v21 quad_perm:[1,0,3,2] row_mask:0xf bank_mask:0xf
	v_cmp_gt_f32_e32 vcc_lo, v21, v1
	v_cndmask_b32_e32 v1, v1, v21, vcc_lo
	s_delay_alu instid0(VALU_DEP_1) | instskip(NEXT) | instid1(VALU_DEP_1)
	v_mov_b32_dpp v2, v1 quad_perm:[2,3,0,1] row_mask:0xf bank_mask:0xf
	v_cmp_gt_f32_e32 vcc_lo, v1, v2
	v_cndmask_b32_e32 v1, v2, v1, vcc_lo
	s_cbranch_execz .LBB16_26
	s_branch .LBB16_28
.LBB16_24:
                                        ; implicit-def: $vgpr1
	s_branch .LBB16_26
.LBB16_25:
	s_cbranch_execnz .LBB16_28
.LBB16_26:
	v_mov_b32_e32 v1, v21
	s_cmp_lg_u32 s1, 2
	s_cbranch_scc1 .LBB16_28
; %bb.27:
	s_delay_alu instid0(VALU_DEP_1) | instskip(NEXT) | instid1(VALU_DEP_1)
	v_mov_b32_dpp v1, v21 quad_perm:[1,0,3,2] row_mask:0xf bank_mask:0xf
	v_cmp_gt_f32_e32 vcc_lo, v21, v1
	v_cndmask_b32_e32 v1, v1, v21, vcc_lo
.LBB16_28:
	v_cvt_f32_u32_e32 v2, s1
	s_sub_i32 s2, 0, s1
	s_mov_b32 s31, 0
	s_delay_alu instid0(VALU_DEP_1) | instskip(SKIP_2) | instid1(VALU_DEP_1)
	v_rcp_iflag_f32_e32 v2, v2
	s_waitcnt_depctr 0xfff
	v_mul_f32_e32 v2, 0x4f7ffffe, v2
	v_cvt_u32_f32_e32 v2, v2
	s_delay_alu instid0(VALU_DEP_1) | instskip(NEXT) | instid1(VALU_DEP_1)
	v_mul_lo_u32 v22, s2, v2
	v_mul_hi_u32 v22, v2, v22
	s_delay_alu instid0(VALU_DEP_1) | instskip(NEXT) | instid1(VALU_DEP_1)
	v_add_nc_u32_e32 v2, v2, v22
	v_mul_hi_u32 v2, v0, v2
	s_delay_alu instid0(VALU_DEP_1) | instskip(NEXT) | instid1(VALU_DEP_1)
	v_mul_lo_u32 v22, v2, s1
	v_sub_nc_u32_e32 v22, v0, v22
	s_delay_alu instid0(VALU_DEP_1) | instskip(SKIP_1) | instid1(VALU_DEP_2)
	v_subrev_nc_u32_e32 v24, s1, v22
	v_cmp_le_u32_e32 vcc_lo, s1, v22
	v_dual_cndmask_b32 v22, v22, v24 :: v_dual_add_nc_u32 v23, 1, v2
	s_delay_alu instid0(VALU_DEP_1) | instskip(NEXT) | instid1(VALU_DEP_2)
	v_cndmask_b32_e32 v2, v2, v23, vcc_lo
	v_cmp_le_u32_e32 vcc_lo, s1, v22
	s_delay_alu instid0(VALU_DEP_2) | instskip(NEXT) | instid1(VALU_DEP_1)
	v_dual_mul_f32 v22, 0x3b124925, v1 :: v_dual_add_nc_u32 v23, 1, v2
	v_cndmask_b32_e32 v23, v2, v23, vcc_lo
	v_cmp_gt_u32_e32 vcc_lo, s13, v9
	s_delay_alu instid0(VALU_DEP_2) | instskip(NEXT) | instid1(VALU_DEP_1)
	v_mul_lo_u32 v2, v23, s1
	v_sub_nc_u32_e32 v2, v0, v2
	s_delay_alu instid0(VALU_DEP_1) | instskip(NEXT) | instid1(VALU_DEP_1)
	v_cmp_eq_u32_e64 s1, 0, v2
                                        ; implicit-def: $vgpr1_vgpr2
	s_and_b32 s2, s1, vcc_lo
	s_mov_b32 s1, 0
	s_and_saveexec_b32 s3, s2
	s_delay_alu instid0(SALU_CYCLE_1)
	s_xor_b32 s14, exec_lo, s3
	s_cbranch_execz .LBB16_37
; %bb.29:
	s_bitcmp0_b32 s19, 0
	s_mov_b32 s6, 0
	s_cbranch_scc0 .LBB16_34
; %bb.30:
	s_ashr_i32 s1, s13, 31
	s_mul_hi_u32 s3, s13, s34
	s_mul_i32 s1, s1, s34
	s_mul_i32 s2, s13, s34
	s_add_i32 s3, s3, s1
	s_mov_b32 s19, s7
	s_delay_alu instid0(SALU_CYCLE_1) | instskip(NEXT) | instid1(SALU_CYCLE_1)
	s_or_b64 s[10:11], s[2:3], s[18:19]
	s_mov_b32 s7, s11
	s_delay_alu instid0(SALU_CYCLE_1)
	s_cmp_lg_u64 s[6:7], 0
	s_cbranch_scc0 .LBB16_45
; %bb.31:
	s_add_u32 s10, s18, s19
	s_mov_b32 s6, s19
	s_mov_b32 s7, s19
	s_addc_u32 s11, s19, s19
	s_delay_alu instid0(SALU_CYCLE_1) | instskip(NEXT) | instid1(SALU_CYCLE_1)
	s_xor_b64 s[10:11], s[10:11], s[6:7]
	v_cvt_f32_u32_e32 v1, s10
	v_cvt_f32_u32_e32 v2, s11
	s_sub_u32 s16, 0, s10
	s_subb_u32 s19, 0, s11
	s_delay_alu instid0(VALU_DEP_1) | instskip(NEXT) | instid1(VALU_DEP_1)
	v_fmamk_f32 v1, v2, 0x4f800000, v1
	v_rcp_f32_e32 v1, v1
	s_waitcnt_depctr 0xfff
	v_mul_f32_e32 v1, 0x5f7ffffc, v1
	s_delay_alu instid0(VALU_DEP_1) | instskip(NEXT) | instid1(VALU_DEP_1)
	v_mul_f32_e32 v2, 0x2f800000, v1
	v_trunc_f32_e32 v2, v2
	s_delay_alu instid0(VALU_DEP_1) | instskip(SKIP_1) | instid1(VALU_DEP_2)
	v_fmamk_f32 v1, v2, 0xcf800000, v1
	v_cvt_u32_f32_e32 v2, v2
	v_cvt_u32_f32_e32 v1, v1
	s_delay_alu instid0(VALU_DEP_2) | instskip(NEXT) | instid1(VALU_DEP_2)
	v_readfirstlane_b32 s1, v2
	v_readfirstlane_b32 s15, v1
	s_delay_alu instid0(VALU_DEP_2) | instskip(NEXT) | instid1(VALU_DEP_1)
	s_mul_i32 s20, s16, s1
	s_mul_hi_u32 s22, s16, s15
	s_mul_i32 s21, s19, s15
	s_add_i32 s20, s22, s20
	s_mul_i32 s23, s16, s15
	s_add_i32 s20, s20, s21
	s_mul_hi_u32 s22, s15, s23
	s_mul_hi_u32 s24, s1, s23
	s_mul_i32 s21, s1, s23
	s_mul_hi_u32 s23, s15, s20
	s_mul_i32 s15, s15, s20
	s_mul_hi_u32 s25, s1, s20
	s_add_u32 s15, s22, s15
	s_addc_u32 s22, 0, s23
	s_add_u32 s15, s15, s21
	s_mul_i32 s20, s1, s20
	s_addc_u32 s15, s22, s24
	s_addc_u32 s21, s25, 0
	s_add_u32 s15, s15, s20
	s_addc_u32 s20, 0, s21
	v_add_co_u32 v1, s15, v1, s15
	s_delay_alu instid0(VALU_DEP_1) | instskip(SKIP_1) | instid1(VALU_DEP_1)
	s_cmp_lg_u32 s15, 0
	s_addc_u32 s1, s1, s20
	v_readfirstlane_b32 s15, v1
	s_mul_i32 s20, s16, s1
	s_delay_alu instid0(VALU_DEP_1)
	s_mul_hi_u32 s21, s16, s15
	s_mul_i32 s19, s19, s15
	s_add_i32 s20, s21, s20
	s_mul_i32 s16, s16, s15
	s_add_i32 s20, s20, s19
	s_mul_hi_u32 s21, s1, s16
	s_mul_i32 s22, s1, s16
	s_mul_hi_u32 s16, s15, s16
	s_mul_hi_u32 s23, s15, s20
	s_mul_i32 s15, s15, s20
	s_mul_hi_u32 s19, s1, s20
	s_add_u32 s15, s16, s15
	s_addc_u32 s16, 0, s23
	s_add_u32 s15, s15, s22
	s_mul_i32 s20, s1, s20
	s_addc_u32 s15, s16, s21
	s_addc_u32 s16, s19, 0
	s_add_u32 s15, s15, s20
	s_addc_u32 s16, 0, s16
	v_add_co_u32 v1, s15, v1, s15
	s_delay_alu instid0(VALU_DEP_1) | instskip(SKIP_2) | instid1(SALU_CYCLE_1)
	s_cmp_lg_u32 s15, 0
	s_addc_u32 s1, s1, s16
	s_ashr_i32 s20, s3, 31
	s_add_u32 s22, s2, s20
	s_addc_u32 s23, s3, s20
	v_readfirstlane_b32 s3, v1
	s_mov_b32 s21, s20
	s_delay_alu instid0(SALU_CYCLE_1) | instskip(NEXT) | instid1(SALU_CYCLE_1)
	s_xor_b64 s[22:23], s[22:23], s[20:21]
	s_mul_i32 s16, s22, s1
	s_delay_alu instid0(VALU_DEP_1)
	s_mul_hi_u32 s19, s22, s3
	s_mul_hi_u32 s15, s22, s1
	;; [unrolled: 1-line block ×3, first 2 shown]
	s_mul_i32 s3, s23, s3
	s_add_u32 s16, s19, s16
	s_addc_u32 s15, 0, s15
	s_mul_hi_u32 s24, s23, s1
	s_add_u32 s3, s16, s3
	s_mul_i32 s1, s23, s1
	s_addc_u32 s3, s15, s25
	s_addc_u32 s15, s24, 0
	s_add_u32 s3, s3, s1
	s_addc_u32 s15, 0, s15
	s_mul_hi_u32 s1, s10, s3
	s_mul_i32 s19, s10, s15
	s_mul_i32 s24, s10, s3
	s_add_i32 s1, s1, s19
	v_sub_co_u32 v1, s19, s22, s24
	s_mul_i32 s16, s11, s3
	s_delay_alu instid0(SALU_CYCLE_1) | instskip(NEXT) | instid1(VALU_DEP_1)
	s_add_i32 s1, s1, s16
	v_sub_co_u32 v2, s22, v1, s10
	s_sub_i32 s16, s23, s1
	s_cmp_lg_u32 s19, 0
	s_subb_u32 s16, s16, s11
	s_cmp_lg_u32 s22, 0
	v_cmp_le_u32_e32 vcc_lo, s10, v2
	s_subb_u32 s16, s16, 0
	s_delay_alu instid0(SALU_CYCLE_1)
	s_cmp_ge_u32 s16, s11
	v_cndmask_b32_e64 v2, 0, -1, vcc_lo
	s_cselect_b32 s22, -1, 0
	s_cmp_eq_u32 s16, s11
	s_cselect_b32 vcc_lo, -1, 0
	s_add_u32 s16, s3, 1
	v_cndmask_b32_e32 v2, s22, v2, vcc_lo
	s_addc_u32 s22, s15, 0
	s_add_u32 s24, s3, 2
	s_addc_u32 s25, s15, 0
	s_cmp_lg_u32 s19, 0
	v_cmp_le_u32_e32 vcc_lo, s10, v1
	s_subb_u32 s1, s23, s1
	v_mov_b32_e32 v24, s24
	s_cmp_ge_u32 s1, s11
	v_cndmask_b32_e64 v1, 0, -1, vcc_lo
	s_cselect_b32 s10, -1, 0
	s_cmp_eq_u32 s1, s11
	v_cmp_ne_u32_e32 vcc_lo, 0, v2
	v_mov_b32_e32 v2, s25
	s_cselect_b32 s1, -1, 0
	s_xor_b64 s[6:7], s[20:21], s[6:7]
	v_cndmask_b32_e64 v1, s10, v1, s1
	v_cndmask_b32_e32 v24, s16, v24, vcc_lo
	v_cndmask_b32_e32 v2, s22, v2, vcc_lo
	s_delay_alu instid0(VALU_DEP_3) | instskip(NEXT) | instid1(VALU_DEP_2)
	v_cmp_ne_u32_e32 vcc_lo, 0, v1
	v_cndmask_b32_e32 v1, s15, v2, vcc_lo
	s_delay_alu instid0(VALU_DEP_4) | instskip(NEXT) | instid1(VALU_DEP_2)
	v_cndmask_b32_e32 v2, s3, v24, vcc_lo
	v_xor_b32_e32 v24, s7, v1
	s_delay_alu instid0(VALU_DEP_2) | instskip(NEXT) | instid1(VALU_DEP_1)
	v_xor_b32_e32 v2, s6, v2
	v_sub_co_u32 v1, vcc_lo, v2, s6
	s_delay_alu instid0(VALU_DEP_3)
	v_subrev_co_ci_u32_e32 v2, vcc_lo, s7, v24, vcc_lo
	s_cbranch_execnz .LBB16_33
.LBB16_32:
	v_cvt_f32_u32_e32 v1, s18
	s_sub_i32 s3, 0, s18
	s_delay_alu instid0(VALU_DEP_1) | instskip(SKIP_2) | instid1(VALU_DEP_1)
	v_rcp_iflag_f32_e32 v1, v1
	s_waitcnt_depctr 0xfff
	v_mul_f32_e32 v1, 0x4f7ffffe, v1
	v_cvt_u32_f32_e32 v1, v1
	s_delay_alu instid0(VALU_DEP_1) | instskip(NEXT) | instid1(VALU_DEP_1)
	v_readfirstlane_b32 s1, v1
	s_mul_i32 s3, s3, s1
	s_delay_alu instid0(SALU_CYCLE_1) | instskip(NEXT) | instid1(SALU_CYCLE_1)
	s_mul_hi_u32 s3, s1, s3
	s_add_i32 s1, s1, s3
	s_delay_alu instid0(SALU_CYCLE_1) | instskip(NEXT) | instid1(SALU_CYCLE_1)
	s_mul_hi_u32 s1, s2, s1
	s_mul_i32 s3, s1, s18
	s_delay_alu instid0(SALU_CYCLE_1)
	s_sub_i32 s2, s2, s3
	s_add_i32 s3, s1, 1
	s_sub_i32 s6, s2, s18
	s_cmp_ge_u32 s2, s18
	s_cselect_b32 s1, s3, s1
	s_cselect_b32 s2, s6, s2
	s_add_i32 s6, s1, 1
	s_cmp_ge_u32 s2, s18
	s_mov_b32 s3, 0
	s_cselect_b32 s2, s6, s1
	s_delay_alu instid0(SALU_CYCLE_1)
	v_dual_mov_b32 v1, s2 :: v_dual_mov_b32 v2, s3
.LBB16_33:
	s_delay_alu instid0(VALU_DEP_1) | instskip(NEXT) | instid1(VALU_DEP_2)
	v_add_co_u32 v1, vcc_lo, v1, v23
	v_add_co_ci_u32_e32 v2, vcc_lo, 0, v2, vcc_lo
	s_branch .LBB16_36
.LBB16_34:
                                        ; implicit-def: $vgpr1_vgpr2
	s_cbranch_execz .LBB16_36
; %bb.35:
	v_mul_lo_u32 v1, v23, s12
	s_delay_alu instid0(VALU_DEP_1) | instskip(SKIP_1) | instid1(VALU_DEP_2)
	v_ashrrev_i32_e32 v2, 31, v1
	v_add_co_u32 v1, vcc_lo, v1, s34
	v_add_co_ci_u32_e32 v2, vcc_lo, 0, v2, vcc_lo
.LBB16_36:
	s_mov_b32 s1, exec_lo
.LBB16_37:
	s_or_b32 exec_lo, exec_lo, s14
	s_delay_alu instid0(SALU_CYCLE_1)
	s_and_b32 vcc_lo, exec_lo, s31
	s_cbranch_vccz .LBB16_41
.LBB16_38:
	v_mov_b32_dpp v1, v21 quad_perm:[1,0,3,2] row_mask:0xf bank_mask:0xf
	s_delay_alu instid0(VALU_DEP_1) | instskip(SKIP_1) | instid1(VALU_DEP_1)
	v_cmp_gt_f32_e32 vcc_lo, v21, v1
	v_cndmask_b32_e32 v1, v1, v21, vcc_lo
	v_mov_b32_dpp v2, v1 quad_perm:[2,3,0,1] row_mask:0xf bank_mask:0xf
	s_delay_alu instid0(VALU_DEP_1) | instskip(SKIP_1) | instid1(VALU_DEP_1)
	v_cmp_gt_f32_e32 vcc_lo, v1, v2
	v_cndmask_b32_e32 v1, v2, v1, vcc_lo
	v_mov_b32_dpp v2, v1 row_xmask:7 row_mask:0xf bank_mask:0xf
	s_delay_alu instid0(VALU_DEP_1) | instskip(SKIP_1) | instid1(VALU_DEP_1)
	v_cmp_gt_f32_e32 vcc_lo, v1, v2
	v_cndmask_b32_e32 v1, v2, v1, vcc_lo
	v_mov_b32_dpp v2, v1 row_xmask:15 row_mask:0xf bank_mask:0xf
	s_delay_alu instid0(VALU_DEP_1)
	v_cmp_gt_f32_e32 vcc_lo, v1, v2
	s_and_saveexec_b32 s1, s0
	s_cbranch_execz .LBB16_40
; %bb.39:
	v_cndmask_b32_e32 v1, v2, v1, vcc_lo
	v_lshrrev_b32_e32 v2, 3, v0
	s_mov_b32 s0, 0x76543210
	s_delay_alu instid0(VALU_DEP_1) | instskip(NEXT) | instid1(VALU_DEP_3)
	v_and_b32_e32 v2, 0x7c, v2
	v_permlanex16_b32 v21, v1, s0, 0xfedcba98 op_sel:[1,1]
	s_delay_alu instid0(VALU_DEP_1)
	v_cmp_gt_f32_e32 vcc_lo, v1, v21
	v_cndmask_b32_e32 v1, v21, v1, vcc_lo
	ds_store_b32 v2, v1
.LBB16_40:
	s_or_b32 exec_lo, exec_lo, s1
	s_waitcnt lgkmcnt(0)
	s_barrier
	buffer_gl0_inv
	ds_load_b32 v1, v10
	v_cmp_eq_u32_e64 s1, 0, v0
	s_waitcnt lgkmcnt(0)
	v_mov_b32_dpp v2, v1 quad_perm:[1,0,3,2] row_mask:0xf bank_mask:0xf
	s_delay_alu instid0(VALU_DEP_1) | instskip(SKIP_1) | instid1(VALU_DEP_1)
	v_cmp_gt_f32_e32 vcc_lo, v1, v2
	v_cndmask_b32_e32 v1, v2, v1, vcc_lo
	v_mov_b32_dpp v2, v1 quad_perm:[2,3,0,1] row_mask:0xf bank_mask:0xf
	s_delay_alu instid0(VALU_DEP_1) | instskip(SKIP_1) | instid1(VALU_DEP_1)
	v_cmp_gt_f32_e32 vcc_lo, v1, v2
	v_cndmask_b32_e32 v1, v2, v1, vcc_lo
	v_mov_b32_dpp v2, v1 row_xmask:7 row_mask:0xf bank_mask:0xf
	s_delay_alu instid0(VALU_DEP_1) | instskip(SKIP_1) | instid1(VALU_DEP_1)
	v_cmp_gt_f32_e32 vcc_lo, v1, v2
	v_cndmask_b32_e32 v1, v2, v1, vcc_lo
	v_dual_mul_f32 v22, 0x3b124925, v1 :: v_dual_mov_b32 v1, s34
	v_mov_b32_e32 v2, s35
.LBB16_41:
	s_and_saveexec_b32 s0, s1
	s_cbranch_execz .LBB16_43
; %bb.42:
	s_delay_alu instid0(VALU_DEP_1) | instskip(NEXT) | instid1(VALU_DEP_1)
	v_lshlrev_b64 v[0:1], 2, v[1:2]
	v_add_co_u32 v0, vcc_lo, s8, v0
	s_delay_alu instid0(VALU_DEP_2)
	v_add_co_ci_u32_e32 v1, vcc_lo, s9, v1, vcc_lo
	global_store_b32 v[0:1], v22, off
.LBB16_43:
	s_or_b32 exec_lo, exec_lo, s0
	;;#ASMSTART
	v_rcp_f32 v2, v22
	;;#ASMEND
	v_dual_mul_f32 v0, v19, v2 :: v_dual_mov_b32 v19, 0x43e00000
	v_dual_mul_f32 v1, v20, v2 :: v_dual_mov_b32 v10, 0xc3e00000
	v_mul_f32_e32 v17, v17, v2
	v_mul_f32_e32 v18, v18, v2
	;;#ASMSTART
	v_med3_f32 v0, v0, v10, v19
v_med3_f32 v1, v1, v10, v19
v_cvt_pk_fp8_f32 v20, v0, v1
	;;#ASMEND
	s_add_i32 s0, s13, 3
	;;#ASMSTART
	v_med3_f32 v17, v17, v10, v19
v_med3_f32 v18, v18, v10, v19
v_cvt_pk_fp8_f32 v0, v17, v18
	;;#ASMEND
	v_perm_b32 v1, v0, v20, 0x5040100
	s_ashr_i32 s2, s0, 31
	v_mul_f32_e32 v15, v15, v2
	s_lshr_b32 s2, s2, 30
	v_mul_f32_e32 v16, v16, v2
	s_ashr_i32 s1, s17, 31
	v_mul_f32_e32 v13, v13, v2
	v_mul_f32_e32 v14, v14, v2
	v_perm_b32 v0, v1, v0, 0x1060504
	;;#ASMSTART
	v_med3_f32 v15, v15, v10, v19
v_med3_f32 v16, v16, v10, v19
v_cvt_pk_fp8_f32 v1, v15, v16
	;;#ASMEND
	v_mul_f32_e32 v11, v11, v2
	v_mul_f32_e32 v12, v12, v2
	s_add_i32 s0, s0, s2
	;;#ASMSTART
	v_med3_f32 v13, v13, v10, v19
v_med3_f32 v14, v14, v10, v19
v_cvt_pk_fp8_f32 v15, v13, v14
	;;#ASMEND
	v_mul_f32_e32 v7, v7, v2
	v_mul_f32_e32 v8, v8, v2
	;; [unrolled: 1-line block ×6, first 2 shown]
	;;#ASMSTART
	v_med3_f32 v11, v11, v10, v19
v_med3_f32 v12, v12, v10, v19
v_cvt_pk_fp8_f32 v2, v11, v12
	;;#ASMEND
	s_mul_hi_u32 s3, s17, s34
	s_mul_i32 s1, s1, s34
	;;#ASMSTART
	v_med3_f32 v7, v7, v10, v19
v_med3_f32 v8, v8, v10, v19
v_cvt_pk_fp8_f32 v11, v7, v8
	;;#ASMEND
	s_and_b32 s2, s0, -4
	s_mul_i32 s0, s17, s34
	;;#ASMSTART
	v_med3_f32 v5, v5, v10, v19
v_med3_f32 v6, v6, v10, v19
v_cvt_pk_fp8_f32 v7, v5, v6
	;;#ASMEND
	s_add_i32 s3, s3, s1
	;;#ASMSTART
	v_med3_f32 v3, v3, v10, v19
v_med3_f32 v4, v4, v10, v19
v_cvt_pk_fp8_f32 v5, v3, v4
	;;#ASMEND
	s_add_u32 s0, s4, s0
	v_perm_b32 v1, v1, v15, 0x1000504
	v_perm_b32 v2, v2, v11, 0x1000504
	;; [unrolled: 1-line block ×3, first 2 shown]
	s_addc_u32 s1, s5, s3
	s_mov_b32 s3, -1
	s_and_b32 s1, s1, 0xffff
	buffer_store_b128 v[0:3], v9, s[0:3], 0 offen
	;;#ASMSTART
	s_nop 0
	;;#ASMEND
.LBB16_44:
	s_nop 0
	s_sendmsg sendmsg(MSG_DEALLOC_VGPRS)
	s_endpgm
.LBB16_45:
                                        ; implicit-def: $vgpr1_vgpr2
	s_branch .LBB16_32
	.section	.rodata,"a",@progbits
	.p2align	6, 0x0
	.amdhsa_kernel _ZN5aiter24add_rmsnorm_quant_kernelItDB8_Li256ELi16ELb1ELb1ELb0ELi1EEEvPT0_PT_PfS5_S5_S5_diiiiiiib
		.amdhsa_group_segment_fixed_size 64
		.amdhsa_private_segment_fixed_size 0
		.amdhsa_kernarg_size 88
		.amdhsa_user_sgpr_count 15
		.amdhsa_user_sgpr_dispatch_ptr 0
		.amdhsa_user_sgpr_queue_ptr 0
		.amdhsa_user_sgpr_kernarg_segment_ptr 1
		.amdhsa_user_sgpr_dispatch_id 0
		.amdhsa_user_sgpr_private_segment_size 0
		.amdhsa_wavefront_size32 1
		.amdhsa_uses_dynamic_stack 0
		.amdhsa_enable_private_segment 0
		.amdhsa_system_sgpr_workgroup_id_x 1
		.amdhsa_system_sgpr_workgroup_id_y 0
		.amdhsa_system_sgpr_workgroup_id_z 0
		.amdhsa_system_sgpr_workgroup_info 0
		.amdhsa_system_vgpr_workitem_id 0
		.amdhsa_next_free_vgpr 41
		.amdhsa_next_free_sgpr 36
		.amdhsa_reserve_vcc 1
		.amdhsa_float_round_mode_32 0
		.amdhsa_float_round_mode_16_64 0
		.amdhsa_float_denorm_mode_32 3
		.amdhsa_float_denorm_mode_16_64 3
		.amdhsa_dx10_clamp 1
		.amdhsa_ieee_mode 1
		.amdhsa_fp16_overflow 0
		.amdhsa_workgroup_processor_mode 1
		.amdhsa_memory_ordered 1
		.amdhsa_forward_progress 0
		.amdhsa_shared_vgpr_count 0
		.amdhsa_exception_fp_ieee_invalid_op 0
		.amdhsa_exception_fp_denorm_src 0
		.amdhsa_exception_fp_ieee_div_zero 0
		.amdhsa_exception_fp_ieee_overflow 0
		.amdhsa_exception_fp_ieee_underflow 0
		.amdhsa_exception_fp_ieee_inexact 0
		.amdhsa_exception_int_div_zero 0
	.end_amdhsa_kernel
	.section	.text._ZN5aiter24add_rmsnorm_quant_kernelItDB8_Li256ELi16ELb1ELb1ELb0ELi1EEEvPT0_PT_PfS5_S5_S5_diiiiiiib,"axG",@progbits,_ZN5aiter24add_rmsnorm_quant_kernelItDB8_Li256ELi16ELb1ELb1ELb0ELi1EEEvPT0_PT_PfS5_S5_S5_diiiiiiib,comdat
.Lfunc_end16:
	.size	_ZN5aiter24add_rmsnorm_quant_kernelItDB8_Li256ELi16ELb1ELb1ELb0ELi1EEEvPT0_PT_PfS5_S5_S5_diiiiiiib, .Lfunc_end16-_ZN5aiter24add_rmsnorm_quant_kernelItDB8_Li256ELi16ELb1ELb1ELb0ELi1EEEvPT0_PT_PfS5_S5_S5_diiiiiiib
                                        ; -- End function
	.section	.AMDGPU.csdata,"",@progbits
; Kernel info:
; codeLenInByte = 4608
; NumSgprs: 38
; NumVgprs: 41
; ScratchSize: 0
; MemoryBound: 0
; FloatMode: 240
; IeeeMode: 1
; LDSByteSize: 64 bytes/workgroup (compile time only)
; SGPRBlocks: 4
; VGPRBlocks: 5
; NumSGPRsForWavesPerEU: 38
; NumVGPRsForWavesPerEU: 41
; Occupancy: 16
; WaveLimiterHint : 0
; COMPUTE_PGM_RSRC2:SCRATCH_EN: 0
; COMPUTE_PGM_RSRC2:USER_SGPR: 15
; COMPUTE_PGM_RSRC2:TRAP_HANDLER: 0
; COMPUTE_PGM_RSRC2:TGID_X_EN: 1
; COMPUTE_PGM_RSRC2:TGID_Y_EN: 0
; COMPUTE_PGM_RSRC2:TGID_Z_EN: 0
; COMPUTE_PGM_RSRC2:TIDIG_COMP_CNT: 0
	.section	.text._ZN5aiter24add_rmsnorm_quant_kernelIDF16_DB8_Li256ELi24ELb1ELb1ELb1ELi1EEEvPT0_PT_PfS5_S5_S5_diiiiiiib,"axG",@progbits,_ZN5aiter24add_rmsnorm_quant_kernelIDF16_DB8_Li256ELi24ELb1ELb1ELb1ELi1EEEvPT0_PT_PfS5_S5_S5_diiiiiiib,comdat
	.protected	_ZN5aiter24add_rmsnorm_quant_kernelIDF16_DB8_Li256ELi24ELb1ELb1ELb1ELi1EEEvPT0_PT_PfS5_S5_S5_diiiiiiib ; -- Begin function _ZN5aiter24add_rmsnorm_quant_kernelIDF16_DB8_Li256ELi24ELb1ELb1ELb1ELi1EEEvPT0_PT_PfS5_S5_S5_diiiiiiib
	.globl	_ZN5aiter24add_rmsnorm_quant_kernelIDF16_DB8_Li256ELi24ELb1ELb1ELb1ELi1EEEvPT0_PT_PfS5_S5_S5_diiiiiiib
	.p2align	8
	.type	_ZN5aiter24add_rmsnorm_quant_kernelIDF16_DB8_Li256ELi24ELb1ELb1ELb1ELi1EEEvPT0_PT_PfS5_S5_S5_diiiiiiib,@function
_ZN5aiter24add_rmsnorm_quant_kernelIDF16_DB8_Li256ELi24ELb1ELb1ELb1ELi1EEEvPT0_PT_PfS5_S5_S5_diiiiiiib: ; @_ZN5aiter24add_rmsnorm_quant_kernelIDF16_DB8_Li256ELi24ELb1ELb1ELb1ELi1EEEvPT0_PT_PfS5_S5_S5_diiiiiiib
; %bb.0:
	s_load_b256 s[4:11], s[0:1], 0x38
	s_mov_b32 s34, s15
	s_mov_b32 s35, 0
	s_waitcnt lgkmcnt(0)
	s_ashr_i32 s3, s4, 31
	s_mov_b32 s2, s4
	s_delay_alu instid0(SALU_CYCLE_1) | instskip(NEXT) | instid1(VALU_DEP_1)
	v_cmp_ge_i64_e64 s2, s[34:35], s[2:3]
	s_and_b32 vcc_lo, exec_lo, s2
	s_cbranch_vccnz .LBB17_44
; %bb.1:
	s_clause 0x1
	s_load_b256 s[12:19], s[0:1], 0x0
	s_load_b256 s[20:27], s[0:1], 0x20
	v_and_b32_e32 v1, 0x3e0, v0
	s_ashr_i32 s0, s6, 31
	s_mul_hi_u32 s3, s6, s34
	s_mul_i32 s0, s0, s34
	s_waitcnt lgkmcnt(0)
	s_mul_i32 s26, s6, s34
	v_lshlrev_b32_e32 v2, 3, v0
	v_mul_u32_u24_e32 v1, 24, v1
	s_add_i32 s27, s3, s0
	s_mul_hi_u32 s33, s7, s34
	s_lshl_b64 s[26:27], s[26:27], 1
	s_mul_i32 s6, s7, s34
	v_and_or_b32 v13, 0xf8, v2, v1
	s_mov_b32 s31, -1
	s_movk_i32 s2, 0x400
	s_movk_i32 s1, 0x200
	s_mov_b32 s39, s31
	v_lshlrev_b32_e32 v14, 1, v13
	s_add_u32 s28, s18, s26
	s_addc_u32 s0, s19, s27
	s_add_i32 s3, s5, 1
	s_ashr_i32 s7, s7, 31
	s_lshr_b32 s18, s3, 31
	s_mul_i32 s7, s7, s34
	s_add_i32 s3, s3, s18
	s_and_b32 s29, s0, 0xffff
	s_lshl_b32 s0, s3, 1
	s_add_i32 s7, s33, s7
	s_and_b32 s30, s0, -4
	s_lshl_b64 s[6:7], s[6:7], 1
	s_and_b32 s37, s23, 0xffff
	s_clause 0x2
	buffer_load_b128 v[15:18], v14, s[28:31], 0 offen glc slc
	buffer_load_b128 v[23:26], v14, s[28:31], s1 offen glc slc
	;; [unrolled: 1-line block ×3, first 2 shown]
	s_add_u32 s28, s20, s6
	s_addc_u32 s0, s21, s7
	s_mov_b32 s36, s22
	s_and_b32 s29, s0, 0xffff
	s_clause 0x2
	buffer_load_b128 v[19:22], v14, s[28:31], 0 offen glc slc
	buffer_load_b128 v[27:30], v14, s[28:31], s1 offen glc slc
	;; [unrolled: 1-line block ×3, first 2 shown]
	s_mov_b32 s38, s30
	s_ashr_i32 s0, s8, 31
	s_mul_hi_u32 s3, s8, s34
	s_mul_i32 s0, s0, s34
	s_mul_i32 s6, s8, s34
	s_add_i32 s7, s3, s0
	s_delay_alu instid0(SALU_CYCLE_1) | instskip(NEXT) | instid1(SALU_CYCLE_1)
	s_lshl_b64 s[6:7], s[6:7], 1
	s_add_u32 s28, s14, s6
	s_addc_u32 s0, s15, s7
	s_delay_alu instid0(SALU_CYCLE_1)
	s_and_b32 s29, s0, 0xffff
	s_waitcnt vmcnt(5)
	v_lshrrev_b32_e32 v39, 16, v15
	v_cvt_f32_f16_e32 v41, v15
	v_lshrrev_b32_e32 v42, 16, v16
	v_cvt_f32_f16_e32 v43, v17
	s_waitcnt vmcnt(3)
	v_cvt_f32_f16_e32 v45, v31
	v_cvt_f32_f16_e32 v15, v39
	s_waitcnt vmcnt(2)
	v_lshrrev_b32_e32 v40, 16, v19
	v_cvt_f32_f16_e32 v42, v42
	v_cvt_f32_f16_e32 v44, v21
	v_lshrrev_b32_e32 v21, 16, v21
	v_lshrrev_b32_e32 v31, 16, v31
	v_cvt_f32_f16_e32 v39, v40
	v_cvt_f32_f16_e32 v40, v16
	;; [unrolled: 1-line block ×3, first 2 shown]
	v_lshrrev_b32_e32 v19, 16, v17
	v_cvt_f32_f16_e32 v17, v20
	v_add_f32_e32 v15, v15, v39
	v_lshrrev_b32_e32 v20, 16, v20
	v_and_b32_e32 v52, 31, v0
	s_delay_alu instid0(VALU_DEP_4) | instskip(NEXT) | instid1(VALU_DEP_4)
	v_dual_add_f32 v16, v41, v16 :: v_dual_add_f32 v17, v40, v17
	v_mul_f32_e32 v39, v15, v15
	s_clause 0x2
	buffer_load_b128 v[9:12], v14, s[36:39], 0 offen
	buffer_load_b128 v[5:8], v14, s[36:39], s1 offen
	;; [unrolled: 1-line block ×3, first 2 shown]
	v_cvt_f32_f16_e32 v20, v20
	v_lshrrev_b32_e32 v40, 16, v18
	v_cvt_f32_f16_e32 v41, v18
	v_cvt_f32_f16_e32 v21, v21
	v_cmp_eq_u32_e64 s0, 31, v52
	v_add_f32_e32 v18, v42, v20
	v_cvt_f32_f16_e32 v20, v19
	v_cvt_f32_f16_e32 v40, v40
	v_add_f32_e32 v19, v43, v44
	v_cvt_f32_f16_e32 v43, v22
	v_lshrrev_b32_e32 v22, 16, v22
	v_cvt_f32_f16_e32 v42, v23
	v_lshrrev_b32_e32 v23, 16, v23
	v_add_f32_e32 v20, v20, v21
	v_cvt_f32_f16_e32 v44, v24
	v_cvt_f32_f16_e32 v22, v22
	v_add_f32_e32 v21, v41, v43
	v_lshrrev_b32_e32 v41, 16, v24
	s_waitcnt vmcnt(4)
	v_cvt_f32_f16_e32 v24, v27
	v_lshrrev_b32_e32 v27, 16, v27
	v_add_f32_e32 v22, v40, v22
	v_cvt_f32_f16_e32 v40, v25
	v_cvt_f32_f16_e32 v43, v23
	v_add_f32_e32 v23, v42, v24
	v_cvt_f32_f16_e32 v27, v27
	v_fmac_f32_e32 v39, v16, v16
	v_lshrrev_b32_e32 v42, 16, v25
	v_cvt_f32_f16_e32 v25, v28
	v_lshrrev_b32_e32 v28, 16, v28
	s_delay_alu instid0(VALU_DEP_4) | instskip(SKIP_1) | instid1(VALU_DEP_4)
	v_dual_add_f32 v24, v43, v27 :: v_dual_fmac_f32 v39, v17, v17
	v_cvt_f32_f16_e32 v27, v41
	v_add_f32_e32 v25, v44, v25
	s_delay_alu instid0(VALU_DEP_4)
	v_cvt_f32_f16_e32 v28, v28
	v_cvt_f32_f16_e32 v44, v29
	v_lshrrev_b32_e32 v29, 16, v29
	v_fmac_f32_e32 v39, v18, v18
	v_cvt_f32_f16_e32 v43, v26
	v_lshrrev_b32_e32 v41, 16, v26
	v_add_f32_e32 v26, v27, v28
	v_cvt_f32_f16_e32 v28, v42
	v_cvt_f32_f16_e32 v29, v29
	v_add_f32_e32 v27, v40, v44
	v_cvt_f32_f16_e32 v40, v30
	v_lshrrev_b32_e32 v30, 16, v30
	s_delay_alu instid0(VALU_DEP_4) | instskip(SKIP_2) | instid1(VALU_DEP_4)
	v_dual_fmac_f32 v39, v19, v19 :: v_dual_add_f32 v28, v28, v29
	v_cvt_f32_f16_e32 v42, v32
	v_cvt_f32_f16_e32 v41, v41
	;; [unrolled: 1-line block ×3, first 2 shown]
	v_add_f32_e32 v29, v43, v40
	v_lshrrev_b32_e32 v40, 16, v32
	s_waitcnt vmcnt(3)
	v_cvt_f32_f16_e32 v32, v35
	v_lshrrev_b32_e32 v35, 16, v35
	v_dual_fmac_f32 v39, v20, v20 :: v_dual_add_f32 v30, v41, v30
	v_cvt_f32_f16_e32 v41, v33
	v_cvt_f32_f16_e32 v43, v31
	s_delay_alu instid0(VALU_DEP_4)
	v_cvt_f32_f16_e32 v35, v35
	v_lshrrev_b32_e32 v44, 16, v33
	v_cvt_f32_f16_e32 v33, v36
	v_lshrrev_b32_e32 v36, 16, v36
	v_fmac_f32_e32 v39, v21, v21
	v_dual_add_f32 v31, v45, v32 :: v_dual_add_f32 v32, v43, v35
	v_cvt_f32_f16_e32 v35, v40
	s_delay_alu instid0(VALU_DEP_4)
	v_cvt_f32_f16_e32 v36, v36
	v_add_f32_e32 v33, v42, v33
	v_cvt_f32_f16_e32 v42, v37
	v_lshrrev_b32_e32 v37, 16, v37
	v_fmac_f32_e32 v39, v22, v22
	v_cvt_f32_f16_e32 v43, v34
	v_lshrrev_b32_e32 v40, 16, v34
	v_add_f32_e32 v34, v35, v36
	v_cvt_f32_f16_e32 v36, v44
	v_lshrrev_b32_e32 v44, 16, v38
	v_cvt_f32_f16_e32 v37, v37
	v_add_f32_e32 v35, v41, v42
	v_cvt_f32_f16_e32 v38, v38
	v_cvt_f32_f16_e32 v40, v40
	v_cvt_f32_f16_e32 v41, v44
	v_dual_add_f32 v36, v36, v37 :: v_dual_fmac_f32 v39, v23, v23
	s_delay_alu instid0(VALU_DEP_4) | instskip(SKIP_1) | instid1(VALU_DEP_4)
	v_add_f32_e32 v37, v43, v38
	v_cvt_f16_f32_e32 v46, v27
	v_add_f32_e32 v38, v40, v41
	v_cvt_f16_f32_e32 v44, v16
	v_fmac_f32_e32 v39, v24, v24
	v_cvt_f16_f32_e32 v45, v17
	v_cvt_f16_f32_e32 v42, v19
	v_cvt_f16_f32_e32 v43, v21
	v_cvt_f16_f32_e32 v40, v15
	v_fmac_f32_e32 v39, v25, v25
	v_cvt_f16_f32_e32 v41, v18
	v_cvt_f16_f32_e32 v56, v20
	v_cvt_f16_f32_e32 v57, v22
	;; [unrolled: 5-line block ×5, first 2 shown]
	v_cvt_f16_f32_e32 v64, v36
	v_fmac_f32_e32 v39, v29, v29
	v_cvt_f16_f32_e32 v65, v38
	v_pack_b32_f16 v43, v43, v57
	v_pack_b32_f16 v42, v42, v56
	;; [unrolled: 1-line block ×3, first 2 shown]
	v_fmac_f32_e32 v39, v30, v30
	v_pack_b32_f16 v40, v44, v40
	v_pack_b32_f16 v47, v47, v60
	;; [unrolled: 1-line block ×4, first 2 shown]
	v_fmac_f32_e32 v39, v31, v31
	v_pack_b32_f16 v51, v51, v65
	v_pack_b32_f16 v50, v50, v64
	;; [unrolled: 1-line block ×4, first 2 shown]
	v_fmac_f32_e32 v39, v32, v32
	buffer_store_b128 v[40:43], v14, s[28:31], 0 offen glc slc
	;;#ASMSTART
	s_nop 0
	;;#ASMEND
	v_fmac_f32_e32 v39, v33, v33
	s_delay_alu instid0(VALU_DEP_1) | instskip(NEXT) | instid1(VALU_DEP_1)
	v_fmac_f32_e32 v39, v34, v34
	v_fmac_f32_e32 v39, v35, v35
	s_delay_alu instid0(VALU_DEP_1) | instskip(NEXT) | instid1(VALU_DEP_1)
	v_fmac_f32_e32 v39, v36, v36
	;; [unrolled: 3-line block ×3, first 2 shown]
	v_mov_b32_dpp v55, v39 quad_perm:[1,0,3,2] row_mask:0xf bank_mask:0xf
	s_delay_alu instid0(VALU_DEP_1) | instskip(SKIP_1) | instid1(VALU_DEP_2)
	v_add_f32_e32 v39, v39, v55
	v_cvt_f16_f32_e32 v55, v28
	v_mov_b32_dpp v63, v39 quad_perm:[2,3,0,1] row_mask:0xf bank_mask:0xf
	s_delay_alu instid0(VALU_DEP_2) | instskip(NEXT) | instid1(VALU_DEP_2)
	v_pack_b32_f16 v46, v46, v55
	v_add_f32_e32 v39, v39, v63
	buffer_store_b128 v[44:47], v14, s[28:31], s1 offen glc slc
	;;#ASMSTART
	s_nop 0
	;;#ASMEND
	buffer_store_b128 v[48:51], v14, s[28:31], s2 offen glc slc
	;;#ASMSTART
	s_nop 0
	;;#ASMEND
	v_mov_b32_dpp v55, v39 row_xmask:7 row_mask:0xf bank_mask:0xf
	s_delay_alu instid0(VALU_DEP_1) | instskip(NEXT) | instid1(VALU_DEP_1)
	v_add_f32_e32 v39, v39, v55
	v_mov_b32_dpp v40, v39 row_xmask:15 row_mask:0xf bank_mask:0xf
	s_and_saveexec_b32 s1, s0
	s_cbranch_execz .LBB17_3
; %bb.2:
	s_delay_alu instid0(VALU_DEP_1) | instskip(SKIP_2) | instid1(VALU_DEP_1)
	v_add_f32_e32 v14, v39, v40
	v_lshrrev_b32_e32 v39, 3, v0
	s_mov_b32 s2, 0x76543210
	v_and_b32_e32 v39, 0x7c, v39
	s_delay_alu instid0(VALU_DEP_3) | instskip(NEXT) | instid1(VALU_DEP_1)
	v_permlanex16_b32 v40, v14, s2, 0xfedcba98 op_sel:[1,1]
	v_add_f32_e32 v14, v14, v40
	ds_store_b32 v39, v14 offset:32
.LBB17_3:
	s_or_b32 exec_lo, exec_lo, s1
	v_and_b32_e32 v14, 7, v0
	s_waitcnt vmcnt(0) lgkmcnt(0)
	s_waitcnt_vscnt null, 0x0
	s_barrier
	buffer_gl0_inv
	v_cvt_f32_i32_e32 v41, s5
	v_lshlrev_b32_e32 v14, 2, v14
	v_cvt_f32_f16_e32 v48, v8
	v_lshrrev_b32_e32 v8, 16, v8
	v_cvt_f32_f16_e32 v49, v2
	v_lshrrev_b32_e32 v2, 16, v2
	ds_load_b32 v39, v14 offset:32
	v_cvt_f32_f16_e32 v51, v4
	v_lshrrev_b32_e32 v4, 16, v4
	v_cvt_f32_f16_e32 v8, v8
	v_cvt_f32_f16_e32 v2, v2
	;; [unrolled: 1-line block ×3, first 2 shown]
	v_lshrrev_b32_e32 v3, 16, v3
	v_cvt_f32_f16_e32 v4, v4
	v_cvt_f32_f16_e32 v46, v7
	v_lshrrev_b32_e32 v7, 16, v7
	s_cmp_lg_u32 s10, 0
	v_cvt_f32_f16_e32 v3, v3
	v_mov_b32_e32 v52, 0x2edbe6ff
	s_delay_alu instid0(VALU_DEP_3) | instskip(SKIP_2) | instid1(VALU_DEP_1)
	v_cvt_f32_f16_e32 v7, v7
	s_waitcnt lgkmcnt(0)
	v_mov_b32_dpp v40, v39 quad_perm:[1,0,3,2] row_mask:0xf bank_mask:0xf
	v_add_f32_e32 v39, v39, v40
	s_delay_alu instid0(VALU_DEP_1) | instskip(NEXT) | instid1(VALU_DEP_1)
	v_mov_b32_dpp v40, v39 quad_perm:[2,3,0,1] row_mask:0xf bank_mask:0xf
	v_add_f32_e32 v39, v39, v40
	s_delay_alu instid0(VALU_DEP_1) | instskip(NEXT) | instid1(VALU_DEP_1)
	v_mov_b32_dpp v40, v39 row_xmask:7 row_mask:0xf bank_mask:0xf
	v_add_f32_e32 v39, v39, v40
	s_delay_alu instid0(VALU_DEP_1) | instskip(SKIP_1) | instid1(VALU_DEP_2)
	v_div_scale_f32 v40, null, v41, v41, v39
	v_div_scale_f32 v44, vcc_lo, v39, v41, v39
	v_rcp_f32_e32 v42, v40
	s_waitcnt_depctr 0xfff
	v_fma_f32 v43, -v40, v42, 1.0
	s_delay_alu instid0(VALU_DEP_1) | instskip(NEXT) | instid1(VALU_DEP_1)
	v_fmac_f32_e32 v42, v43, v42
	v_mul_f32_e32 v43, v44, v42
	s_delay_alu instid0(VALU_DEP_1) | instskip(NEXT) | instid1(VALU_DEP_1)
	v_fma_f32 v45, -v40, v43, v44
	v_fmac_f32_e32 v43, v45, v42
	v_cvt_f32_f16_e32 v45, v6
	v_lshrrev_b32_e32 v6, 16, v6
	s_delay_alu instid0(VALU_DEP_3) | instskip(SKIP_2) | instid1(VALU_DEP_4)
	v_fma_f32 v40, -v40, v43, v44
	v_cvt_f32_f16_e32 v44, v5
	v_lshrrev_b32_e32 v5, 16, v5
	v_cvt_f32_f16_e32 v6, v6
	s_delay_alu instid0(VALU_DEP_4)
	v_div_fmas_f32 v40, v40, v42, v43
	v_cvt_f32_f16_e32 v43, v12
	v_lshrrev_b32_e32 v12, 16, v12
	v_cvt_f32_f16_e32 v42, v11
	v_lshrrev_b32_e32 v11, 16, v11
	v_div_fixup_f32 v39, v40, v41, v39
	v_cvt_f32_f16_e32 v41, v10
	v_cvt_f32_f16_e32 v12, v12
	;; [unrolled: 1-line block ×4, first 2 shown]
	v_cvt_f64_f32_e32 v[39:40], v39
	v_lshrrev_b32_e32 v10, 16, v10
	s_delay_alu instid0(VALU_DEP_1) | instskip(NEXT) | instid1(VALU_DEP_3)
	v_cvt_f32_f16_e32 v10, v10
	v_add_f64 v[39:40], v[39:40], s[24:25]
	s_delay_alu instid0(VALU_DEP_1) | instskip(SKIP_2) | instid1(VALU_DEP_1)
	v_cvt_f32_f64_e32 v39, v[39:40]
	v_cvt_f32_f16_e32 v40, v9
	v_lshrrev_b32_e32 v9, 16, v9
	v_cvt_f32_f16_e32 v9, v9
	s_delay_alu instid0(VALU_DEP_4) | instskip(SKIP_1) | instid1(VALU_DEP_2)
	v_mul_f32_e32 v47, 0x4b800000, v39
	v_cmp_gt_f32_e32 vcc_lo, 0x800000, v39
	v_cndmask_b32_e32 v39, v39, v47, vcc_lo
	v_cvt_f32_f16_e32 v47, v1
	v_lshrrev_b32_e32 v1, 16, v1
	s_delay_alu instid0(VALU_DEP_3) | instskip(NEXT) | instid1(VALU_DEP_1)
	v_rsq_f32_e32 v39, v39
	v_cvt_f32_f16_e32 v1, v1
	s_waitcnt_depctr 0xfff
	v_mul_f32_e32 v53, 0x45800000, v39
	s_delay_alu instid0(VALU_DEP_1) | instskip(NEXT) | instid1(VALU_DEP_1)
	v_cndmask_b32_e32 v39, v39, v53, vcc_lo
	v_mul_f32_e32 v20, v20, v39
	v_mul_f32_e32 v54, v24, v39
	s_delay_alu instid0(VALU_DEP_2)
	v_mul_f32_e32 v24, v20, v11
	v_mul_f32_e32 v30, v30, v39
	;; [unrolled: 1-line block ×10, first 2 shown]
	v_dual_mul_f32 v8, v34, v2 :: v_dual_mul_f32 v21, v21, v43
	v_mul_f32_e32 v38, v38, v39
	v_mul_f32_e32 v53, v23, v39
	v_dual_mul_f32 v23, v19, v42 :: v_dual_mul_f32 v18, v18, v39
	v_mul_f32_e32 v58, v28, v39
	s_delay_alu instid0(VALU_DEP_4) | instskip(NEXT) | instid1(VALU_DEP_4)
	v_mul_f32_e32 v4, v38, v4
	v_mul_f32_e32 v19, v53, v44
	v_dual_mul_f32 v15, v15, v39 :: v_dual_mul_f32 v20, v54, v5
	v_mul_f32_e32 v35, v35, v39
	v_dual_mul_f32 v5, v36, v3 :: v_dual_and_b32 v42, 0x7fffffff, v12
	s_delay_alu instid0(VALU_DEP_3) | instskip(NEXT) | instid1(VALU_DEP_4)
	v_mul_f32_e32 v28, v15, v9
	v_dual_mul_f32 v55, v25, v39 :: v_dual_and_b32 v36, 0x7fffffff, v20
	v_mul_f32_e32 v56, v26, v39
	v_mul_f32_e32 v17, v17, v39
	s_delay_alu instid0(VALU_DEP_4)
	v_dual_mul_f32 v57, v27, v39 :: v_dual_and_b32 v2, 0x7fffffff, v28
	v_dual_mul_f32 v33, v33, v39 :: v_dual_and_b32 v34, 0x7fffffff, v22
	v_mul_f32_e32 v32, v32, v39
	v_dual_mul_f32 v27, v16, v40 :: v_dual_mul_f32 v26, v18, v10
	v_dual_mul_f32 v29, v29, v39 :: v_dual_mul_f32 v18, v56, v6
	v_mul_f32_e32 v25, v17, v41
	v_mul_f32_e32 v31, v31, v39
	v_mul_f32_e32 v37, v37, v39
	v_mul_f32_e32 v15, v57, v46
	v_and_b32_e32 v38, 0x7fffffff, v18
	v_mul_f32_e32 v6, v35, v50
	v_dual_mul_f32 v17, v55, v45 :: v_dual_mul_f32 v16, v58, v7
	v_mul_f32_e32 v7, v33, v49
	v_mul_f32_e32 v9, v32, v1
	v_and_b32_e32 v1, 0x7fffffff, v27
	;;#ASMSTART
	v_max3_f32 v1, v52, v1, v2

	;;#ASMEND
	v_dual_mul_f32 v11, v29, v48 :: v_dual_and_b32 v30, 0x7fffffff, v26
	v_and_b32_e32 v29, 0x7fffffff, v25
	;;#ASMSTART
	v_max3_f32 v1, v1, v29, v30

	;;#ASMEND
	v_and_b32_e32 v32, 0x7fffffff, v24
	v_dual_mul_f32 v10, v31, v47 :: v_dual_and_b32 v47, 0x7fffffff, v6
	v_and_b32_e32 v31, 0x7fffffff, v23
	;;#ASMSTART
	v_max3_f32 v1, v1, v31, v32

	;;#ASMEND
	v_dual_mul_f32 v3, v37, v51 :: v_dual_and_b32 v44, 0x7fffffff, v9
	v_and_b32_e32 v37, 0x7fffffff, v17
	v_and_b32_e32 v40, 0x7fffffff, v16
	;; [unrolled: 1-line block ×3, first 2 shown]
	;;#ASMSTART
	v_max3_f32 v1, v1, v33, v34

	;;#ASMEND
	v_and_b32_e32 v35, 0x7fffffff, v19
	;;#ASMSTART
	v_max3_f32 v1, v1, v35, v36

	;;#ASMEND
	;;#ASMSTART
	v_max3_f32 v1, v1, v37, v38

	;;#ASMEND
	v_and_b32_e32 v39, 0x7fffffff, v15
	;;#ASMSTART
	v_max3_f32 v1, v1, v39, v40

	;;#ASMEND
	v_and_b32_e32 v41, 0x7fffffff, v11
	;; [unrolled: 5-line block ×4, first 2 shown]
	v_and_b32_e32 v46, 0x7fffffff, v8
	;;#ASMSTART
	v_max3_f32 v1, v1, v45, v46

	;;#ASMEND
	v_and_b32_e32 v48, 0x7fffffff, v5
	v_and_b32_e32 v49, 0x7fffffff, v3
	;; [unrolled: 1-line block ×3, first 2 shown]
	;;#ASMSTART
	v_max3_f32 v1, v1, v47, v48

	;;#ASMEND
	;;#ASMSTART
	v_max3_f32 v29, v1, v49, v50

	;;#ASMEND
	s_cbranch_scc0 .LBB17_10
; %bb.4:
	s_mul_hi_i32 s1, s10, 0x2aaaaaab
	s_delay_alu instid0(SALU_CYCLE_1) | instskip(SKIP_1) | instid1(SALU_CYCLE_1)
	s_lshr_b32 s2, s1, 31
	s_ashr_i32 s1, s1, 2
	s_add_i32 s1, s1, s2
	s_delay_alu instid0(SALU_CYCLE_1)
	s_cmp_lt_i32 s1, 8
	s_cbranch_scc1 .LBB17_11
; %bb.5:
	s_cmp_lt_i32 s1, 16
	s_cbranch_scc1 .LBB17_12
; %bb.6:
	;; [unrolled: 3-line block ×3, first 2 shown]
	v_mov_b32_e32 v1, v29
	s_cmp_eq_u32 s1, 32
	s_cbranch_scc0 .LBB17_9
; %bb.8:
	s_delay_alu instid0(VALU_DEP_1) | instskip(SKIP_1) | instid1(VALU_DEP_1)
	v_mov_b32_dpp v1, v29 quad_perm:[1,0,3,2] row_mask:0xf bank_mask:0xf
	s_mov_b32 s2, 0x76543210
	v_cmp_gt_f32_e32 vcc_lo, v29, v1
	v_cndmask_b32_e32 v1, v1, v29, vcc_lo
	s_delay_alu instid0(VALU_DEP_1) | instskip(NEXT) | instid1(VALU_DEP_1)
	v_mov_b32_dpp v2, v1 quad_perm:[2,3,0,1] row_mask:0xf bank_mask:0xf
	v_cmp_gt_f32_e32 vcc_lo, v1, v2
	v_cndmask_b32_e32 v1, v2, v1, vcc_lo
	s_delay_alu instid0(VALU_DEP_1) | instskip(NEXT) | instid1(VALU_DEP_1)
	v_mov_b32_dpp v2, v1 row_xmask:7 row_mask:0xf bank_mask:0xf
	v_cmp_gt_f32_e32 vcc_lo, v1, v2
	v_cndmask_b32_e32 v1, v2, v1, vcc_lo
	s_delay_alu instid0(VALU_DEP_1) | instskip(NEXT) | instid1(VALU_DEP_1)
	v_mov_b32_dpp v2, v1 row_xmask:15 row_mask:0xf bank_mask:0xf
	v_cmp_gt_f32_e32 vcc_lo, v1, v2
	v_cndmask_b32_e32 v1, v2, v1, vcc_lo
	s_delay_alu instid0(VALU_DEP_1) | instskip(NEXT) | instid1(VALU_DEP_1)
	v_permlanex16_b32 v2, v1, s2, 0xfedcba98 op_sel:[1,1]
	v_cmp_gt_f32_e32 vcc_lo, v1, v2
	v_cndmask_b32_e32 v1, v2, v1, vcc_lo
.LBB17_9:
	s_mov_b32 s2, 0
	s_branch .LBB17_14
.LBB17_10:
	s_mov_b32 s1, 0
                                        ; implicit-def: $vgpr30
                                        ; implicit-def: $vgpr1_vgpr2
	s_and_b32 vcc_lo, exec_lo, s31
	s_cbranch_vccnz .LBB17_38
	s_branch .LBB17_41
.LBB17_11:
                                        ; implicit-def: $vgpr1
	s_branch .LBB17_21
.LBB17_12:
                                        ; implicit-def: $vgpr1
	s_branch .LBB17_18
.LBB17_13:
	s_mov_b32 s2, -1
                                        ; implicit-def: $vgpr1
.LBB17_14:
	s_delay_alu instid0(SALU_CYCLE_1)
	s_and_not1_b32 vcc_lo, exec_lo, s2
	s_cbranch_vccnz .LBB17_17
; %bb.15:
	v_mov_b32_e32 v1, v29
	s_cmp_eq_u32 s1, 16
	s_cbranch_scc0 .LBB17_17
; %bb.16:
	s_delay_alu instid0(VALU_DEP_1) | instskip(NEXT) | instid1(VALU_DEP_1)
	v_mov_b32_dpp v1, v29 quad_perm:[1,0,3,2] row_mask:0xf bank_mask:0xf
	v_cmp_gt_f32_e32 vcc_lo, v29, v1
	v_cndmask_b32_e32 v1, v1, v29, vcc_lo
	s_delay_alu instid0(VALU_DEP_1) | instskip(NEXT) | instid1(VALU_DEP_1)
	v_mov_b32_dpp v2, v1 quad_perm:[2,3,0,1] row_mask:0xf bank_mask:0xf
	v_cmp_gt_f32_e32 vcc_lo, v1, v2
	v_cndmask_b32_e32 v1, v2, v1, vcc_lo
	s_delay_alu instid0(VALU_DEP_1) | instskip(NEXT) | instid1(VALU_DEP_1)
	v_mov_b32_dpp v2, v1 row_half_mirror row_mask:0xf bank_mask:0xf
	v_cmp_gt_f32_e32 vcc_lo, v1, v2
	v_cndmask_b32_e32 v1, v2, v1, vcc_lo
	s_delay_alu instid0(VALU_DEP_1) | instskip(NEXT) | instid1(VALU_DEP_1)
	v_mov_b32_dpp v2, v1 row_mirror row_mask:0xf bank_mask:0xf
	v_cmp_gt_f32_e32 vcc_lo, v1, v2
	v_cndmask_b32_e32 v1, v2, v1, vcc_lo
.LBB17_17:
	s_cbranch_execnz .LBB17_20
.LBB17_18:
	v_mov_b32_e32 v1, v29
	s_cmp_eq_u32 s1, 8
	s_cbranch_scc0 .LBB17_20
; %bb.19:
	s_delay_alu instid0(VALU_DEP_1) | instskip(NEXT) | instid1(VALU_DEP_1)
	v_mov_b32_dpp v1, v29 quad_perm:[1,0,3,2] row_mask:0xf bank_mask:0xf
	v_cmp_gt_f32_e32 vcc_lo, v29, v1
	v_cndmask_b32_e32 v1, v1, v29, vcc_lo
	s_delay_alu instid0(VALU_DEP_1) | instskip(NEXT) | instid1(VALU_DEP_1)
	v_mov_b32_dpp v2, v1 quad_perm:[2,3,0,1] row_mask:0xf bank_mask:0xf
	v_cmp_gt_f32_e32 vcc_lo, v1, v2
	v_cndmask_b32_e32 v1, v2, v1, vcc_lo
	s_delay_alu instid0(VALU_DEP_1) | instskip(NEXT) | instid1(VALU_DEP_1)
	v_mov_b32_dpp v2, v1 row_half_mirror row_mask:0xf bank_mask:0xf
	v_cmp_gt_f32_e32 vcc_lo, v1, v2
	v_cndmask_b32_e32 v1, v2, v1, vcc_lo
.LBB17_20:
	s_cbranch_execnz .LBB17_28
.LBB17_21:
	s_cmp_lt_i32 s1, 4
	s_cbranch_scc1 .LBB17_24
; %bb.22:
	v_mov_b32_e32 v1, v29
	s_cmp_eq_u32 s1, 4
	s_cbranch_scc0 .LBB17_25
; %bb.23:
	s_delay_alu instid0(VALU_DEP_1) | instskip(NEXT) | instid1(VALU_DEP_1)
	v_mov_b32_dpp v1, v29 quad_perm:[1,0,3,2] row_mask:0xf bank_mask:0xf
	v_cmp_gt_f32_e32 vcc_lo, v29, v1
	v_cndmask_b32_e32 v1, v1, v29, vcc_lo
	s_delay_alu instid0(VALU_DEP_1) | instskip(NEXT) | instid1(VALU_DEP_1)
	v_mov_b32_dpp v2, v1 quad_perm:[2,3,0,1] row_mask:0xf bank_mask:0xf
	v_cmp_gt_f32_e32 vcc_lo, v1, v2
	v_cndmask_b32_e32 v1, v2, v1, vcc_lo
	s_cbranch_execz .LBB17_26
	s_branch .LBB17_28
.LBB17_24:
                                        ; implicit-def: $vgpr1
	s_branch .LBB17_26
.LBB17_25:
	s_cbranch_execnz .LBB17_28
.LBB17_26:
	v_mov_b32_e32 v1, v29
	s_cmp_lg_u32 s1, 2
	s_cbranch_scc1 .LBB17_28
; %bb.27:
	s_delay_alu instid0(VALU_DEP_1) | instskip(NEXT) | instid1(VALU_DEP_1)
	v_mov_b32_dpp v1, v29 quad_perm:[1,0,3,2] row_mask:0xf bank_mask:0xf
	v_cmp_gt_f32_e32 vcc_lo, v29, v1
	v_cndmask_b32_e32 v1, v1, v29, vcc_lo
.LBB17_28:
	v_cvt_f32_u32_e32 v2, s1
	s_sub_i32 s2, 0, s1
	s_mov_b32 s31, 0
	s_delay_alu instid0(VALU_DEP_1) | instskip(SKIP_2) | instid1(VALU_DEP_1)
	v_rcp_iflag_f32_e32 v2, v2
	s_waitcnt_depctr 0xfff
	v_mul_f32_e32 v2, 0x4f7ffffe, v2
	v_cvt_u32_f32_e32 v2, v2
	s_delay_alu instid0(VALU_DEP_1) | instskip(NEXT) | instid1(VALU_DEP_1)
	v_mul_lo_u32 v30, s2, v2
	v_mul_hi_u32 v30, v2, v30
	s_delay_alu instid0(VALU_DEP_1) | instskip(NEXT) | instid1(VALU_DEP_1)
	v_add_nc_u32_e32 v2, v2, v30
	v_mul_hi_u32 v2, v0, v2
	s_delay_alu instid0(VALU_DEP_1) | instskip(NEXT) | instid1(VALU_DEP_1)
	v_mul_lo_u32 v30, v2, s1
	v_sub_nc_u32_e32 v30, v0, v30
	s_delay_alu instid0(VALU_DEP_1) | instskip(SKIP_1) | instid1(VALU_DEP_2)
	v_subrev_nc_u32_e32 v32, s1, v30
	v_cmp_le_u32_e32 vcc_lo, s1, v30
	v_dual_cndmask_b32 v30, v30, v32 :: v_dual_add_nc_u32 v31, 1, v2
	s_delay_alu instid0(VALU_DEP_1) | instskip(NEXT) | instid1(VALU_DEP_2)
	v_cndmask_b32_e32 v2, v2, v31, vcc_lo
	v_cmp_le_u32_e32 vcc_lo, s1, v30
	s_delay_alu instid0(VALU_DEP_2) | instskip(SKIP_1) | instid1(VALU_DEP_2)
	v_add_nc_u32_e32 v31, 1, v2
	v_mul_u32_u24_e32 v30, 24, v0
	v_cndmask_b32_e32 v31, v2, v31, vcc_lo
	s_delay_alu instid0(VALU_DEP_2) | instskip(SKIP_1) | instid1(VALU_DEP_3)
	v_cmp_gt_u32_e32 vcc_lo, s5, v30
	v_mul_f32_e32 v30, 0x3b124925, v1
	v_mul_lo_u32 v2, v31, s1
	s_delay_alu instid0(VALU_DEP_1) | instskip(NEXT) | instid1(VALU_DEP_1)
	v_sub_nc_u32_e32 v2, v0, v2
	v_cmp_eq_u32_e64 s1, 0, v2
                                        ; implicit-def: $vgpr1_vgpr2
	s_delay_alu instid0(VALU_DEP_1) | instskip(SKIP_2) | instid1(SALU_CYCLE_1)
	s_and_b32 s2, s1, vcc_lo
	s_mov_b32 s1, 0
	s_and_saveexec_b32 s3, s2
	s_xor_b32 s8, exec_lo, s3
	s_cbranch_execz .LBB17_37
; %bb.29:
	s_bitcmp0_b32 s11, 0
	s_mov_b32 s6, 0
	s_cbranch_scc0 .LBB17_34
; %bb.30:
	s_ashr_i32 s1, s5, 31
	s_mul_hi_u32 s3, s5, s34
	s_mul_i32 s1, s1, s34
	s_mul_i32 s2, s5, s34
	s_add_i32 s3, s3, s1
	s_ashr_i32 s11, s10, 31
	s_delay_alu instid0(SALU_CYCLE_1) | instskip(NEXT) | instid1(SALU_CYCLE_1)
	s_or_b64 s[14:15], s[2:3], s[10:11]
	s_mov_b32 s7, s15
	s_delay_alu instid0(SALU_CYCLE_1)
	s_cmp_lg_u64 s[6:7], 0
	s_cbranch_scc0 .LBB17_45
; %bb.31:
	s_add_u32 s14, s10, s11
	s_mov_b32 s6, s11
	s_mov_b32 s7, s11
	s_addc_u32 s15, s11, s11
	s_delay_alu instid0(SALU_CYCLE_1) | instskip(NEXT) | instid1(SALU_CYCLE_1)
	s_xor_b64 s[14:15], s[14:15], s[6:7]
	v_cvt_f32_u32_e32 v1, s14
	v_cvt_f32_u32_e32 v2, s15
	s_sub_u32 s18, 0, s14
	s_subb_u32 s19, 0, s15
	s_delay_alu instid0(VALU_DEP_1) | instskip(NEXT) | instid1(VALU_DEP_1)
	v_fmamk_f32 v1, v2, 0x4f800000, v1
	v_rcp_f32_e32 v1, v1
	s_waitcnt_depctr 0xfff
	v_mul_f32_e32 v1, 0x5f7ffffc, v1
	s_delay_alu instid0(VALU_DEP_1) | instskip(NEXT) | instid1(VALU_DEP_1)
	v_mul_f32_e32 v2, 0x2f800000, v1
	v_trunc_f32_e32 v2, v2
	s_delay_alu instid0(VALU_DEP_1) | instskip(SKIP_1) | instid1(VALU_DEP_2)
	v_fmamk_f32 v1, v2, 0xcf800000, v1
	v_cvt_u32_f32_e32 v2, v2
	v_cvt_u32_f32_e32 v1, v1
	s_delay_alu instid0(VALU_DEP_2) | instskip(NEXT) | instid1(VALU_DEP_2)
	v_readfirstlane_b32 s1, v2
	v_readfirstlane_b32 s11, v1
	s_delay_alu instid0(VALU_DEP_2) | instskip(NEXT) | instid1(VALU_DEP_1)
	s_mul_i32 s20, s18, s1
	s_mul_hi_u32 s22, s18, s11
	s_mul_i32 s21, s19, s11
	s_add_i32 s20, s22, s20
	s_mul_i32 s23, s18, s11
	s_add_i32 s20, s20, s21
	s_mul_hi_u32 s22, s11, s23
	s_mul_hi_u32 s24, s1, s23
	s_mul_i32 s21, s1, s23
	s_mul_hi_u32 s23, s11, s20
	s_mul_i32 s11, s11, s20
	s_mul_hi_u32 s25, s1, s20
	s_add_u32 s11, s22, s11
	s_addc_u32 s22, 0, s23
	s_add_u32 s11, s11, s21
	s_mul_i32 s20, s1, s20
	s_addc_u32 s11, s22, s24
	s_addc_u32 s21, s25, 0
	s_add_u32 s11, s11, s20
	s_addc_u32 s20, 0, s21
	v_add_co_u32 v1, s11, v1, s11
	s_delay_alu instid0(VALU_DEP_1) | instskip(SKIP_1) | instid1(VALU_DEP_1)
	s_cmp_lg_u32 s11, 0
	s_addc_u32 s1, s1, s20
	v_readfirstlane_b32 s11, v1
	s_mul_i32 s20, s18, s1
	s_delay_alu instid0(VALU_DEP_1)
	s_mul_hi_u32 s21, s18, s11
	s_mul_i32 s19, s19, s11
	s_add_i32 s20, s21, s20
	s_mul_i32 s18, s18, s11
	s_add_i32 s20, s20, s19
	s_mul_hi_u32 s21, s1, s18
	s_mul_i32 s22, s1, s18
	s_mul_hi_u32 s18, s11, s18
	s_mul_hi_u32 s23, s11, s20
	s_mul_i32 s11, s11, s20
	s_mul_hi_u32 s19, s1, s20
	s_add_u32 s11, s18, s11
	s_addc_u32 s18, 0, s23
	s_add_u32 s11, s11, s22
	s_mul_i32 s20, s1, s20
	s_addc_u32 s11, s18, s21
	s_addc_u32 s18, s19, 0
	s_add_u32 s11, s11, s20
	s_addc_u32 s18, 0, s18
	v_add_co_u32 v1, s11, v1, s11
	s_delay_alu instid0(VALU_DEP_1) | instskip(SKIP_2) | instid1(SALU_CYCLE_1)
	s_cmp_lg_u32 s11, 0
	s_addc_u32 s1, s1, s18
	s_ashr_i32 s18, s3, 31
	s_add_u32 s20, s2, s18
	s_addc_u32 s21, s3, s18
	v_readfirstlane_b32 s3, v1
	s_mov_b32 s19, s18
	s_delay_alu instid0(SALU_CYCLE_1) | instskip(NEXT) | instid1(SALU_CYCLE_1)
	s_xor_b64 s[20:21], s[20:21], s[18:19]
	s_mul_i32 s22, s20, s1
	s_delay_alu instid0(VALU_DEP_1)
	s_mul_hi_u32 s23, s20, s3
	s_mul_hi_u32 s11, s20, s1
	;; [unrolled: 1-line block ×3, first 2 shown]
	s_mul_i32 s3, s21, s3
	s_add_u32 s22, s23, s22
	s_addc_u32 s11, 0, s11
	s_mul_hi_u32 s24, s21, s1
	s_add_u32 s3, s22, s3
	s_mul_i32 s1, s21, s1
	s_addc_u32 s3, s11, s25
	s_addc_u32 s11, s24, 0
	s_add_u32 s3, s3, s1
	s_addc_u32 s11, 0, s11
	s_mul_i32 s24, s14, s3
	s_mul_hi_u32 s1, s14, s3
	s_mul_i32 s23, s14, s11
	v_sub_co_u32 v1, s20, s20, s24
	s_mul_i32 s22, s15, s3
	s_add_i32 s1, s1, s23
	s_delay_alu instid0(SALU_CYCLE_1) | instskip(NEXT) | instid1(VALU_DEP_1)
	s_add_i32 s1, s1, s22
	v_sub_co_u32 v2, s23, v1, s14
	s_sub_i32 s22, s21, s1
	s_cmp_lg_u32 s20, 0
	s_subb_u32 s22, s22, s15
	s_cmp_lg_u32 s23, 0
	v_cmp_le_u32_e32 vcc_lo, s14, v2
	s_subb_u32 s22, s22, 0
	s_delay_alu instid0(SALU_CYCLE_1)
	s_cmp_ge_u32 s22, s15
	v_cndmask_b32_e64 v2, 0, -1, vcc_lo
	s_cselect_b32 s23, -1, 0
	s_cmp_eq_u32 s22, s15
	s_cselect_b32 vcc_lo, -1, 0
	s_add_u32 s22, s3, 1
	v_cndmask_b32_e32 v2, s23, v2, vcc_lo
	s_addc_u32 s23, s11, 0
	s_add_u32 s24, s3, 2
	s_addc_u32 s25, s11, 0
	s_cmp_lg_u32 s20, 0
	v_cmp_le_u32_e32 vcc_lo, s14, v1
	s_subb_u32 s1, s21, s1
	v_mov_b32_e32 v32, s24
	s_cmp_ge_u32 s1, s15
	v_cndmask_b32_e64 v1, 0, -1, vcc_lo
	s_cselect_b32 s14, -1, 0
	s_cmp_eq_u32 s1, s15
	v_cmp_ne_u32_e32 vcc_lo, 0, v2
	v_mov_b32_e32 v2, s25
	s_cselect_b32 s1, -1, 0
	s_xor_b64 s[6:7], s[18:19], s[6:7]
	v_cndmask_b32_e64 v1, s14, v1, s1
	v_cndmask_b32_e32 v32, s22, v32, vcc_lo
	v_cndmask_b32_e32 v2, s23, v2, vcc_lo
	s_delay_alu instid0(VALU_DEP_3) | instskip(NEXT) | instid1(VALU_DEP_2)
	v_cmp_ne_u32_e32 vcc_lo, 0, v1
	v_cndmask_b32_e32 v1, s11, v2, vcc_lo
	s_delay_alu instid0(VALU_DEP_4) | instskip(NEXT) | instid1(VALU_DEP_2)
	v_cndmask_b32_e32 v2, s3, v32, vcc_lo
	v_xor_b32_e32 v32, s7, v1
	s_delay_alu instid0(VALU_DEP_2) | instskip(NEXT) | instid1(VALU_DEP_1)
	v_xor_b32_e32 v2, s6, v2
	v_sub_co_u32 v1, vcc_lo, v2, s6
	s_delay_alu instid0(VALU_DEP_3)
	v_subrev_co_ci_u32_e32 v2, vcc_lo, s7, v32, vcc_lo
	s_cbranch_execnz .LBB17_33
.LBB17_32:
	v_cvt_f32_u32_e32 v1, s10
	s_sub_i32 s3, 0, s10
	s_delay_alu instid0(VALU_DEP_1) | instskip(SKIP_2) | instid1(VALU_DEP_1)
	v_rcp_iflag_f32_e32 v1, v1
	s_waitcnt_depctr 0xfff
	v_mul_f32_e32 v1, 0x4f7ffffe, v1
	v_cvt_u32_f32_e32 v1, v1
	s_delay_alu instid0(VALU_DEP_1) | instskip(NEXT) | instid1(VALU_DEP_1)
	v_readfirstlane_b32 s1, v1
	s_mul_i32 s3, s3, s1
	s_delay_alu instid0(SALU_CYCLE_1) | instskip(NEXT) | instid1(SALU_CYCLE_1)
	s_mul_hi_u32 s3, s1, s3
	s_add_i32 s1, s1, s3
	s_delay_alu instid0(SALU_CYCLE_1) | instskip(NEXT) | instid1(SALU_CYCLE_1)
	s_mul_hi_u32 s1, s2, s1
	s_mul_i32 s3, s1, s10
	s_delay_alu instid0(SALU_CYCLE_1)
	s_sub_i32 s2, s2, s3
	s_add_i32 s3, s1, 1
	s_sub_i32 s6, s2, s10
	s_cmp_ge_u32 s2, s10
	s_cselect_b32 s1, s3, s1
	s_cselect_b32 s2, s6, s2
	s_add_i32 s6, s1, 1
	s_cmp_ge_u32 s2, s10
	s_mov_b32 s3, 0
	s_cselect_b32 s2, s6, s1
	s_delay_alu instid0(SALU_CYCLE_1)
	v_dual_mov_b32 v1, s2 :: v_dual_mov_b32 v2, s3
.LBB17_33:
	s_delay_alu instid0(VALU_DEP_1) | instskip(NEXT) | instid1(VALU_DEP_2)
	v_add_co_u32 v1, vcc_lo, v1, v31
	v_add_co_ci_u32_e32 v2, vcc_lo, 0, v2, vcc_lo
	s_branch .LBB17_36
.LBB17_34:
                                        ; implicit-def: $vgpr1_vgpr2
	s_cbranch_execz .LBB17_36
; %bb.35:
	v_mul_lo_u32 v1, v31, s4
	s_delay_alu instid0(VALU_DEP_1) | instskip(SKIP_1) | instid1(VALU_DEP_2)
	v_ashrrev_i32_e32 v2, 31, v1
	v_add_co_u32 v1, vcc_lo, v1, s34
	v_add_co_ci_u32_e32 v2, vcc_lo, 0, v2, vcc_lo
.LBB17_36:
	s_mov_b32 s1, exec_lo
.LBB17_37:
	s_or_b32 exec_lo, exec_lo, s8
	s_delay_alu instid0(SALU_CYCLE_1)
	s_and_b32 vcc_lo, exec_lo, s31
	s_cbranch_vccz .LBB17_41
.LBB17_38:
	v_mov_b32_dpp v1, v29 quad_perm:[1,0,3,2] row_mask:0xf bank_mask:0xf
	s_delay_alu instid0(VALU_DEP_1) | instskip(SKIP_1) | instid1(VALU_DEP_1)
	v_cmp_gt_f32_e32 vcc_lo, v29, v1
	v_cndmask_b32_e32 v1, v1, v29, vcc_lo
	v_mov_b32_dpp v2, v1 quad_perm:[2,3,0,1] row_mask:0xf bank_mask:0xf
	s_delay_alu instid0(VALU_DEP_1) | instskip(SKIP_1) | instid1(VALU_DEP_1)
	v_cmp_gt_f32_e32 vcc_lo, v1, v2
	v_cndmask_b32_e32 v1, v2, v1, vcc_lo
	v_mov_b32_dpp v2, v1 row_xmask:7 row_mask:0xf bank_mask:0xf
	s_delay_alu instid0(VALU_DEP_1) | instskip(SKIP_1) | instid1(VALU_DEP_1)
	v_cmp_gt_f32_e32 vcc_lo, v1, v2
	v_cndmask_b32_e32 v1, v2, v1, vcc_lo
	v_mov_b32_dpp v2, v1 row_xmask:15 row_mask:0xf bank_mask:0xf
	s_delay_alu instid0(VALU_DEP_1)
	v_cmp_gt_f32_e32 vcc_lo, v1, v2
	s_and_saveexec_b32 s1, s0
	s_cbranch_execz .LBB17_40
; %bb.39:
	v_cndmask_b32_e32 v1, v2, v1, vcc_lo
	v_lshrrev_b32_e32 v2, 3, v0
	s_mov_b32 s0, 0x76543210
	s_delay_alu instid0(VALU_DEP_1) | instskip(NEXT) | instid1(VALU_DEP_3)
	v_and_b32_e32 v2, 0x7c, v2
	v_permlanex16_b32 v29, v1, s0, 0xfedcba98 op_sel:[1,1]
	s_delay_alu instid0(VALU_DEP_1)
	v_cmp_gt_f32_e32 vcc_lo, v1, v29
	v_cndmask_b32_e32 v1, v29, v1, vcc_lo
	ds_store_b32 v2, v1
.LBB17_40:
	s_or_b32 exec_lo, exec_lo, s1
	s_waitcnt lgkmcnt(0)
	s_barrier
	buffer_gl0_inv
	ds_load_b32 v1, v14
	v_cmp_eq_u32_e64 s1, 0, v0
	s_waitcnt lgkmcnt(0)
	v_mov_b32_dpp v2, v1 quad_perm:[1,0,3,2] row_mask:0xf bank_mask:0xf
	s_delay_alu instid0(VALU_DEP_1) | instskip(SKIP_1) | instid1(VALU_DEP_1)
	v_cmp_gt_f32_e32 vcc_lo, v1, v2
	v_cndmask_b32_e32 v1, v2, v1, vcc_lo
	v_mov_b32_dpp v2, v1 quad_perm:[2,3,0,1] row_mask:0xf bank_mask:0xf
	s_delay_alu instid0(VALU_DEP_1) | instskip(SKIP_1) | instid1(VALU_DEP_1)
	v_cmp_gt_f32_e32 vcc_lo, v1, v2
	v_cndmask_b32_e32 v1, v2, v1, vcc_lo
	v_mov_b32_dpp v2, v1 row_xmask:7 row_mask:0xf bank_mask:0xf
	s_delay_alu instid0(VALU_DEP_1) | instskip(SKIP_1) | instid1(VALU_DEP_1)
	v_cmp_gt_f32_e32 vcc_lo, v1, v2
	v_cndmask_b32_e32 v1, v2, v1, vcc_lo
	v_dual_mul_f32 v30, 0x3b124925, v1 :: v_dual_mov_b32 v1, s34
	v_mov_b32_e32 v2, s35
.LBB17_41:
	s_and_saveexec_b32 s0, s1
	s_cbranch_execz .LBB17_43
; %bb.42:
	s_delay_alu instid0(VALU_DEP_1) | instskip(NEXT) | instid1(VALU_DEP_1)
	v_lshlrev_b64 v[0:1], 2, v[1:2]
	v_add_co_u32 v0, vcc_lo, s16, v0
	s_delay_alu instid0(VALU_DEP_2)
	v_add_co_ci_u32_e32 v1, vcc_lo, s17, v1, vcc_lo
	global_store_b32 v[0:1], v30, off
.LBB17_43:
	s_or_b32 exec_lo, exec_lo, s0
	;;#ASMSTART
	v_rcp_f32 v2, v30
	;;#ASMEND
	v_dual_mul_f32 v0, v27, v2 :: v_dual_mov_b32 v27, 0x43e00000
	v_dual_mul_f32 v1, v28, v2 :: v_dual_mov_b32 v14, 0xc3e00000
	v_mul_f32_e32 v25, v25, v2
	v_mul_f32_e32 v26, v26, v2
	;;#ASMSTART
	v_med3_f32 v0, v0, v14, v27
v_med3_f32 v1, v1, v14, v27
v_cvt_pk_fp8_f32 v28, v0, v1
	;;#ASMEND
	;;#ASMSTART
	v_med3_f32 v25, v25, v14, v27
v_med3_f32 v26, v26, v14, v27
v_cvt_pk_fp8_f32 v0, v25, v26
	;;#ASMEND
	v_perm_b32 v1, v0, v28, 0x5040100
	v_and_b32_e32 v0, 0xffffff00, v0
	s_add_i32 s0, s5, 3
	v_mul_f32_e32 v24, v24, v2
	s_ashr_i32 s1, s0, 31
	v_lshrrev_b32_e32 v25, 16, v1
	s_lshr_b32 s1, s1, 30
	v_mul_f32_e32 v21, v21, v2
	v_mul_f32_e32 v22, v22, v2
	s_add_i32 s0, s0, s1
	v_and_b32_e32 v25, 0xff, v25
	s_ashr_i32 s1, s9, 31
	s_mul_hi_u32 s3, s9, s34
	s_mul_i32 s1, s1, s34
	s_and_b32 s2, s0, -4
	v_or_b32_e32 v0, v25, v0
	v_mul_f32_e32 v23, v23, v2
	s_mul_i32 s0, s9, s34
	s_add_i32 s3, s3, s1
	s_add_u32 s0, s12, s0
	v_lshlrev_b32_e32 v0, 16, v0
	;;#ASMSTART
	v_med3_f32 v23, v23, v14, v27
v_med3_f32 v24, v24, v14, v27
v_cvt_pk_fp8_f32 v25, v23, v24
	;;#ASMEND
	;;#ASMSTART
	v_med3_f32 v21, v21, v14, v27
v_med3_f32 v22, v22, v14, v27
v_cvt_pk_fp8_f32 v23, v21, v22
	;;#ASMEND
	v_lshlrev_b32_e32 v21, 16, v23
	s_addc_u32 s1, s13, s3
	v_and_or_b32 v0, 0xffff, v1, v0
	s_and_b32 s1, s1, 0xffff
	s_mov_b32 s3, -1
	v_and_or_b32 v1, 0xffff, v25, v21
	v_mul_f32_e32 v19, v19, v2
	v_mul_f32_e32 v20, v20, v2
	v_mul_f32_e32 v17, v17, v2
	v_mul_f32_e32 v18, v18, v2
	buffer_store_b64 v[0:1], v13, s[0:3], 0 offen
	;;#ASMSTART
	s_nop 0
	;;#ASMEND
	;;#ASMSTART
	v_med3_f32 v19, v19, v14, v27
v_med3_f32 v20, v20, v14, v27
v_cvt_pk_fp8_f32 v0, v19, v20
	;;#ASMEND
	;;#ASMSTART
	v_med3_f32 v17, v17, v14, v27
v_med3_f32 v18, v18, v14, v27
v_cvt_pk_fp8_f32 v1, v17, v18
	;;#ASMEND
	v_perm_b32 v0, v1, v0, 0x5040100
	v_and_b32_e32 v1, 0xffffff00, v1
	v_mul_f32_e32 v15, v15, v2
	v_mul_f32_e32 v16, v16, v2
	v_mul_f32_e32 v11, v11, v2
	v_lshrrev_b32_e32 v17, 16, v0
	v_mul_f32_e32 v12, v12, v2
	s_movk_i32 s4, 0x100
	v_mul_f32_e32 v10, v10, v2
	v_mul_f32_e32 v9, v9, v2
	v_and_b32_e32 v17, 0xff, v17
	v_mul_f32_e32 v7, v7, v2
	v_mul_f32_e32 v8, v8, v2
	;; [unrolled: 1-line block ×4, first 2 shown]
	v_or_b32_e32 v1, v17, v1
	;;#ASMSTART
	v_med3_f32 v15, v15, v14, v27
v_med3_f32 v16, v16, v14, v27
v_cvt_pk_fp8_f32 v17, v15, v16
	;;#ASMEND
	;;#ASMSTART
	v_med3_f32 v11, v11, v14, v27
v_med3_f32 v12, v12, v14, v27
v_cvt_pk_fp8_f32 v15, v11, v12
	;;#ASMEND
	v_lshlrev_b32_e32 v11, 16, v15
	s_delay_alu instid0(VALU_DEP_2) | instskip(SKIP_1) | instid1(VALU_DEP_3)
	v_dual_mul_f32 v3, v3, v2 :: v_dual_lshlrev_b32 v12, 16, v1
	v_mul_f32_e32 v2, v4, v2
	v_and_or_b32 v1, 0xffff, v17, v11
	s_delay_alu instid0(VALU_DEP_3)
	v_and_or_b32 v0, 0xffff, v0, v12
	buffer_store_b64 v[0:1], v13, s[0:3], s4 offen
	;;#ASMSTART
	s_nop 0
	;;#ASMEND
	;;#ASMSTART
	v_med3_f32 v10, v10, v14, v27
v_med3_f32 v9, v9, v14, v27
v_cvt_pk_fp8_f32 v0, v10, v9
	;;#ASMEND
	;;#ASMSTART
	v_med3_f32 v7, v7, v14, v27
v_med3_f32 v8, v8, v14, v27
v_cvt_pk_fp8_f32 v1, v7, v8
	;;#ASMEND
	v_perm_b32 v0, v1, v0, 0x5040100
	v_and_b32_e32 v1, 0xffffff00, v1
	;;#ASMSTART
	v_med3_f32 v6, v6, v14, v27
v_med3_f32 v5, v5, v14, v27
v_cvt_pk_fp8_f32 v4, v6, v5
	;;#ASMEND
	;;#ASMSTART
	v_med3_f32 v3, v3, v14, v27
v_med3_f32 v2, v2, v14, v27
v_cvt_pk_fp8_f32 v5, v3, v2
	;;#ASMEND
	v_lshlrev_b32_e32 v2, 16, v5
	v_lshrrev_b32_e32 v7, 16, v0
	s_movk_i32 s4, 0x200
	s_delay_alu instid0(VALU_DEP_1) | instskip(NEXT) | instid1(VALU_DEP_1)
	v_and_b32_e32 v7, 0xff, v7
	v_or_b32_e32 v1, v7, v1
	s_delay_alu instid0(VALU_DEP_1) | instskip(SKIP_1) | instid1(VALU_DEP_2)
	v_lshlrev_b32_e32 v3, 16, v1
	v_and_or_b32 v1, 0xffff, v4, v2
	v_and_or_b32 v0, 0xffff, v0, v3
	buffer_store_b64 v[0:1], v13, s[0:3], s4 offen
	;;#ASMSTART
	s_nop 0
	;;#ASMEND
.LBB17_44:
	s_nop 0
	s_sendmsg sendmsg(MSG_DEALLOC_VGPRS)
	s_endpgm
.LBB17_45:
                                        ; implicit-def: $vgpr1_vgpr2
	s_branch .LBB17_32
	.section	.rodata,"a",@progbits
	.p2align	6, 0x0
	.amdhsa_kernel _ZN5aiter24add_rmsnorm_quant_kernelIDF16_DB8_Li256ELi24ELb1ELb1ELb1ELi1EEEvPT0_PT_PfS5_S5_S5_diiiiiiib
		.amdhsa_group_segment_fixed_size 64
		.amdhsa_private_segment_fixed_size 0
		.amdhsa_kernarg_size 88
		.amdhsa_user_sgpr_count 15
		.amdhsa_user_sgpr_dispatch_ptr 0
		.amdhsa_user_sgpr_queue_ptr 0
		.amdhsa_user_sgpr_kernarg_segment_ptr 1
		.amdhsa_user_sgpr_dispatch_id 0
		.amdhsa_user_sgpr_private_segment_size 0
		.amdhsa_wavefront_size32 1
		.amdhsa_uses_dynamic_stack 0
		.amdhsa_enable_private_segment 0
		.amdhsa_system_sgpr_workgroup_id_x 1
		.amdhsa_system_sgpr_workgroup_id_y 0
		.amdhsa_system_sgpr_workgroup_id_z 0
		.amdhsa_system_sgpr_workgroup_info 0
		.amdhsa_system_vgpr_workitem_id 0
		.amdhsa_next_free_vgpr 66
		.amdhsa_next_free_sgpr 40
		.amdhsa_reserve_vcc 1
		.amdhsa_float_round_mode_32 0
		.amdhsa_float_round_mode_16_64 0
		.amdhsa_float_denorm_mode_32 3
		.amdhsa_float_denorm_mode_16_64 3
		.amdhsa_dx10_clamp 1
		.amdhsa_ieee_mode 1
		.amdhsa_fp16_overflow 0
		.amdhsa_workgroup_processor_mode 1
		.amdhsa_memory_ordered 1
		.amdhsa_forward_progress 0
		.amdhsa_shared_vgpr_count 0
		.amdhsa_exception_fp_ieee_invalid_op 0
		.amdhsa_exception_fp_denorm_src 0
		.amdhsa_exception_fp_ieee_div_zero 0
		.amdhsa_exception_fp_ieee_overflow 0
		.amdhsa_exception_fp_ieee_underflow 0
		.amdhsa_exception_fp_ieee_inexact 0
		.amdhsa_exception_int_div_zero 0
	.end_amdhsa_kernel
	.section	.text._ZN5aiter24add_rmsnorm_quant_kernelIDF16_DB8_Li256ELi24ELb1ELb1ELb1ELi1EEEvPT0_PT_PfS5_S5_S5_diiiiiiib,"axG",@progbits,_ZN5aiter24add_rmsnorm_quant_kernelIDF16_DB8_Li256ELi24ELb1ELb1ELb1ELi1EEEvPT0_PT_PfS5_S5_S5_diiiiiiib,comdat
.Lfunc_end17:
	.size	_ZN5aiter24add_rmsnorm_quant_kernelIDF16_DB8_Li256ELi24ELb1ELb1ELb1ELi1EEEvPT0_PT_PfS5_S5_S5_diiiiiiib, .Lfunc_end17-_ZN5aiter24add_rmsnorm_quant_kernelIDF16_DB8_Li256ELi24ELb1ELb1ELb1ELi1EEEvPT0_PT_PfS5_S5_S5_diiiiiiib
                                        ; -- End function
	.section	.AMDGPU.csdata,"",@progbits
; Kernel info:
; codeLenInByte = 5544
; NumSgprs: 42
; NumVgprs: 66
; ScratchSize: 0
; MemoryBound: 0
; FloatMode: 240
; IeeeMode: 1
; LDSByteSize: 64 bytes/workgroup (compile time only)
; SGPRBlocks: 5
; VGPRBlocks: 8
; NumSGPRsForWavesPerEU: 42
; NumVGPRsForWavesPerEU: 66
; Occupancy: 16
; WaveLimiterHint : 0
; COMPUTE_PGM_RSRC2:SCRATCH_EN: 0
; COMPUTE_PGM_RSRC2:USER_SGPR: 15
; COMPUTE_PGM_RSRC2:TRAP_HANDLER: 0
; COMPUTE_PGM_RSRC2:TGID_X_EN: 1
; COMPUTE_PGM_RSRC2:TGID_Y_EN: 0
; COMPUTE_PGM_RSRC2:TGID_Z_EN: 0
; COMPUTE_PGM_RSRC2:TIDIG_COMP_CNT: 0
	.section	.text._ZN5aiter24add_rmsnorm_quant_kernelItDB8_Li256ELi24ELb1ELb1ELb1ELi1EEEvPT0_PT_PfS5_S5_S5_diiiiiiib,"axG",@progbits,_ZN5aiter24add_rmsnorm_quant_kernelItDB8_Li256ELi24ELb1ELb1ELb1ELi1EEEvPT0_PT_PfS5_S5_S5_diiiiiiib,comdat
	.protected	_ZN5aiter24add_rmsnorm_quant_kernelItDB8_Li256ELi24ELb1ELb1ELb1ELi1EEEvPT0_PT_PfS5_S5_S5_diiiiiiib ; -- Begin function _ZN5aiter24add_rmsnorm_quant_kernelItDB8_Li256ELi24ELb1ELb1ELb1ELi1EEEvPT0_PT_PfS5_S5_S5_diiiiiiib
	.globl	_ZN5aiter24add_rmsnorm_quant_kernelItDB8_Li256ELi24ELb1ELb1ELb1ELi1EEEvPT0_PT_PfS5_S5_S5_diiiiiiib
	.p2align	8
	.type	_ZN5aiter24add_rmsnorm_quant_kernelItDB8_Li256ELi24ELb1ELb1ELb1ELi1EEEvPT0_PT_PfS5_S5_S5_diiiiiiib,@function
_ZN5aiter24add_rmsnorm_quant_kernelItDB8_Li256ELi24ELb1ELb1ELb1ELi1EEEvPT0_PT_PfS5_S5_S5_diiiiiiib: ; @_ZN5aiter24add_rmsnorm_quant_kernelItDB8_Li256ELi24ELb1ELb1ELb1ELi1EEEvPT0_PT_PfS5_S5_S5_diiiiiiib
; %bb.0:
	s_load_b256 s[4:11], s[0:1], 0x38
	s_mov_b32 s34, s15
	s_mov_b32 s35, 0
	s_waitcnt lgkmcnt(0)
	s_ashr_i32 s3, s4, 31
	s_mov_b32 s2, s4
	s_delay_alu instid0(SALU_CYCLE_1) | instskip(NEXT) | instid1(VALU_DEP_1)
	v_cmp_ge_i64_e64 s2, s[34:35], s[2:3]
	s_and_b32 vcc_lo, exec_lo, s2
	s_cbranch_vccnz .LBB18_44
; %bb.1:
	s_load_b256 s[12:19], s[0:1], 0x0
	s_ashr_i32 s2, s6, 31
	s_mul_hi_u32 s3, s6, s34
	s_mul_i32 s20, s2, s34
	s_mul_i32 s2, s6, s34
	s_add_i32 s3, s3, s20
	s_load_b256 s[20:27], s[0:1], 0x20
	v_and_b32_e32 v1, 0x3e0, v0
	s_lshl_b64 s[2:3], s[2:3], 1
	v_lshlrev_b32_e32 v2, 3, v0
	s_mul_i32 s6, s7, s34
	s_mov_b32 s31, -1
	v_mul_u32_u24_e32 v1, 24, v1
	s_movk_i32 s1, 0x200
	s_mov_b32 s39, s31
	s_delay_alu instid0(VALU_DEP_1)
	v_and_or_b32 v13, 0xf8, v2, v1
	s_waitcnt lgkmcnt(0)
	s_add_u32 s28, s18, s2
	s_addc_u32 s2, s19, s3
	s_add_i32 s3, s5, 1
	v_lshlrev_b32_e32 v51, 1, v13
	s_lshr_b32 s0, s3, 31
	s_and_b32 s29, s2, 0xffff
	s_add_i32 s3, s3, s0
	s_movk_i32 s2, 0x400
	s_lshl_b32 s0, s3, 1
	s_mul_hi_u32 s3, s7, s34
	s_and_b32 s30, s0, -4
	s_ashr_i32 s0, s7, 31
	s_and_b32 s37, s23, 0xffff
	s_mul_i32 s0, s0, s34
	s_clause 0x1
	buffer_load_b128 v[14:17], v51, s[28:31], 0 offen glc slc
	buffer_load_b128 v[18:21], v51, s[28:31], s1 offen glc slc
	s_add_i32 s7, s3, s0
	buffer_load_b128 v[22:25], v51, s[28:31], s2 offen glc slc
	s_lshl_b64 s[6:7], s[6:7], 1
	s_mov_b32 s36, s22
	s_add_u32 s28, s20, s6
	s_addc_u32 s0, s21, s7
	s_mov_b32 s38, s30
	s_and_b32 s29, s0, 0xffff
	s_clause 0x2
	buffer_load_b128 v[26:29], v51, s[28:31], 0 offen glc slc
	buffer_load_b128 v[30:33], v51, s[28:31], s1 offen glc slc
	;; [unrolled: 1-line block ×3, first 2 shown]
	s_ashr_i32 s0, s8, 31
	s_mul_hi_u32 s3, s8, s34
	s_mul_i32 s0, s0, s34
	s_mul_i32 s6, s8, s34
	s_add_i32 s7, s3, s0
	s_delay_alu instid0(SALU_CYCLE_1) | instskip(NEXT) | instid1(SALU_CYCLE_1)
	s_lshl_b64 s[6:7], s[6:7], 1
	s_add_u32 s28, s14, s6
	s_addc_u32 s0, s15, s7
	s_delay_alu instid0(SALU_CYCLE_1)
	s_and_b32 s29, s0, 0xffff
	s_waitcnt vmcnt(5)
	v_lshrrev_b32_e32 v38, 16, v14
	s_waitcnt vmcnt(4)
	v_lshrrev_b32_e32 v49, 16, v20
	v_and_b32_e32 v50, 0xffff, v20
	s_waitcnt vmcnt(3)
	v_lshrrev_b32_e32 v54, 16, v22
	v_lshrrev_b32_e32 v41, 16, v16
	;; [unrolled: 1-line block ×6, first 2 shown]
	s_waitcnt vmcnt(2)
	v_lshrrev_b32_e32 v20, 16, v27
	v_and_b32_e32 v57, 0xffff, v23
	v_lshrrev_b32_e32 v23, 16, v28
	v_and_b32_e32 v14, 0xffff, v14
	v_lshrrev_b32_e32 v43, 16, v17
	v_cvt_f32_u32_e32 v20, v20
	v_and_b32_e32 v55, 0xffff, v22
	v_and_b32_e32 v22, 0xffff, v28
	s_waitcnt vmcnt(1)
	v_and_b32_e32 v28, 0xffff, v31
	v_cvt_f32_u32_e32 v23, v23
	v_cvt_f32_u32_e32 v14, v14
	v_lshrrev_b32_e32 v47, 16, v19
	v_cvt_f32_u32_e32 v22, v22
	v_and_b32_e32 v42, 0xffff, v16
	v_cvt_f32_u32_e32 v16, v38
	v_and_b32_e32 v38, 0xffff, v25
	v_and_b32_e32 v25, 0xffff, v30
	v_cvt_f32_u32_e32 v28, v28
	v_and_b32_e32 v44, 0xffff, v17
	v_and_b32_e32 v17, 0xffff, v26
	;; [unrolled: 1-line block ×3, first 2 shown]
	v_cvt_f32_u32_e32 v25, v25
	v_and_b32_e32 v46, 0xffff, v18
	v_and_b32_e32 v18, 0xffff, v27
	v_cvt_f32_u32_e32 v17, v17
	v_lshrrev_b32_e32 v52, 16, v21
	v_lshrrev_b32_e32 v58, 16, v24
	;; [unrolled: 1-line block ×3, first 2 shown]
	v_cvt_f32_u32_e32 v18, v18
	v_and_b32_e32 v40, 0xffff, v15
	v_lshrrev_b32_e32 v15, 16, v26
	v_cvt_f32_u32_e32 v26, v46
	v_cvt_f32_u32_e32 v27, v27
	v_lshrrev_b32_e32 v30, 16, v32
	v_cvt_f32_u32_e32 v19, v40
	v_cvt_f32_u32_e32 v15, v15
	s_delay_alu instid0(VALU_DEP_3) | instskip(NEXT) | instid1(VALU_DEP_2)
	v_cvt_f32_u32_e32 v30, v30
	v_dual_add_f32 v15, v16, v15 :: v_dual_add_f32 v16, v14, v17
	s_delay_alu instid0(VALU_DEP_4)
	v_add_f32_e32 v17, v19, v18
	v_cvt_f32_u32_e32 v19, v42
	s_waitcnt vmcnt(0)
	v_and_b32_e32 v42, 0xffff, v37
	v_mul_f32_e32 v14, v15, v15
	s_clause 0x2
	buffer_load_b128 v[9:12], v51, s[36:39], 0 offen
	buffer_load_b128 v[5:8], v51, s[36:39], s1 offen
	;; [unrolled: 1-line block ×3, first 2 shown]
	v_and_b32_e32 v53, 0xffff, v21
	v_cvt_f32_u32_e32 v21, v39
	v_dual_add_f32 v19, v19, v22 :: v_dual_fmac_f32 v14, v16, v16
	v_cvt_f32_u32_e32 v22, v44
	v_lshrrev_b32_e32 v37, 16, v37
	s_delay_alu instid0(VALU_DEP_4) | instskip(SKIP_4) | instid1(VALU_DEP_4)
	v_add_f32_e32 v18, v21, v20
	v_cvt_f32_u32_e32 v20, v41
	v_dual_fmac_f32 v14, v17, v17 :: v_dual_and_b32 v59, 0xffff, v24
	v_lshrrev_b32_e32 v24, 16, v29
	v_cvt_f32_u32_e32 v40, v57
	v_add_f32_e32 v20, v20, v23
	s_delay_alu instid0(VALU_DEP_4) | instskip(SKIP_2) | instid1(VALU_DEP_3)
	v_dual_fmac_f32 v14, v18, v18 :: v_dual_and_b32 v21, 0xffff, v29
	v_cvt_f32_u32_e32 v23, v43
	v_cvt_f32_u32_e32 v24, v24
	v_dual_fmac_f32 v14, v19, v19 :: v_dual_and_b32 v29, 0xffff, v32
	s_delay_alu instid0(VALU_DEP_4) | instskip(SKIP_2) | instid1(VALU_DEP_4)
	v_cvt_f32_u32_e32 v21, v21
	v_and_b32_e32 v32, 0xffff, v33
	v_lshrrev_b32_e32 v33, 16, v33
	v_cvt_f32_u32_e32 v29, v29
	s_delay_alu instid0(VALU_DEP_4)
	v_dual_fmac_f32 v14, v20, v20 :: v_dual_add_f32 v21, v22, v21
	v_add_f32_e32 v22, v23, v24
	v_cvt_f32_u32_e32 v24, v45
	v_add_f32_e32 v23, v26, v25
	v_cvt_f32_u32_e32 v25, v48
	v_fmac_f32_e32 v14, v21, v21
	v_lshrrev_b32_e32 v26, 16, v31
	v_dual_add_f32 v24, v24, v27 :: v_dual_and_b32 v41, 0xffff, v36
	v_cvt_f32_u32_e32 v27, v47
	v_add_f32_e32 v25, v25, v28
	s_delay_alu instid0(VALU_DEP_4) | instskip(SKIP_4) | instid1(VALU_DEP_4)
	v_cvt_f32_u32_e32 v26, v26
	v_cvt_f32_u32_e32 v28, v50
	;; [unrolled: 1-line block ×5, first 2 shown]
	v_dual_add_f32 v26, v27, v26 :: v_dual_add_f32 v27, v28, v29
	v_cvt_f32_u32_e32 v29, v53
	v_add_f32_e32 v28, v31, v30
	v_cvt_f32_u32_e32 v30, v52
	v_and_b32_e32 v31, 0xffff, v34
	v_dual_fmac_f32 v14, v22, v22 :: v_dual_and_b32 v39, 0xffff, v35
	v_lshrrev_b32_e32 v34, 16, v34
	v_add_f32_e32 v29, v29, v32
	v_cvt_f32_u32_e32 v32, v55
	v_cvt_f32_u32_e32 v31, v31
	v_add_f32_e32 v30, v30, v33
	v_cvt_f32_u32_e32 v33, v54
	v_cvt_f32_u32_e32 v34, v34
	v_lshrrev_b32_e32 v35, 16, v35
	v_cvt_f32_u32_e32 v39, v39
	v_fmac_f32_e32 v14, v23, v23
	s_delay_alu instid0(VALU_DEP_4)
	v_dual_add_f32 v31, v32, v31 :: v_dual_add_f32 v32, v33, v34
	v_cvt_f32_u32_e32 v34, v56
	v_cvt_f32_u32_e32 v35, v35
	v_add_f32_e32 v33, v40, v39
	v_cvt_f32_u32_e32 v39, v59
	v_lshrrev_b32_e32 v36, 16, v36
	v_cvt_f32_u32_e32 v40, v41
	v_add_f32_e32 v34, v34, v35
	v_cvt_f32_u32_e32 v41, v58
	v_cvt_f32_u32_e32 v38, v38
	;; [unrolled: 1-line block ×3, first 2 shown]
	v_add_f32_e32 v35, v39, v40
	v_cvt_f32_u32_e32 v39, v42
	v_fmac_f32_e32 v14, v24, v24
	v_cvt_f32_u32_e32 v40, v60
	v_add_f32_e32 v36, v41, v36
	v_cvt_f32_u32_e32 v41, v37
	s_delay_alu instid0(VALU_DEP_4) | instskip(SKIP_2) | instid1(VALU_DEP_4)
	v_dual_add_f32 v37, v38, v39 :: v_dual_fmac_f32 v14, v25, v25
	v_and_b32_e32 v52, 31, v0
	v_perm_b32 v42, v22, v21, 0x7060302
	v_add_f32_e32 v38, v40, v41
	v_perm_b32 v41, v20, v19, 0x7060302
	v_fmac_f32_e32 v14, v26, v26
	v_perm_b32 v40, v18, v17, 0x7060302
	v_perm_b32 v46, v30, v29, 0x7060302
	;; [unrolled: 1-line block ×4, first 2 shown]
	v_fmac_f32_e32 v14, v27, v27
	v_perm_b32 v43, v24, v23, 0x7060302
	v_perm_b32 v50, v38, v37, 0x7060302
	;; [unrolled: 1-line block ×4, first 2 shown]
	v_fmac_f32_e32 v14, v28, v28
	v_cmp_eq_u32_e64 s0, 31, v52
	s_delay_alu instid0(VALU_DEP_2) | instskip(NEXT) | instid1(VALU_DEP_1)
	v_fmac_f32_e32 v14, v29, v29
	v_fmac_f32_e32 v14, v30, v30
	s_delay_alu instid0(VALU_DEP_1) | instskip(NEXT) | instid1(VALU_DEP_1)
	v_fmac_f32_e32 v14, v31, v31
	v_fmac_f32_e32 v14, v32, v32
	s_delay_alu instid0(VALU_DEP_1) | instskip(NEXT) | instid1(VALU_DEP_1)
	;; [unrolled: 3-line block ×5, first 2 shown]
	v_mov_b32_dpp v39, v14 quad_perm:[1,0,3,2] row_mask:0xf bank_mask:0xf
	v_add_f32_e32 v14, v14, v39
	s_delay_alu instid0(VALU_DEP_1) | instskip(NEXT) | instid1(VALU_DEP_1)
	v_mov_b32_dpp v39, v14 quad_perm:[2,3,0,1] row_mask:0xf bank_mask:0xf
	v_add_f32_e32 v14, v14, v39
	v_perm_b32 v39, v15, v16, 0x7060302
	s_delay_alu instid0(VALU_DEP_2)
	v_mov_b32_dpp v47, v14 row_xmask:7 row_mask:0xf bank_mask:0xf
	buffer_store_b128 v[39:42], v51, s[28:31], 0 offen glc slc
	;;#ASMSTART
	s_nop 0
	;;#ASMEND
	buffer_store_b128 v[43:46], v51, s[28:31], s1 offen glc slc
	;;#ASMSTART
	s_nop 0
	;;#ASMEND
	v_add_f32_e32 v14, v14, v47
	v_perm_b32 v47, v32, v31, 0x7060302
	s_delay_alu instid0(VALU_DEP_2)
	v_mov_b32_dpp v39, v14 row_xmask:15 row_mask:0xf bank_mask:0xf
	buffer_store_b128 v[47:50], v51, s[28:31], s2 offen glc slc
	;;#ASMSTART
	s_nop 0
	;;#ASMEND
	s_and_saveexec_b32 s1, s0
	s_cbranch_execz .LBB18_3
; %bb.2:
	v_add_f32_e32 v14, v14, v39
	s_mov_b32 s2, 0x76543210
	v_lshrrev_b32_e32 v39, 3, v0
	s_delay_alu instid0(VALU_DEP_2) | instskip(NEXT) | instid1(VALU_DEP_1)
	v_permlanex16_b32 v40, v14, s2, 0xfedcba98 op_sel:[1,1]
	v_dual_add_f32 v14, v14, v40 :: v_dual_and_b32 v39, 0x7c, v39
	ds_store_b32 v39, v14 offset:32
.LBB18_3:
	s_or_b32 exec_lo, exec_lo, s1
	v_and_b32_e32 v14, 7, v0
	s_waitcnt vmcnt(0) lgkmcnt(0)
	s_waitcnt_vscnt null, 0x0
	s_barrier
	buffer_gl0_inv
	v_cvt_f32_i32_e32 v41, s5
	v_lshlrev_b32_e32 v14, 2, v14
	s_cmp_lg_u32 s10, 0
	ds_load_b32 v39, v14 offset:32
	s_waitcnt lgkmcnt(0)
	v_mov_b32_dpp v40, v39 quad_perm:[1,0,3,2] row_mask:0xf bank_mask:0xf
	s_delay_alu instid0(VALU_DEP_1) | instskip(NEXT) | instid1(VALU_DEP_1)
	v_add_f32_e32 v39, v39, v40
	v_mov_b32_dpp v40, v39 quad_perm:[2,3,0,1] row_mask:0xf bank_mask:0xf
	s_delay_alu instid0(VALU_DEP_1) | instskip(NEXT) | instid1(VALU_DEP_1)
	v_add_f32_e32 v39, v39, v40
	v_mov_b32_dpp v40, v39 row_xmask:7 row_mask:0xf bank_mask:0xf
	s_delay_alu instid0(VALU_DEP_1) | instskip(NEXT) | instid1(VALU_DEP_1)
	v_add_f32_e32 v39, v39, v40
	v_div_scale_f32 v40, null, v41, v41, v39
	v_div_scale_f32 v44, vcc_lo, v39, v41, v39
	s_delay_alu instid0(VALU_DEP_2) | instskip(SKIP_2) | instid1(VALU_DEP_1)
	v_rcp_f32_e32 v42, v40
	s_waitcnt_depctr 0xfff
	v_fma_f32 v43, -v40, v42, 1.0
	v_fmac_f32_e32 v42, v43, v42
	s_delay_alu instid0(VALU_DEP_1) | instskip(NEXT) | instid1(VALU_DEP_1)
	v_mul_f32_e32 v43, v44, v42
	v_fma_f32 v45, -v40, v43, v44
	s_delay_alu instid0(VALU_DEP_1) | instskip(NEXT) | instid1(VALU_DEP_1)
	v_fmac_f32_e32 v43, v45, v42
	v_fma_f32 v40, -v40, v43, v44
	v_and_b32_e32 v44, 0xffff, v5
	v_lshrrev_b32_e32 v5, 16, v5
	s_delay_alu instid0(VALU_DEP_3)
	v_div_fmas_f32 v40, v40, v42, v43
	v_and_b32_e32 v42, 0xffff, v11
	v_and_b32_e32 v43, 0xffff, v12
	v_lshrrev_b32_e32 v12, 16, v12
	v_cvt_f32_u32_e32 v44, v44
	v_div_fixup_f32 v39, v40, v41, v39
	v_cvt_f32_u32_e32 v42, v42
	v_lshrrev_b32_e32 v11, 16, v11
	v_cvt_f32_u32_e32 v12, v12
	v_cvt_f32_u32_e32 v43, v43
	v_cvt_f64_f32_e32 v[39:40], v39
	v_cvt_f32_u32_e32 v5, v5
	v_cvt_f32_u32_e32 v11, v11
	s_delay_alu instid0(VALU_DEP_3) | instskip(NEXT) | instid1(VALU_DEP_1)
	v_add_f64 v[39:40], v[39:40], s[24:25]
	v_cvt_f32_f64_e32 v39, v[39:40]
	v_and_b32_e32 v40, 0xffff, v9
	v_lshrrev_b32_e32 v9, 16, v9
	s_delay_alu instid0(VALU_DEP_2) | instskip(NEXT) | instid1(VALU_DEP_2)
	v_cvt_f32_u32_e32 v40, v40
	v_cvt_f32_u32_e32 v9, v9
	v_mul_f32_e32 v53, 0x4b800000, v39
	v_cmp_gt_f32_e32 vcc_lo, 0x800000, v39
	v_and_b32_e32 v46, 0xffff, v7
	v_lshrrev_b32_e32 v7, 16, v7
	s_delay_alu instid0(VALU_DEP_4) | instskip(NEXT) | instid1(VALU_DEP_3)
	v_cndmask_b32_e32 v39, v39, v53, vcc_lo
	v_cvt_f32_u32_e32 v46, v46
	s_delay_alu instid0(VALU_DEP_3) | instskip(NEXT) | instid1(VALU_DEP_3)
	v_cvt_f32_u32_e32 v7, v7
	v_rsq_f32_e32 v39, v39
	s_waitcnt_depctr 0xfff
	v_mul_f32_e32 v53, 0x45800000, v39
	v_and_b32_e32 v50, 0xffff, v3
	v_lshrrev_b32_e32 v3, 16, v3
	s_delay_alu instid0(VALU_DEP_3)
	v_cndmask_b32_e32 v39, v39, v53, vcc_lo
	v_and_b32_e32 v41, 0xffff, v10
	v_lshrrev_b32_e32 v10, 16, v10
	v_and_b32_e32 v45, 0xffff, v6
	v_lshrrev_b32_e32 v6, 16, v6
	v_dual_mul_f32 v18, v18, v39 :: v_dual_and_b32 v49, 0xffff, v2
	v_mul_f32_e32 v22, v22, v39
	v_lshrrev_b32_e32 v2, 16, v2
	v_dual_mul_f32 v16, v16, v39 :: v_dual_and_b32 v47, 0xffff, v8
	v_mul_f32_e32 v20, v20, v39
	v_lshrrev_b32_e32 v8, 16, v8
	v_dual_mul_f32 v15, v15, v39 :: v_dual_and_b32 v48, 0xffff, v1
	v_dual_mul_f32 v19, v19, v39 :: v_dual_mul_f32 v22, v22, v12
	v_lshrrev_b32_e32 v1, 16, v1
	v_dual_mul_f32 v54, v24, v39 :: v_dual_and_b32 v51, 0xffff, v4
	v_lshrrev_b32_e32 v4, 16, v4
	v_cvt_f32_u32_e32 v10, v10
	v_cvt_f32_u32_e32 v45, v45
	;; [unrolled: 1-line block ×4, first 2 shown]
	v_mul_f32_e32 v56, v26, v39
	v_mul_f32_e32 v34, v34, v39
	;; [unrolled: 1-line block ×4, first 2 shown]
	v_dual_mul_f32 v53, v23, v39 :: v_dual_mov_b32 v52, 0x2edbe6ff
	v_mul_f32_e32 v17, v17, v39
	v_cvt_f32_u32_e32 v41, v41
	v_cvt_f32_u32_e32 v8, v8
	v_mul_f32_e32 v58, v28, v39
	v_dual_mul_f32 v30, v30, v39 :: v_dual_mul_f32 v23, v19, v42
	v_dual_mul_f32 v55, v25, v39 :: v_dual_mul_f32 v28, v15, v9
	v_cvt_f32_u32_e32 v1, v1
	s_delay_alu instid0(VALU_DEP_3)
	v_mul_f32_e32 v12, v30, v8
	v_cvt_f32_u32_e32 v4, v4
	v_mul_f32_e32 v26, v18, v10
	v_mul_f32_e32 v18, v56, v6
	v_dual_mul_f32 v32, v32, v39 :: v_dual_mul_f32 v19, v53, v44
	v_mul_f32_e32 v38, v38, v39
	v_cvt_f32_u32_e32 v50, v50
	v_mul_f32_e32 v35, v35, v39
	v_cvt_f32_u32_e32 v49, v49
	v_mul_f32_e32 v21, v21, v39
	v_mul_f32_e32 v25, v17, v41
	v_dual_mul_f32 v17, v55, v45 :: v_dual_mul_f32 v8, v34, v2
	v_dual_mul_f32 v33, v33, v39 :: v_dual_and_b32 v2, 0x7fffffff, v28
	v_mul_f32_e32 v6, v35, v50
	v_cvt_f32_u32_e32 v47, v47
	v_cvt_f32_u32_e32 v48, v48
	v_mul_f32_e32 v9, v32, v1
	v_dual_mul_f32 v31, v31, v39 :: v_dual_mul_f32 v4, v38, v4
	v_mul_f32_e32 v29, v29, v39
	v_mul_f32_e32 v24, v20, v11
	v_mul_f32_e32 v20, v54, v5
	v_dual_mul_f32 v16, v58, v7 :: v_dual_mul_f32 v7, v33, v49
	s_delay_alu instid0(VALU_DEP_3)
	v_dual_mul_f32 v21, v21, v43 :: v_dual_and_b32 v32, 0x7fffffff, v24
	v_cvt_f32_u32_e32 v3, v3
	v_dual_mul_f32 v36, v36, v39 :: v_dual_mul_f32 v15, v57, v46
	v_and_b32_e32 v1, 0x7fffffff, v27
	v_cvt_f32_u32_e32 v51, v51
	v_dual_mul_f32 v37, v37, v39 :: v_dual_and_b32 v30, 0x7fffffff, v26
	;;#ASMSTART
	v_max3_f32 v1, v52, v1, v2

	;;#ASMEND
	v_dual_mul_f32 v10, v31, v48 :: v_dual_mul_f32 v11, v29, v47
	v_and_b32_e32 v34, 0x7fffffff, v22
	v_and_b32_e32 v29, 0x7fffffff, v25
	;;#ASMSTART
	v_max3_f32 v1, v1, v29, v30

	;;#ASMEND
	v_and_b32_e32 v31, 0x7fffffff, v23
	;;#ASMSTART
	v_max3_f32 v1, v1, v31, v32

	;;#ASMEND
	;; [unrolled: 5-line block ×3, first 2 shown]
	v_dual_mul_f32 v5, v36, v3 :: v_dual_and_b32 v36, 0x7fffffff, v20
	v_and_b32_e32 v35, 0x7fffffff, v19
	;;#ASMSTART
	v_max3_f32 v1, v1, v35, v36

	;;#ASMEND
	v_dual_mul_f32 v3, v37, v51 :: v_dual_and_b32 v38, 0x7fffffff, v18
	v_and_b32_e32 v37, 0x7fffffff, v17
	;;#ASMSTART
	v_max3_f32 v1, v1, v37, v38

	;;#ASMEND
	v_and_b32_e32 v39, 0x7fffffff, v15
	v_and_b32_e32 v40, 0x7fffffff, v16
	;;#ASMSTART
	v_max3_f32 v1, v1, v39, v40

	;;#ASMEND
	v_and_b32_e32 v41, 0x7fffffff, v11
	;; [unrolled: 6-line block ×5, first 2 shown]
	v_and_b32_e32 v48, 0x7fffffff, v5
	v_and_b32_e32 v49, 0x7fffffff, v3
	;; [unrolled: 1-line block ×3, first 2 shown]
	;;#ASMSTART
	v_max3_f32 v1, v1, v47, v48

	;;#ASMEND
	;;#ASMSTART
	v_max3_f32 v29, v1, v49, v50

	;;#ASMEND
	s_cbranch_scc0 .LBB18_10
; %bb.4:
	s_mul_hi_i32 s1, s10, 0x2aaaaaab
	s_delay_alu instid0(SALU_CYCLE_1) | instskip(SKIP_1) | instid1(SALU_CYCLE_1)
	s_lshr_b32 s2, s1, 31
	s_ashr_i32 s1, s1, 2
	s_add_i32 s1, s1, s2
	s_delay_alu instid0(SALU_CYCLE_1)
	s_cmp_lt_i32 s1, 8
	s_cbranch_scc1 .LBB18_11
; %bb.5:
	s_cmp_lt_i32 s1, 16
	s_cbranch_scc1 .LBB18_12
; %bb.6:
	;; [unrolled: 3-line block ×3, first 2 shown]
	v_mov_b32_e32 v1, v29
	s_cmp_eq_u32 s1, 32
	s_cbranch_scc0 .LBB18_9
; %bb.8:
	s_delay_alu instid0(VALU_DEP_1) | instskip(SKIP_1) | instid1(VALU_DEP_1)
	v_mov_b32_dpp v1, v29 quad_perm:[1,0,3,2] row_mask:0xf bank_mask:0xf
	s_mov_b32 s2, 0x76543210
	v_cmp_gt_f32_e32 vcc_lo, v29, v1
	v_cndmask_b32_e32 v1, v1, v29, vcc_lo
	s_delay_alu instid0(VALU_DEP_1) | instskip(NEXT) | instid1(VALU_DEP_1)
	v_mov_b32_dpp v2, v1 quad_perm:[2,3,0,1] row_mask:0xf bank_mask:0xf
	v_cmp_gt_f32_e32 vcc_lo, v1, v2
	v_cndmask_b32_e32 v1, v2, v1, vcc_lo
	s_delay_alu instid0(VALU_DEP_1) | instskip(NEXT) | instid1(VALU_DEP_1)
	v_mov_b32_dpp v2, v1 row_xmask:7 row_mask:0xf bank_mask:0xf
	v_cmp_gt_f32_e32 vcc_lo, v1, v2
	v_cndmask_b32_e32 v1, v2, v1, vcc_lo
	s_delay_alu instid0(VALU_DEP_1) | instskip(NEXT) | instid1(VALU_DEP_1)
	v_mov_b32_dpp v2, v1 row_xmask:15 row_mask:0xf bank_mask:0xf
	v_cmp_gt_f32_e32 vcc_lo, v1, v2
	v_cndmask_b32_e32 v1, v2, v1, vcc_lo
	s_delay_alu instid0(VALU_DEP_1) | instskip(NEXT) | instid1(VALU_DEP_1)
	v_permlanex16_b32 v2, v1, s2, 0xfedcba98 op_sel:[1,1]
	v_cmp_gt_f32_e32 vcc_lo, v1, v2
	v_cndmask_b32_e32 v1, v2, v1, vcc_lo
.LBB18_9:
	s_mov_b32 s2, 0
	s_branch .LBB18_14
.LBB18_10:
	s_mov_b32 s1, 0
                                        ; implicit-def: $vgpr30
                                        ; implicit-def: $vgpr1_vgpr2
	s_and_b32 vcc_lo, exec_lo, s31
	s_cbranch_vccnz .LBB18_38
	s_branch .LBB18_41
.LBB18_11:
                                        ; implicit-def: $vgpr1
	s_branch .LBB18_21
.LBB18_12:
                                        ; implicit-def: $vgpr1
	s_branch .LBB18_18
.LBB18_13:
	s_mov_b32 s2, -1
                                        ; implicit-def: $vgpr1
.LBB18_14:
	s_delay_alu instid0(SALU_CYCLE_1)
	s_and_not1_b32 vcc_lo, exec_lo, s2
	s_cbranch_vccnz .LBB18_17
; %bb.15:
	v_mov_b32_e32 v1, v29
	s_cmp_eq_u32 s1, 16
	s_cbranch_scc0 .LBB18_17
; %bb.16:
	s_delay_alu instid0(VALU_DEP_1) | instskip(NEXT) | instid1(VALU_DEP_1)
	v_mov_b32_dpp v1, v29 quad_perm:[1,0,3,2] row_mask:0xf bank_mask:0xf
	v_cmp_gt_f32_e32 vcc_lo, v29, v1
	v_cndmask_b32_e32 v1, v1, v29, vcc_lo
	s_delay_alu instid0(VALU_DEP_1) | instskip(NEXT) | instid1(VALU_DEP_1)
	v_mov_b32_dpp v2, v1 quad_perm:[2,3,0,1] row_mask:0xf bank_mask:0xf
	v_cmp_gt_f32_e32 vcc_lo, v1, v2
	v_cndmask_b32_e32 v1, v2, v1, vcc_lo
	s_delay_alu instid0(VALU_DEP_1) | instskip(NEXT) | instid1(VALU_DEP_1)
	v_mov_b32_dpp v2, v1 row_half_mirror row_mask:0xf bank_mask:0xf
	v_cmp_gt_f32_e32 vcc_lo, v1, v2
	v_cndmask_b32_e32 v1, v2, v1, vcc_lo
	s_delay_alu instid0(VALU_DEP_1) | instskip(NEXT) | instid1(VALU_DEP_1)
	v_mov_b32_dpp v2, v1 row_mirror row_mask:0xf bank_mask:0xf
	v_cmp_gt_f32_e32 vcc_lo, v1, v2
	v_cndmask_b32_e32 v1, v2, v1, vcc_lo
.LBB18_17:
	s_cbranch_execnz .LBB18_20
.LBB18_18:
	v_mov_b32_e32 v1, v29
	s_cmp_eq_u32 s1, 8
	s_cbranch_scc0 .LBB18_20
; %bb.19:
	s_delay_alu instid0(VALU_DEP_1) | instskip(NEXT) | instid1(VALU_DEP_1)
	v_mov_b32_dpp v1, v29 quad_perm:[1,0,3,2] row_mask:0xf bank_mask:0xf
	v_cmp_gt_f32_e32 vcc_lo, v29, v1
	v_cndmask_b32_e32 v1, v1, v29, vcc_lo
	s_delay_alu instid0(VALU_DEP_1) | instskip(NEXT) | instid1(VALU_DEP_1)
	v_mov_b32_dpp v2, v1 quad_perm:[2,3,0,1] row_mask:0xf bank_mask:0xf
	v_cmp_gt_f32_e32 vcc_lo, v1, v2
	v_cndmask_b32_e32 v1, v2, v1, vcc_lo
	s_delay_alu instid0(VALU_DEP_1) | instskip(NEXT) | instid1(VALU_DEP_1)
	v_mov_b32_dpp v2, v1 row_half_mirror row_mask:0xf bank_mask:0xf
	v_cmp_gt_f32_e32 vcc_lo, v1, v2
	v_cndmask_b32_e32 v1, v2, v1, vcc_lo
.LBB18_20:
	s_cbranch_execnz .LBB18_28
.LBB18_21:
	s_cmp_lt_i32 s1, 4
	s_cbranch_scc1 .LBB18_24
; %bb.22:
	v_mov_b32_e32 v1, v29
	s_cmp_eq_u32 s1, 4
	s_cbranch_scc0 .LBB18_25
; %bb.23:
	s_delay_alu instid0(VALU_DEP_1) | instskip(NEXT) | instid1(VALU_DEP_1)
	v_mov_b32_dpp v1, v29 quad_perm:[1,0,3,2] row_mask:0xf bank_mask:0xf
	v_cmp_gt_f32_e32 vcc_lo, v29, v1
	v_cndmask_b32_e32 v1, v1, v29, vcc_lo
	s_delay_alu instid0(VALU_DEP_1) | instskip(NEXT) | instid1(VALU_DEP_1)
	v_mov_b32_dpp v2, v1 quad_perm:[2,3,0,1] row_mask:0xf bank_mask:0xf
	v_cmp_gt_f32_e32 vcc_lo, v1, v2
	v_cndmask_b32_e32 v1, v2, v1, vcc_lo
	s_cbranch_execz .LBB18_26
	s_branch .LBB18_28
.LBB18_24:
                                        ; implicit-def: $vgpr1
	s_branch .LBB18_26
.LBB18_25:
	s_cbranch_execnz .LBB18_28
.LBB18_26:
	v_mov_b32_e32 v1, v29
	s_cmp_lg_u32 s1, 2
	s_cbranch_scc1 .LBB18_28
; %bb.27:
	s_delay_alu instid0(VALU_DEP_1) | instskip(NEXT) | instid1(VALU_DEP_1)
	v_mov_b32_dpp v1, v29 quad_perm:[1,0,3,2] row_mask:0xf bank_mask:0xf
	v_cmp_gt_f32_e32 vcc_lo, v29, v1
	v_cndmask_b32_e32 v1, v1, v29, vcc_lo
.LBB18_28:
	v_cvt_f32_u32_e32 v2, s1
	s_sub_i32 s2, 0, s1
	s_mov_b32 s31, 0
	s_delay_alu instid0(VALU_DEP_1) | instskip(SKIP_2) | instid1(VALU_DEP_1)
	v_rcp_iflag_f32_e32 v2, v2
	s_waitcnt_depctr 0xfff
	v_mul_f32_e32 v2, 0x4f7ffffe, v2
	v_cvt_u32_f32_e32 v2, v2
	s_delay_alu instid0(VALU_DEP_1) | instskip(NEXT) | instid1(VALU_DEP_1)
	v_mul_lo_u32 v30, s2, v2
	v_mul_hi_u32 v30, v2, v30
	s_delay_alu instid0(VALU_DEP_1) | instskip(NEXT) | instid1(VALU_DEP_1)
	v_add_nc_u32_e32 v2, v2, v30
	v_mul_hi_u32 v2, v0, v2
	s_delay_alu instid0(VALU_DEP_1) | instskip(NEXT) | instid1(VALU_DEP_1)
	v_mul_lo_u32 v30, v2, s1
	v_sub_nc_u32_e32 v30, v0, v30
	s_delay_alu instid0(VALU_DEP_1) | instskip(SKIP_1) | instid1(VALU_DEP_2)
	v_subrev_nc_u32_e32 v32, s1, v30
	v_cmp_le_u32_e32 vcc_lo, s1, v30
	v_dual_cndmask_b32 v30, v30, v32 :: v_dual_add_nc_u32 v31, 1, v2
	s_delay_alu instid0(VALU_DEP_1) | instskip(NEXT) | instid1(VALU_DEP_2)
	v_cndmask_b32_e32 v2, v2, v31, vcc_lo
	v_cmp_le_u32_e32 vcc_lo, s1, v30
	s_delay_alu instid0(VALU_DEP_2) | instskip(SKIP_1) | instid1(VALU_DEP_2)
	v_add_nc_u32_e32 v31, 1, v2
	v_mul_u32_u24_e32 v30, 24, v0
	v_cndmask_b32_e32 v31, v2, v31, vcc_lo
	s_delay_alu instid0(VALU_DEP_2) | instskip(SKIP_1) | instid1(VALU_DEP_3)
	v_cmp_gt_u32_e32 vcc_lo, s5, v30
	v_mul_f32_e32 v30, 0x3b124925, v1
	v_mul_lo_u32 v2, v31, s1
	s_delay_alu instid0(VALU_DEP_1) | instskip(NEXT) | instid1(VALU_DEP_1)
	v_sub_nc_u32_e32 v2, v0, v2
	v_cmp_eq_u32_e64 s1, 0, v2
                                        ; implicit-def: $vgpr1_vgpr2
	s_delay_alu instid0(VALU_DEP_1) | instskip(SKIP_2) | instid1(SALU_CYCLE_1)
	s_and_b32 s2, s1, vcc_lo
	s_mov_b32 s1, 0
	s_and_saveexec_b32 s3, s2
	s_xor_b32 s8, exec_lo, s3
	s_cbranch_execz .LBB18_37
; %bb.29:
	s_bitcmp0_b32 s11, 0
	s_mov_b32 s6, 0
	s_cbranch_scc0 .LBB18_34
; %bb.30:
	s_ashr_i32 s1, s5, 31
	s_mul_hi_u32 s3, s5, s34
	s_mul_i32 s1, s1, s34
	s_mul_i32 s2, s5, s34
	s_add_i32 s3, s3, s1
	s_ashr_i32 s11, s10, 31
	s_delay_alu instid0(SALU_CYCLE_1) | instskip(NEXT) | instid1(SALU_CYCLE_1)
	s_or_b64 s[14:15], s[2:3], s[10:11]
	s_mov_b32 s7, s15
	s_delay_alu instid0(SALU_CYCLE_1)
	s_cmp_lg_u64 s[6:7], 0
	s_cbranch_scc0 .LBB18_45
; %bb.31:
	s_add_u32 s14, s10, s11
	s_mov_b32 s6, s11
	s_mov_b32 s7, s11
	s_addc_u32 s15, s11, s11
	s_delay_alu instid0(SALU_CYCLE_1) | instskip(NEXT) | instid1(SALU_CYCLE_1)
	s_xor_b64 s[14:15], s[14:15], s[6:7]
	v_cvt_f32_u32_e32 v1, s14
	v_cvt_f32_u32_e32 v2, s15
	s_sub_u32 s18, 0, s14
	s_subb_u32 s19, 0, s15
	s_delay_alu instid0(VALU_DEP_1) | instskip(NEXT) | instid1(VALU_DEP_1)
	v_fmamk_f32 v1, v2, 0x4f800000, v1
	v_rcp_f32_e32 v1, v1
	s_waitcnt_depctr 0xfff
	v_mul_f32_e32 v1, 0x5f7ffffc, v1
	s_delay_alu instid0(VALU_DEP_1) | instskip(NEXT) | instid1(VALU_DEP_1)
	v_mul_f32_e32 v2, 0x2f800000, v1
	v_trunc_f32_e32 v2, v2
	s_delay_alu instid0(VALU_DEP_1) | instskip(SKIP_1) | instid1(VALU_DEP_2)
	v_fmamk_f32 v1, v2, 0xcf800000, v1
	v_cvt_u32_f32_e32 v2, v2
	v_cvt_u32_f32_e32 v1, v1
	s_delay_alu instid0(VALU_DEP_2) | instskip(NEXT) | instid1(VALU_DEP_2)
	v_readfirstlane_b32 s1, v2
	v_readfirstlane_b32 s11, v1
	s_delay_alu instid0(VALU_DEP_2) | instskip(NEXT) | instid1(VALU_DEP_1)
	s_mul_i32 s20, s18, s1
	s_mul_hi_u32 s22, s18, s11
	s_mul_i32 s21, s19, s11
	s_add_i32 s20, s22, s20
	s_mul_i32 s23, s18, s11
	s_add_i32 s20, s20, s21
	s_mul_hi_u32 s22, s11, s23
	s_mul_hi_u32 s24, s1, s23
	s_mul_i32 s21, s1, s23
	s_mul_hi_u32 s23, s11, s20
	s_mul_i32 s11, s11, s20
	s_mul_hi_u32 s25, s1, s20
	s_add_u32 s11, s22, s11
	s_addc_u32 s22, 0, s23
	s_add_u32 s11, s11, s21
	s_mul_i32 s20, s1, s20
	s_addc_u32 s11, s22, s24
	s_addc_u32 s21, s25, 0
	s_add_u32 s11, s11, s20
	s_addc_u32 s20, 0, s21
	v_add_co_u32 v1, s11, v1, s11
	s_delay_alu instid0(VALU_DEP_1) | instskip(SKIP_1) | instid1(VALU_DEP_1)
	s_cmp_lg_u32 s11, 0
	s_addc_u32 s1, s1, s20
	v_readfirstlane_b32 s11, v1
	s_mul_i32 s20, s18, s1
	s_delay_alu instid0(VALU_DEP_1)
	s_mul_hi_u32 s21, s18, s11
	s_mul_i32 s19, s19, s11
	s_add_i32 s20, s21, s20
	s_mul_i32 s18, s18, s11
	s_add_i32 s20, s20, s19
	s_mul_hi_u32 s21, s1, s18
	s_mul_i32 s22, s1, s18
	s_mul_hi_u32 s18, s11, s18
	s_mul_hi_u32 s23, s11, s20
	s_mul_i32 s11, s11, s20
	s_mul_hi_u32 s19, s1, s20
	s_add_u32 s11, s18, s11
	s_addc_u32 s18, 0, s23
	s_add_u32 s11, s11, s22
	s_mul_i32 s20, s1, s20
	s_addc_u32 s11, s18, s21
	s_addc_u32 s18, s19, 0
	s_add_u32 s11, s11, s20
	s_addc_u32 s18, 0, s18
	v_add_co_u32 v1, s11, v1, s11
	s_delay_alu instid0(VALU_DEP_1) | instskip(SKIP_2) | instid1(SALU_CYCLE_1)
	s_cmp_lg_u32 s11, 0
	s_addc_u32 s1, s1, s18
	s_ashr_i32 s18, s3, 31
	s_add_u32 s20, s2, s18
	s_addc_u32 s21, s3, s18
	v_readfirstlane_b32 s3, v1
	s_mov_b32 s19, s18
	s_delay_alu instid0(SALU_CYCLE_1) | instskip(NEXT) | instid1(SALU_CYCLE_1)
	s_xor_b64 s[20:21], s[20:21], s[18:19]
	s_mul_i32 s22, s20, s1
	s_delay_alu instid0(VALU_DEP_1)
	s_mul_hi_u32 s23, s20, s3
	s_mul_hi_u32 s11, s20, s1
	;; [unrolled: 1-line block ×3, first 2 shown]
	s_mul_i32 s3, s21, s3
	s_add_u32 s22, s23, s22
	s_addc_u32 s11, 0, s11
	s_mul_hi_u32 s24, s21, s1
	s_add_u32 s3, s22, s3
	s_mul_i32 s1, s21, s1
	s_addc_u32 s3, s11, s25
	s_addc_u32 s11, s24, 0
	s_add_u32 s3, s3, s1
	s_addc_u32 s11, 0, s11
	s_mul_i32 s24, s14, s3
	s_mul_hi_u32 s1, s14, s3
	s_mul_i32 s23, s14, s11
	v_sub_co_u32 v1, s20, s20, s24
	s_mul_i32 s22, s15, s3
	s_add_i32 s1, s1, s23
	s_delay_alu instid0(SALU_CYCLE_1) | instskip(NEXT) | instid1(VALU_DEP_1)
	s_add_i32 s1, s1, s22
	v_sub_co_u32 v2, s23, v1, s14
	s_sub_i32 s22, s21, s1
	s_cmp_lg_u32 s20, 0
	s_subb_u32 s22, s22, s15
	s_cmp_lg_u32 s23, 0
	v_cmp_le_u32_e32 vcc_lo, s14, v2
	s_subb_u32 s22, s22, 0
	s_delay_alu instid0(SALU_CYCLE_1)
	s_cmp_ge_u32 s22, s15
	v_cndmask_b32_e64 v2, 0, -1, vcc_lo
	s_cselect_b32 s23, -1, 0
	s_cmp_eq_u32 s22, s15
	s_cselect_b32 vcc_lo, -1, 0
	s_add_u32 s22, s3, 1
	v_cndmask_b32_e32 v2, s23, v2, vcc_lo
	s_addc_u32 s23, s11, 0
	s_add_u32 s24, s3, 2
	s_addc_u32 s25, s11, 0
	s_cmp_lg_u32 s20, 0
	v_cmp_le_u32_e32 vcc_lo, s14, v1
	s_subb_u32 s1, s21, s1
	v_mov_b32_e32 v32, s24
	s_cmp_ge_u32 s1, s15
	v_cndmask_b32_e64 v1, 0, -1, vcc_lo
	s_cselect_b32 s14, -1, 0
	s_cmp_eq_u32 s1, s15
	v_cmp_ne_u32_e32 vcc_lo, 0, v2
	v_mov_b32_e32 v2, s25
	s_cselect_b32 s1, -1, 0
	s_xor_b64 s[6:7], s[18:19], s[6:7]
	v_cndmask_b32_e64 v1, s14, v1, s1
	v_cndmask_b32_e32 v32, s22, v32, vcc_lo
	v_cndmask_b32_e32 v2, s23, v2, vcc_lo
	s_delay_alu instid0(VALU_DEP_3) | instskip(NEXT) | instid1(VALU_DEP_2)
	v_cmp_ne_u32_e32 vcc_lo, 0, v1
	v_cndmask_b32_e32 v1, s11, v2, vcc_lo
	s_delay_alu instid0(VALU_DEP_4) | instskip(NEXT) | instid1(VALU_DEP_2)
	v_cndmask_b32_e32 v2, s3, v32, vcc_lo
	v_xor_b32_e32 v32, s7, v1
	s_delay_alu instid0(VALU_DEP_2) | instskip(NEXT) | instid1(VALU_DEP_1)
	v_xor_b32_e32 v2, s6, v2
	v_sub_co_u32 v1, vcc_lo, v2, s6
	s_delay_alu instid0(VALU_DEP_3)
	v_subrev_co_ci_u32_e32 v2, vcc_lo, s7, v32, vcc_lo
	s_cbranch_execnz .LBB18_33
.LBB18_32:
	v_cvt_f32_u32_e32 v1, s10
	s_sub_i32 s3, 0, s10
	s_delay_alu instid0(VALU_DEP_1) | instskip(SKIP_2) | instid1(VALU_DEP_1)
	v_rcp_iflag_f32_e32 v1, v1
	s_waitcnt_depctr 0xfff
	v_mul_f32_e32 v1, 0x4f7ffffe, v1
	v_cvt_u32_f32_e32 v1, v1
	s_delay_alu instid0(VALU_DEP_1) | instskip(NEXT) | instid1(VALU_DEP_1)
	v_readfirstlane_b32 s1, v1
	s_mul_i32 s3, s3, s1
	s_delay_alu instid0(SALU_CYCLE_1) | instskip(NEXT) | instid1(SALU_CYCLE_1)
	s_mul_hi_u32 s3, s1, s3
	s_add_i32 s1, s1, s3
	s_delay_alu instid0(SALU_CYCLE_1) | instskip(NEXT) | instid1(SALU_CYCLE_1)
	s_mul_hi_u32 s1, s2, s1
	s_mul_i32 s3, s1, s10
	s_delay_alu instid0(SALU_CYCLE_1)
	s_sub_i32 s2, s2, s3
	s_add_i32 s3, s1, 1
	s_sub_i32 s6, s2, s10
	s_cmp_ge_u32 s2, s10
	s_cselect_b32 s1, s3, s1
	s_cselect_b32 s2, s6, s2
	s_add_i32 s6, s1, 1
	s_cmp_ge_u32 s2, s10
	s_mov_b32 s3, 0
	s_cselect_b32 s2, s6, s1
	s_delay_alu instid0(SALU_CYCLE_1)
	v_dual_mov_b32 v1, s2 :: v_dual_mov_b32 v2, s3
.LBB18_33:
	s_delay_alu instid0(VALU_DEP_1) | instskip(NEXT) | instid1(VALU_DEP_2)
	v_add_co_u32 v1, vcc_lo, v1, v31
	v_add_co_ci_u32_e32 v2, vcc_lo, 0, v2, vcc_lo
	s_branch .LBB18_36
.LBB18_34:
                                        ; implicit-def: $vgpr1_vgpr2
	s_cbranch_execz .LBB18_36
; %bb.35:
	v_mul_lo_u32 v1, v31, s4
	s_delay_alu instid0(VALU_DEP_1) | instskip(SKIP_1) | instid1(VALU_DEP_2)
	v_ashrrev_i32_e32 v2, 31, v1
	v_add_co_u32 v1, vcc_lo, v1, s34
	v_add_co_ci_u32_e32 v2, vcc_lo, 0, v2, vcc_lo
.LBB18_36:
	s_mov_b32 s1, exec_lo
.LBB18_37:
	s_or_b32 exec_lo, exec_lo, s8
	s_delay_alu instid0(SALU_CYCLE_1)
	s_and_b32 vcc_lo, exec_lo, s31
	s_cbranch_vccz .LBB18_41
.LBB18_38:
	v_mov_b32_dpp v1, v29 quad_perm:[1,0,3,2] row_mask:0xf bank_mask:0xf
	s_delay_alu instid0(VALU_DEP_1) | instskip(SKIP_1) | instid1(VALU_DEP_1)
	v_cmp_gt_f32_e32 vcc_lo, v29, v1
	v_cndmask_b32_e32 v1, v1, v29, vcc_lo
	v_mov_b32_dpp v2, v1 quad_perm:[2,3,0,1] row_mask:0xf bank_mask:0xf
	s_delay_alu instid0(VALU_DEP_1) | instskip(SKIP_1) | instid1(VALU_DEP_1)
	v_cmp_gt_f32_e32 vcc_lo, v1, v2
	v_cndmask_b32_e32 v1, v2, v1, vcc_lo
	v_mov_b32_dpp v2, v1 row_xmask:7 row_mask:0xf bank_mask:0xf
	s_delay_alu instid0(VALU_DEP_1) | instskip(SKIP_1) | instid1(VALU_DEP_1)
	v_cmp_gt_f32_e32 vcc_lo, v1, v2
	v_cndmask_b32_e32 v1, v2, v1, vcc_lo
	v_mov_b32_dpp v2, v1 row_xmask:15 row_mask:0xf bank_mask:0xf
	s_delay_alu instid0(VALU_DEP_1)
	v_cmp_gt_f32_e32 vcc_lo, v1, v2
	s_and_saveexec_b32 s1, s0
	s_cbranch_execz .LBB18_40
; %bb.39:
	v_cndmask_b32_e32 v1, v2, v1, vcc_lo
	v_lshrrev_b32_e32 v2, 3, v0
	s_mov_b32 s0, 0x76543210
	s_delay_alu instid0(VALU_DEP_1) | instskip(NEXT) | instid1(VALU_DEP_3)
	v_and_b32_e32 v2, 0x7c, v2
	v_permlanex16_b32 v29, v1, s0, 0xfedcba98 op_sel:[1,1]
	s_delay_alu instid0(VALU_DEP_1)
	v_cmp_gt_f32_e32 vcc_lo, v1, v29
	v_cndmask_b32_e32 v1, v29, v1, vcc_lo
	ds_store_b32 v2, v1
.LBB18_40:
	s_or_b32 exec_lo, exec_lo, s1
	s_waitcnt lgkmcnt(0)
	s_barrier
	buffer_gl0_inv
	ds_load_b32 v1, v14
	v_cmp_eq_u32_e64 s1, 0, v0
	s_waitcnt lgkmcnt(0)
	v_mov_b32_dpp v2, v1 quad_perm:[1,0,3,2] row_mask:0xf bank_mask:0xf
	s_delay_alu instid0(VALU_DEP_1) | instskip(SKIP_1) | instid1(VALU_DEP_1)
	v_cmp_gt_f32_e32 vcc_lo, v1, v2
	v_cndmask_b32_e32 v1, v2, v1, vcc_lo
	v_mov_b32_dpp v2, v1 quad_perm:[2,3,0,1] row_mask:0xf bank_mask:0xf
	s_delay_alu instid0(VALU_DEP_1) | instskip(SKIP_1) | instid1(VALU_DEP_1)
	v_cmp_gt_f32_e32 vcc_lo, v1, v2
	v_cndmask_b32_e32 v1, v2, v1, vcc_lo
	v_mov_b32_dpp v2, v1 row_xmask:7 row_mask:0xf bank_mask:0xf
	s_delay_alu instid0(VALU_DEP_1) | instskip(SKIP_1) | instid1(VALU_DEP_1)
	v_cmp_gt_f32_e32 vcc_lo, v1, v2
	v_cndmask_b32_e32 v1, v2, v1, vcc_lo
	v_dual_mul_f32 v30, 0x3b124925, v1 :: v_dual_mov_b32 v1, s34
	v_mov_b32_e32 v2, s35
.LBB18_41:
	s_and_saveexec_b32 s0, s1
	s_cbranch_execz .LBB18_43
; %bb.42:
	s_delay_alu instid0(VALU_DEP_1) | instskip(NEXT) | instid1(VALU_DEP_1)
	v_lshlrev_b64 v[0:1], 2, v[1:2]
	v_add_co_u32 v0, vcc_lo, s16, v0
	s_delay_alu instid0(VALU_DEP_2)
	v_add_co_ci_u32_e32 v1, vcc_lo, s17, v1, vcc_lo
	global_store_b32 v[0:1], v30, off
.LBB18_43:
	s_or_b32 exec_lo, exec_lo, s0
	;;#ASMSTART
	v_rcp_f32 v2, v30
	;;#ASMEND
	v_dual_mul_f32 v0, v27, v2 :: v_dual_mov_b32 v27, 0x43e00000
	v_dual_mul_f32 v1, v28, v2 :: v_dual_mov_b32 v14, 0xc3e00000
	v_mul_f32_e32 v25, v25, v2
	v_mul_f32_e32 v26, v26, v2
	;;#ASMSTART
	v_med3_f32 v0, v0, v14, v27
v_med3_f32 v1, v1, v14, v27
v_cvt_pk_fp8_f32 v28, v0, v1
	;;#ASMEND
	;;#ASMSTART
	v_med3_f32 v25, v25, v14, v27
v_med3_f32 v26, v26, v14, v27
v_cvt_pk_fp8_f32 v0, v25, v26
	;;#ASMEND
	v_perm_b32 v1, v0, v28, 0x5040100
	v_and_b32_e32 v0, 0xffffff00, v0
	s_add_i32 s0, s5, 3
	v_mul_f32_e32 v24, v24, v2
	s_ashr_i32 s1, s0, 31
	v_lshrrev_b32_e32 v25, 16, v1
	s_lshr_b32 s1, s1, 30
	v_mul_f32_e32 v21, v21, v2
	v_mul_f32_e32 v22, v22, v2
	s_add_i32 s0, s0, s1
	v_and_b32_e32 v25, 0xff, v25
	s_ashr_i32 s1, s9, 31
	s_mul_hi_u32 s3, s9, s34
	s_mul_i32 s1, s1, s34
	s_and_b32 s2, s0, -4
	v_or_b32_e32 v0, v25, v0
	v_mul_f32_e32 v23, v23, v2
	s_mul_i32 s0, s9, s34
	s_add_i32 s3, s3, s1
	s_add_u32 s0, s12, s0
	v_lshlrev_b32_e32 v0, 16, v0
	;;#ASMSTART
	v_med3_f32 v23, v23, v14, v27
v_med3_f32 v24, v24, v14, v27
v_cvt_pk_fp8_f32 v25, v23, v24
	;;#ASMEND
	;;#ASMSTART
	v_med3_f32 v21, v21, v14, v27
v_med3_f32 v22, v22, v14, v27
v_cvt_pk_fp8_f32 v23, v21, v22
	;;#ASMEND
	v_lshlrev_b32_e32 v21, 16, v23
	s_addc_u32 s1, s13, s3
	v_and_or_b32 v0, 0xffff, v1, v0
	s_and_b32 s1, s1, 0xffff
	s_mov_b32 s3, -1
	v_and_or_b32 v1, 0xffff, v25, v21
	v_mul_f32_e32 v19, v19, v2
	v_mul_f32_e32 v20, v20, v2
	;; [unrolled: 1-line block ×4, first 2 shown]
	buffer_store_b64 v[0:1], v13, s[0:3], 0 offen
	;;#ASMSTART
	s_nop 0
	;;#ASMEND
	;;#ASMSTART
	v_med3_f32 v19, v19, v14, v27
v_med3_f32 v20, v20, v14, v27
v_cvt_pk_fp8_f32 v0, v19, v20
	;;#ASMEND
	;;#ASMSTART
	v_med3_f32 v17, v17, v14, v27
v_med3_f32 v18, v18, v14, v27
v_cvt_pk_fp8_f32 v1, v17, v18
	;;#ASMEND
	v_perm_b32 v0, v1, v0, 0x5040100
	v_and_b32_e32 v1, 0xffffff00, v1
	v_mul_f32_e32 v15, v15, v2
	v_mul_f32_e32 v16, v16, v2
	;; [unrolled: 1-line block ×3, first 2 shown]
	v_lshrrev_b32_e32 v17, 16, v0
	v_mul_f32_e32 v12, v12, v2
	s_movk_i32 s4, 0x100
	v_mul_f32_e32 v10, v10, v2
	v_mul_f32_e32 v9, v9, v2
	v_and_b32_e32 v17, 0xff, v17
	v_mul_f32_e32 v7, v7, v2
	v_mul_f32_e32 v8, v8, v2
	;; [unrolled: 1-line block ×4, first 2 shown]
	v_or_b32_e32 v1, v17, v1
	;;#ASMSTART
	v_med3_f32 v15, v15, v14, v27
v_med3_f32 v16, v16, v14, v27
v_cvt_pk_fp8_f32 v17, v15, v16
	;;#ASMEND
	;;#ASMSTART
	v_med3_f32 v11, v11, v14, v27
v_med3_f32 v12, v12, v14, v27
v_cvt_pk_fp8_f32 v15, v11, v12
	;;#ASMEND
	v_lshlrev_b32_e32 v11, 16, v15
	s_delay_alu instid0(VALU_DEP_2) | instskip(SKIP_1) | instid1(VALU_DEP_3)
	v_dual_mul_f32 v3, v3, v2 :: v_dual_lshlrev_b32 v12, 16, v1
	v_mul_f32_e32 v2, v4, v2
	v_and_or_b32 v1, 0xffff, v17, v11
	s_delay_alu instid0(VALU_DEP_3)
	v_and_or_b32 v0, 0xffff, v0, v12
	buffer_store_b64 v[0:1], v13, s[0:3], s4 offen
	;;#ASMSTART
	s_nop 0
	;;#ASMEND
	;;#ASMSTART
	v_med3_f32 v10, v10, v14, v27
v_med3_f32 v9, v9, v14, v27
v_cvt_pk_fp8_f32 v0, v10, v9
	;;#ASMEND
	;;#ASMSTART
	v_med3_f32 v7, v7, v14, v27
v_med3_f32 v8, v8, v14, v27
v_cvt_pk_fp8_f32 v1, v7, v8
	;;#ASMEND
	v_perm_b32 v0, v1, v0, 0x5040100
	v_and_b32_e32 v1, 0xffffff00, v1
	;;#ASMSTART
	v_med3_f32 v6, v6, v14, v27
v_med3_f32 v5, v5, v14, v27
v_cvt_pk_fp8_f32 v4, v6, v5
	;;#ASMEND
	;;#ASMSTART
	v_med3_f32 v3, v3, v14, v27
v_med3_f32 v2, v2, v14, v27
v_cvt_pk_fp8_f32 v5, v3, v2
	;;#ASMEND
	v_lshlrev_b32_e32 v2, 16, v5
	v_lshrrev_b32_e32 v7, 16, v0
	s_movk_i32 s4, 0x200
	s_delay_alu instid0(VALU_DEP_1) | instskip(NEXT) | instid1(VALU_DEP_1)
	v_and_b32_e32 v7, 0xff, v7
	v_or_b32_e32 v1, v7, v1
	s_delay_alu instid0(VALU_DEP_1) | instskip(SKIP_1) | instid1(VALU_DEP_2)
	v_lshlrev_b32_e32 v3, 16, v1
	v_and_or_b32 v1, 0xffff, v4, v2
	v_and_or_b32 v0, 0xffff, v0, v3
	buffer_store_b64 v[0:1], v13, s[0:3], s4 offen
	;;#ASMSTART
	s_nop 0
	;;#ASMEND
.LBB18_44:
	s_nop 0
	s_sendmsg sendmsg(MSG_DEALLOC_VGPRS)
	s_endpgm
.LBB18_45:
                                        ; implicit-def: $vgpr1_vgpr2
	s_branch .LBB18_32
	.section	.rodata,"a",@progbits
	.p2align	6, 0x0
	.amdhsa_kernel _ZN5aiter24add_rmsnorm_quant_kernelItDB8_Li256ELi24ELb1ELb1ELb1ELi1EEEvPT0_PT_PfS5_S5_S5_diiiiiiib
		.amdhsa_group_segment_fixed_size 64
		.amdhsa_private_segment_fixed_size 0
		.amdhsa_kernarg_size 88
		.amdhsa_user_sgpr_count 15
		.amdhsa_user_sgpr_dispatch_ptr 0
		.amdhsa_user_sgpr_queue_ptr 0
		.amdhsa_user_sgpr_kernarg_segment_ptr 1
		.amdhsa_user_sgpr_dispatch_id 0
		.amdhsa_user_sgpr_private_segment_size 0
		.amdhsa_wavefront_size32 1
		.amdhsa_uses_dynamic_stack 0
		.amdhsa_enable_private_segment 0
		.amdhsa_system_sgpr_workgroup_id_x 1
		.amdhsa_system_sgpr_workgroup_id_y 0
		.amdhsa_system_sgpr_workgroup_id_z 0
		.amdhsa_system_sgpr_workgroup_info 0
		.amdhsa_system_vgpr_workitem_id 0
		.amdhsa_next_free_vgpr 61
		.amdhsa_next_free_sgpr 40
		.amdhsa_reserve_vcc 1
		.amdhsa_float_round_mode_32 0
		.amdhsa_float_round_mode_16_64 0
		.amdhsa_float_denorm_mode_32 3
		.amdhsa_float_denorm_mode_16_64 3
		.amdhsa_dx10_clamp 1
		.amdhsa_ieee_mode 1
		.amdhsa_fp16_overflow 0
		.amdhsa_workgroup_processor_mode 1
		.amdhsa_memory_ordered 1
		.amdhsa_forward_progress 0
		.amdhsa_shared_vgpr_count 0
		.amdhsa_exception_fp_ieee_invalid_op 0
		.amdhsa_exception_fp_denorm_src 0
		.amdhsa_exception_fp_ieee_div_zero 0
		.amdhsa_exception_fp_ieee_overflow 0
		.amdhsa_exception_fp_ieee_underflow 0
		.amdhsa_exception_fp_ieee_inexact 0
		.amdhsa_exception_int_div_zero 0
	.end_amdhsa_kernel
	.section	.text._ZN5aiter24add_rmsnorm_quant_kernelItDB8_Li256ELi24ELb1ELb1ELb1ELi1EEEvPT0_PT_PfS5_S5_S5_diiiiiiib,"axG",@progbits,_ZN5aiter24add_rmsnorm_quant_kernelItDB8_Li256ELi24ELb1ELb1ELb1ELi1EEEvPT0_PT_PfS5_S5_S5_diiiiiiib,comdat
.Lfunc_end18:
	.size	_ZN5aiter24add_rmsnorm_quant_kernelItDB8_Li256ELi24ELb1ELb1ELb1ELi1EEEvPT0_PT_PfS5_S5_S5_diiiiiiib, .Lfunc_end18-_ZN5aiter24add_rmsnorm_quant_kernelItDB8_Li256ELi24ELb1ELb1ELb1ELi1EEEvPT0_PT_PfS5_S5_S5_diiiiiiib
                                        ; -- End function
	.section	.AMDGPU.csdata,"",@progbits
; Kernel info:
; codeLenInByte = 5792
; NumSgprs: 42
; NumVgprs: 61
; ScratchSize: 0
; MemoryBound: 0
; FloatMode: 240
; IeeeMode: 1
; LDSByteSize: 64 bytes/workgroup (compile time only)
; SGPRBlocks: 5
; VGPRBlocks: 7
; NumSGPRsForWavesPerEU: 42
; NumVGPRsForWavesPerEU: 61
; Occupancy: 16
; WaveLimiterHint : 0
; COMPUTE_PGM_RSRC2:SCRATCH_EN: 0
; COMPUTE_PGM_RSRC2:USER_SGPR: 15
; COMPUTE_PGM_RSRC2:TRAP_HANDLER: 0
; COMPUTE_PGM_RSRC2:TGID_X_EN: 1
; COMPUTE_PGM_RSRC2:TGID_Y_EN: 0
; COMPUTE_PGM_RSRC2:TGID_Z_EN: 0
; COMPUTE_PGM_RSRC2:TIDIG_COMP_CNT: 0
	.section	.text._ZN5aiter24add_rmsnorm_quant_kernelIDF16_DB8_Li256ELi24ELb1ELb1ELb0ELi1EEEvPT0_PT_PfS5_S5_S5_diiiiiiib,"axG",@progbits,_ZN5aiter24add_rmsnorm_quant_kernelIDF16_DB8_Li256ELi24ELb1ELb1ELb0ELi1EEEvPT0_PT_PfS5_S5_S5_diiiiiiib,comdat
	.protected	_ZN5aiter24add_rmsnorm_quant_kernelIDF16_DB8_Li256ELi24ELb1ELb1ELb0ELi1EEEvPT0_PT_PfS5_S5_S5_diiiiiiib ; -- Begin function _ZN5aiter24add_rmsnorm_quant_kernelIDF16_DB8_Li256ELi24ELb1ELb1ELb0ELi1EEEvPT0_PT_PfS5_S5_S5_diiiiiiib
	.globl	_ZN5aiter24add_rmsnorm_quant_kernelIDF16_DB8_Li256ELi24ELb1ELb1ELb0ELi1EEEvPT0_PT_PfS5_S5_S5_diiiiiiib
	.p2align	8
	.type	_ZN5aiter24add_rmsnorm_quant_kernelIDF16_DB8_Li256ELi24ELb1ELb1ELb0ELi1EEEvPT0_PT_PfS5_S5_S5_diiiiiiib,@function
_ZN5aiter24add_rmsnorm_quant_kernelIDF16_DB8_Li256ELi24ELb1ELb1ELb0ELi1EEEvPT0_PT_PfS5_S5_S5_diiiiiiib: ; @_ZN5aiter24add_rmsnorm_quant_kernelIDF16_DB8_Li256ELi24ELb1ELb1ELb0ELi1EEEvPT0_PT_PfS5_S5_S5_diiiiiiib
; %bb.0:
	s_load_b256 s[4:11], s[0:1], 0x38
	s_mov_b32 s34, s15
	s_mov_b32 s35, 0
	s_waitcnt lgkmcnt(0)
	s_ashr_i32 s3, s4, 31
	s_mov_b32 s2, s4
	s_delay_alu instid0(SALU_CYCLE_1) | instskip(NEXT) | instid1(VALU_DEP_1)
	v_cmp_ge_i64_e64 s2, s[34:35], s[2:3]
	s_and_b32 vcc_lo, exec_lo, s2
	s_cbranch_vccnz .LBB19_44
; %bb.1:
	s_clause 0x1
	s_load_b256 s[12:19], s[0:1], 0x0
	s_load_b256 s[20:27], s[0:1], 0x20
	s_ashr_i32 s1, s6, 31
	s_mul_hi_u32 s2, s6, s34
	s_mul_i32 s1, s1, s34
	s_mul_i32 s0, s6, s34
	s_add_i32 s1, s2, s1
	s_mul_hi_u32 s3, s7, s34
	s_lshl_b64 s[0:1], s[0:1], 1
	s_mul_i32 s2, s7, s34
	v_mul_u32_u24_e32 v13, 48, v0
	s_mov_b32 s31, -1
	s_waitcnt lgkmcnt(0)
	s_add_u32 s28, s18, s0
	s_addc_u32 s0, s19, s1
	s_add_i32 s6, s5, 1
	s_ashr_i32 s7, s7, 31
	s_lshr_b32 s18, s6, 31
	s_mul_i32 s7, s7, s34
	s_add_i32 s6, s6, s18
	s_and_b32 s29, s0, 0xffff
	s_lshl_b32 s0, s6, 1
	s_add_i32 s3, s3, s7
	s_and_b32 s30, s0, -4
	s_lshl_b64 s[2:3], s[2:3], 1
	s_and_b32 s1, s23, 0xffff
	s_clause 0x2
	buffer_load_b128 v[15:18], v13, s[28:31], 0 offen
	buffer_load_b128 v[23:26], v13, s[28:31], 16 offen
	;; [unrolled: 1-line block ×3, first 2 shown]
	s_add_u32 s28, s20, s2
	s_addc_u32 s0, s21, s3
	s_mov_b32 s3, s31
	s_and_b32 s29, s0, 0xffff
	s_clause 0x2
	buffer_load_b128 v[19:22], v13, s[28:31], 0 offen
	buffer_load_b128 v[27:30], v13, s[28:31], 16 offen
	;; [unrolled: 1-line block ×3, first 2 shown]
	s_mov_b32 s0, s22
	s_mov_b32 s2, s30
	s_clause 0x2
	buffer_load_b128 v[9:12], v13, s[0:3], 0 offen
	buffer_load_b128 v[5:8], v13, s[0:3], 16 offen
	;; [unrolled: 1-line block ×3, first 2 shown]
	s_ashr_i32 s0, s8, 31
	s_mul_hi_u32 s1, s8, s34
	s_mul_i32 s2, s0, s34
	s_mul_i32 s0, s8, s34
	s_add_i32 s1, s1, s2
	s_delay_alu instid0(SALU_CYCLE_1) | instskip(NEXT) | instid1(SALU_CYCLE_1)
	s_lshl_b64 s[0:1], s[0:1], 1
	s_add_u32 s28, s14, s0
	s_addc_u32 s0, s15, s1
	s_delay_alu instid0(SALU_CYCLE_1)
	s_and_b32 s29, s0, 0xffff
	s_waitcnt vmcnt(8)
	v_lshrrev_b32_e32 v14, 16, v15
	v_cvt_f32_f16_e32 v40, v15
	v_lshrrev_b32_e32 v41, 16, v16
	v_cvt_f32_f16_e32 v42, v17
	v_cvt_f32_f16_e32 v43, v18
	;; [unrolled: 1-line block ×3, first 2 shown]
	s_waitcnt vmcnt(5)
	v_lshrrev_b32_e32 v39, 16, v19
	v_cvt_f32_f16_e32 v44, v23
	v_lshrrev_b32_e32 v23, 16, v23
	s_delay_alu instid0(VALU_DEP_3) | instskip(SKIP_3) | instid1(VALU_DEP_4)
	v_cvt_f32_f16_e32 v15, v39
	v_cvt_f32_f16_e32 v39, v16
	;; [unrolled: 1-line block ×3, first 2 shown]
	v_lshrrev_b32_e32 v19, 16, v20
	v_add_f32_e32 v15, v14, v15
	v_lshrrev_b32_e32 v14, 16, v17
	s_delay_alu instid0(VALU_DEP_4)
	v_add_f32_e32 v16, v40, v16
	v_cvt_f32_f16_e32 v17, v20
	v_cvt_f32_f16_e32 v20, v41
	;; [unrolled: 1-line block ×4, first 2 shown]
	v_lshrrev_b32_e32 v21, 16, v21
	v_dual_mul_f32 v40, v15, v15 :: v_dual_and_b32 v51, 31, v0
	v_add_f32_e32 v17, v39, v17
	v_lshrrev_b32_e32 v39, 16, v18
	v_dual_add_f32 v18, v20, v19 :: v_dual_add_f32 v19, v42, v41
	v_cvt_f32_f16_e32 v20, v21
	v_cvt_f32_f16_e32 v21, v22
	v_lshrrev_b32_e32 v22, 16, v22
	v_fmac_f32_e32 v40, v16, v16
	v_cvt_f32_f16_e32 v14, v14
	v_cvt_f32_f16_e32 v39, v39
	v_lshrrev_b32_e32 v41, 16, v24
	v_cvt_f32_f16_e32 v22, v22
	v_add_f32_e32 v21, v43, v21
	v_cvt_f32_f16_e32 v42, v23
	v_lshrrev_b32_e32 v43, 16, v25
	v_cvt_f16_f32_e32 v53, v18
	v_add_f32_e32 v22, v39, v22
	v_cvt_f32_f16_e32 v39, v25
	v_add_f32_e32 v20, v14, v20
	v_cvt_f32_f16_e32 v14, v24
	s_waitcnt vmcnt(4)
	v_cvt_f32_f16_e32 v24, v27
	v_fmac_f32_e32 v40, v17, v17
	v_lshrrev_b32_e32 v27, 16, v27
	v_cvt_f32_f16_e32 v25, v28
	v_lshrrev_b32_e32 v28, 16, v28
	s_delay_alu instid0(VALU_DEP_4) | instskip(NEXT) | instid1(VALU_DEP_4)
	v_dual_add_f32 v23, v44, v24 :: v_dual_fmac_f32 v40, v18, v18
	v_cvt_f32_f16_e32 v27, v27
	s_delay_alu instid0(VALU_DEP_4) | instskip(NEXT) | instid1(VALU_DEP_4)
	v_add_f32_e32 v25, v14, v25
	v_cvt_f32_f16_e32 v28, v28
	v_lshrrev_b32_e32 v14, 16, v26
	v_fmac_f32_e32 v40, v19, v19
	v_add_f32_e32 v24, v42, v27
	v_cvt_f32_f16_e32 v27, v41
	v_cvt_f32_f16_e32 v41, v29
	v_lshrrev_b32_e32 v29, 16, v29
	v_cvt_f32_f16_e32 v42, v26
	v_cvt_f32_f16_e32 v44, v31
	v_add_f32_e32 v26, v27, v28
	v_cvt_f32_f16_e32 v28, v43
	v_cvt_f32_f16_e32 v29, v29
	v_add_f32_e32 v27, v39, v41
	v_cvt_f32_f16_e32 v39, v30
	v_lshrrev_b32_e32 v30, 16, v30
	v_fmac_f32_e32 v40, v20, v20
	v_lshrrev_b32_e32 v31, 16, v31
	s_delay_alu instid0(VALU_DEP_4)
	v_dual_add_f32 v28, v28, v29 :: v_dual_add_f32 v29, v42, v39
	v_cvt_f32_f16_e32 v41, v32
	v_cvt_f32_f16_e32 v14, v14
	v_cvt_f32_f16_e32 v30, v30
	v_lshrrev_b32_e32 v39, 16, v32
	s_waitcnt vmcnt(3)
	v_cvt_f32_f16_e32 v32, v35
	v_lshrrev_b32_e32 v35, 16, v35
	v_cvt_f32_f16_e32 v42, v31
	v_add_f32_e32 v30, v14, v30
	v_cvt_f32_f16_e32 v14, v33
	v_lshrrev_b32_e32 v43, 16, v33
	v_cvt_f32_f16_e32 v35, v35
	v_cvt_f32_f16_e32 v33, v36
	v_lshrrev_b32_e32 v36, 16, v36
	v_add_f32_e32 v31, v44, v32
	v_cvt_f16_f32_e32 v55, v20
	v_add_f32_e32 v32, v42, v35
	v_cvt_f32_f16_e32 v35, v39
	v_cvt_f32_f16_e32 v36, v36
	v_add_f32_e32 v33, v41, v33
	v_cvt_f32_f16_e32 v41, v37
	v_lshrrev_b32_e32 v37, 16, v37
	v_cvt_f32_f16_e32 v42, v34
	v_lshrrev_b32_e32 v39, 16, v34
	v_add_f32_e32 v34, v35, v36
	v_cvt_f32_f16_e32 v36, v43
	v_cvt_f32_f16_e32 v37, v37
	v_add_f32_e32 v35, v14, v41
	v_cvt_f32_f16_e32 v14, v38
	v_fmac_f32_e32 v40, v21, v21
	v_lshrrev_b32_e32 v43, 16, v38
	v_add_f32_e32 v36, v36, v37
	v_cvt_f32_f16_e32 v38, v39
	v_add_f32_e32 v37, v42, v14
	v_fmac_f32_e32 v40, v22, v22
	v_cvt_f32_f16_e32 v39, v43
	v_cvt_f16_f32_e32 v41, v19
	v_cvt_f16_f32_e32 v14, v16
	v_cvt_f16_f32_e32 v43, v17
	v_fmac_f32_e32 v40, v23, v23
	v_add_f32_e32 v38, v38, v39
	v_cvt_f16_f32_e32 v39, v15
	v_pack_b32_f16 v41, v41, v55
	v_cvt_f16_f32_e32 v42, v21
	v_fmac_f32_e32 v40, v24, v24
	v_cvt_f16_f32_e32 v56, v22
	v_pack_b32_f16 v39, v14, v39
	v_cvt_f16_f32_e32 v47, v23
	v_cvt_f16_f32_e32 v44, v25
	v_fmac_f32_e32 v40, v25, v25
	v_cvt_f16_f32_e32 v45, v27
	v_cvt_f16_f32_e32 v46, v29
	v_cvt_f16_f32_e32 v52, v31
	v_cvt_f16_f32_e32 v48, v33
	v_fmac_f32_e32 v40, v26, v26
	v_cvt_f16_f32_e32 v49, v35
	v_cvt_f16_f32_e32 v50, v37
	;; [unrolled: 5-line block ×3, first 2 shown]
	v_cvt_f16_f32_e32 v63, v36
	v_cvt_f16_f32_e32 v64, v38
	v_fmac_f32_e32 v40, v28, v28
	v_pack_b32_f16 v42, v42, v56
	v_pack_b32_f16 v46, v46, v59
	;; [unrolled: 1-line block ×4, first 2 shown]
	v_fmac_f32_e32 v40, v29, v29
	v_pack_b32_f16 v49, v49, v63
	v_pack_b32_f16 v48, v48, v61
	v_cmp_eq_u32_e64 s0, 31, v51
	s_delay_alu instid0(VALU_DEP_4) | instskip(NEXT) | instid1(VALU_DEP_1)
	v_fmac_f32_e32 v40, v30, v30
	v_fmac_f32_e32 v40, v31, v31
	s_delay_alu instid0(VALU_DEP_1) | instskip(NEXT) | instid1(VALU_DEP_1)
	v_fmac_f32_e32 v40, v32, v32
	v_fmac_f32_e32 v40, v33, v33
	s_delay_alu instid0(VALU_DEP_1) | instskip(NEXT) | instid1(VALU_DEP_1)
	;; [unrolled: 3-line block ×4, first 2 shown]
	v_fmac_f32_e32 v40, v38, v38
	v_mov_b32_dpp v54, v40 quad_perm:[1,0,3,2] row_mask:0xf bank_mask:0xf
	s_delay_alu instid0(VALU_DEP_1) | instskip(SKIP_1) | instid1(VALU_DEP_2)
	v_add_f32_e32 v40, v40, v54
	v_cvt_f16_f32_e32 v54, v28
	v_mov_b32_dpp v62, v40 quad_perm:[2,3,0,1] row_mask:0xf bank_mask:0xf
	s_delay_alu instid0(VALU_DEP_2) | instskip(NEXT) | instid1(VALU_DEP_2)
	v_pack_b32_f16 v45, v45, v54
	v_add_f32_e32 v55, v40, v62
	v_cvt_f16_f32_e32 v60, v32
	v_pack_b32_f16 v40, v43, v53
	v_pack_b32_f16 v43, v47, v57
	s_delay_alu instid0(VALU_DEP_4) | instskip(NEXT) | instid1(VALU_DEP_4)
	v_mov_b32_dpp v14, v55 row_xmask:7 row_mask:0xf bank_mask:0xf
	v_pack_b32_f16 v47, v52, v60
	buffer_store_b128 v[39:42], v13, s[28:31], 0 offen
	;;#ASMSTART
	s_nop 0
	;;#ASMEND
	buffer_store_b128 v[43:46], v13, s[28:31], 16 offen
	v_add_f32_e32 v14, v55, v14
	;;#ASMSTART
	s_nop 0
	;;#ASMEND
	buffer_store_b128 v[47:50], v13, s[28:31], 32 offen
	;;#ASMSTART
	s_nop 0
	;;#ASMEND
	v_mov_b32_dpp v39, v14 row_xmask:15 row_mask:0xf bank_mask:0xf
	s_and_saveexec_b32 s1, s0
	s_cbranch_execz .LBB19_3
; %bb.2:
	s_delay_alu instid0(VALU_DEP_1) | instskip(SKIP_2) | instid1(VALU_DEP_1)
	v_add_f32_e32 v13, v14, v39
	v_lshrrev_b32_e32 v14, 3, v0
	s_mov_b32 s2, 0x76543210
	v_and_b32_e32 v14, 0x7c, v14
	s_delay_alu instid0(VALU_DEP_3) | instskip(NEXT) | instid1(VALU_DEP_1)
	v_permlanex16_b32 v39, v13, s2, 0xfedcba98 op_sel:[1,1]
	v_add_f32_e32 v13, v13, v39
	ds_store_b32 v14, v13 offset:32
.LBB19_3:
	s_or_b32 exec_lo, exec_lo, s1
	v_and_b32_e32 v13, 7, v0
	s_waitcnt vmcnt(0) lgkmcnt(0)
	s_waitcnt_vscnt null, 0x0
	s_barrier
	buffer_gl0_inv
	v_cvt_f32_i32_e32 v40, s5
	v_lshlrev_b32_e32 v14, 2, v13
	v_cvt_f32_f16_e32 v48, v8
	v_lshrrev_b32_e32 v8, 16, v8
	v_cvt_f32_f16_e32 v49, v2
	v_lshrrev_b32_e32 v2, 16, v2
	ds_load_b32 v13, v14 offset:32
	v_cvt_f32_f16_e32 v51, v4
	v_lshrrev_b32_e32 v4, 16, v4
	v_cvt_f32_f16_e32 v8, v8
	v_cvt_f32_f16_e32 v2, v2
	;; [unrolled: 1-line block ×3, first 2 shown]
	v_lshrrev_b32_e32 v3, 16, v3
	v_cvt_f32_f16_e32 v4, v4
	v_cvt_f32_f16_e32 v45, v6
	v_lshrrev_b32_e32 v6, 16, v6
	v_cvt_f32_f16_e32 v46, v7
	v_cvt_f32_f16_e32 v3, v3
	v_lshrrev_b32_e32 v7, 16, v7
	s_cmp_lg_u32 s10, 0
	v_cvt_f32_f16_e32 v6, v6
	v_mov_b32_e32 v52, 0x2edbe6ff
	s_delay_alu instid0(VALU_DEP_3) | instskip(SKIP_2) | instid1(VALU_DEP_1)
	v_cvt_f32_f16_e32 v7, v7
	s_waitcnt lgkmcnt(0)
	v_mov_b32_dpp v39, v13 quad_perm:[1,0,3,2] row_mask:0xf bank_mask:0xf
	v_add_f32_e32 v13, v13, v39
	s_delay_alu instid0(VALU_DEP_1) | instskip(NEXT) | instid1(VALU_DEP_1)
	v_mov_b32_dpp v39, v13 quad_perm:[2,3,0,1] row_mask:0xf bank_mask:0xf
	v_add_f32_e32 v13, v13, v39
	s_delay_alu instid0(VALU_DEP_1) | instskip(NEXT) | instid1(VALU_DEP_1)
	v_mov_b32_dpp v39, v13 row_xmask:7 row_mask:0xf bank_mask:0xf
	v_add_f32_e32 v13, v13, v39
	s_delay_alu instid0(VALU_DEP_1) | instskip(SKIP_1) | instid1(VALU_DEP_2)
	v_div_scale_f32 v39, null, v40, v40, v13
	v_div_scale_f32 v43, vcc_lo, v13, v40, v13
	v_rcp_f32_e32 v41, v39
	s_waitcnt_depctr 0xfff
	v_fma_f32 v42, -v39, v41, 1.0
	s_delay_alu instid0(VALU_DEP_1) | instskip(NEXT) | instid1(VALU_DEP_1)
	v_fmac_f32_e32 v41, v42, v41
	v_mul_f32_e32 v42, v43, v41
	s_delay_alu instid0(VALU_DEP_1) | instskip(NEXT) | instid1(VALU_DEP_1)
	v_fma_f32 v44, -v39, v42, v43
	v_fmac_f32_e32 v42, v44, v41
	v_cvt_f32_f16_e32 v44, v5
	v_lshrrev_b32_e32 v5, 16, v5
	s_delay_alu instid0(VALU_DEP_3) | instskip(SKIP_2) | instid1(VALU_DEP_4)
	v_fma_f32 v39, -v39, v42, v43
	v_cvt_f32_f16_e32 v43, v12
	v_lshrrev_b32_e32 v12, 16, v12
	v_cvt_f32_f16_e32 v5, v5
	s_delay_alu instid0(VALU_DEP_4)
	v_div_fmas_f32 v39, v39, v41, v42
	v_cvt_f32_f16_e32 v41, v10
	v_lshrrev_b32_e32 v10, 16, v10
	v_cvt_f32_f16_e32 v42, v11
	v_lshrrev_b32_e32 v11, 16, v11
	v_div_fixup_f32 v13, v39, v40, v13
	v_cvt_f32_f16_e32 v12, v12
	v_cvt_f32_f16_e32 v10, v10
	s_delay_alu instid0(VALU_DEP_4) | instskip(NEXT) | instid1(VALU_DEP_4)
	v_cvt_f32_f16_e32 v11, v11
	v_cvt_f64_f32_e32 v[39:40], v13
	v_mul_u32_u24_e32 v13, 24, v0
	s_delay_alu instid0(VALU_DEP_2) | instskip(NEXT) | instid1(VALU_DEP_1)
	v_add_f64 v[39:40], v[39:40], s[24:25]
	v_cvt_f32_f64_e32 v39, v[39:40]
	v_cvt_f32_f16_e32 v40, v9
	v_lshrrev_b32_e32 v9, 16, v9
	s_delay_alu instid0(VALU_DEP_1) | instskip(NEXT) | instid1(VALU_DEP_4)
	v_cvt_f32_f16_e32 v9, v9
	v_mul_f32_e32 v47, 0x4b800000, v39
	v_cmp_gt_f32_e32 vcc_lo, 0x800000, v39
	s_delay_alu instid0(VALU_DEP_2) | instskip(SKIP_2) | instid1(VALU_DEP_3)
	v_cndmask_b32_e32 v39, v39, v47, vcc_lo
	v_cvt_f32_f16_e32 v47, v1
	v_lshrrev_b32_e32 v1, 16, v1
	v_rsq_f32_e32 v39, v39
	s_delay_alu instid0(VALU_DEP_1) | instskip(SKIP_2) | instid1(VALU_DEP_1)
	v_cvt_f32_f16_e32 v1, v1
	s_waitcnt_depctr 0xfff
	v_mul_f32_e32 v53, 0x45800000, v39
	v_cndmask_b32_e32 v39, v39, v53, vcc_lo
	s_delay_alu instid0(VALU_DEP_1) | instskip(SKIP_1) | instid1(VALU_DEP_2)
	v_mul_f32_e32 v20, v20, v39
	v_mul_f32_e32 v54, v24, v39
	;; [unrolled: 1-line block ×12, first 2 shown]
	v_dual_mul_f32 v8, v34, v2 :: v_dual_mul_f32 v21, v21, v43
	v_mul_f32_e32 v38, v38, v39
	v_mul_f32_e32 v53, v23, v39
	v_dual_mul_f32 v23, v19, v42 :: v_dual_mul_f32 v18, v18, v39
	v_mul_f32_e32 v58, v28, v39
	s_delay_alu instid0(VALU_DEP_4) | instskip(NEXT) | instid1(VALU_DEP_4)
	v_mul_f32_e32 v4, v38, v4
	v_mul_f32_e32 v19, v53, v44
	v_dual_mul_f32 v15, v15, v39 :: v_dual_mul_f32 v20, v54, v5
	v_mul_f32_e32 v35, v35, v39
	v_dual_mul_f32 v5, v36, v3 :: v_dual_and_b32 v42, 0x7fffffff, v12
	s_delay_alu instid0(VALU_DEP_3) | instskip(NEXT) | instid1(VALU_DEP_4)
	v_mul_f32_e32 v28, v15, v9
	v_dual_mul_f32 v55, v25, v39 :: v_dual_and_b32 v36, 0x7fffffff, v20
	v_mul_f32_e32 v56, v26, v39
	v_mul_f32_e32 v17, v17, v39
	s_delay_alu instid0(VALU_DEP_4)
	v_dual_mul_f32 v57, v27, v39 :: v_dual_and_b32 v2, 0x7fffffff, v28
	v_dual_mul_f32 v33, v33, v39 :: v_dual_and_b32 v34, 0x7fffffff, v22
	v_mul_f32_e32 v32, v32, v39
	v_dual_mul_f32 v27, v16, v40 :: v_dual_mul_f32 v26, v18, v10
	v_dual_mul_f32 v29, v29, v39 :: v_dual_mul_f32 v18, v56, v6
	v_mul_f32_e32 v25, v17, v41
	v_mul_f32_e32 v31, v31, v39
	;; [unrolled: 1-line block ×4, first 2 shown]
	v_and_b32_e32 v38, 0x7fffffff, v18
	v_mul_f32_e32 v6, v35, v50
	v_dual_mul_f32 v17, v55, v45 :: v_dual_mul_f32 v16, v58, v7
	v_mul_f32_e32 v7, v33, v49
	v_mul_f32_e32 v9, v32, v1
	v_and_b32_e32 v1, 0x7fffffff, v27
	;;#ASMSTART
	v_max3_f32 v1, v52, v1, v2

	;;#ASMEND
	v_dual_mul_f32 v11, v29, v48 :: v_dual_and_b32 v30, 0x7fffffff, v26
	v_and_b32_e32 v29, 0x7fffffff, v25
	;;#ASMSTART
	v_max3_f32 v1, v1, v29, v30

	;;#ASMEND
	v_and_b32_e32 v32, 0x7fffffff, v24
	v_dual_mul_f32 v10, v31, v47 :: v_dual_and_b32 v47, 0x7fffffff, v6
	v_and_b32_e32 v31, 0x7fffffff, v23
	;;#ASMSTART
	v_max3_f32 v1, v1, v31, v32

	;;#ASMEND
	v_dual_mul_f32 v3, v37, v51 :: v_dual_and_b32 v44, 0x7fffffff, v9
	v_and_b32_e32 v37, 0x7fffffff, v17
	v_and_b32_e32 v40, 0x7fffffff, v16
	;; [unrolled: 1-line block ×3, first 2 shown]
	;;#ASMSTART
	v_max3_f32 v1, v1, v33, v34

	;;#ASMEND
	v_and_b32_e32 v35, 0x7fffffff, v19
	;;#ASMSTART
	v_max3_f32 v1, v1, v35, v36

	;;#ASMEND
	;;#ASMSTART
	v_max3_f32 v1, v1, v37, v38

	;;#ASMEND
	v_and_b32_e32 v39, 0x7fffffff, v15
	;;#ASMSTART
	v_max3_f32 v1, v1, v39, v40

	;;#ASMEND
	v_and_b32_e32 v41, 0x7fffffff, v11
	;; [unrolled: 5-line block ×4, first 2 shown]
	v_and_b32_e32 v46, 0x7fffffff, v8
	;;#ASMSTART
	v_max3_f32 v1, v1, v45, v46

	;;#ASMEND
	v_and_b32_e32 v48, 0x7fffffff, v5
	v_and_b32_e32 v49, 0x7fffffff, v3
	;; [unrolled: 1-line block ×3, first 2 shown]
	;;#ASMSTART
	v_max3_f32 v1, v1, v47, v48

	;;#ASMEND
	;;#ASMSTART
	v_max3_f32 v29, v1, v49, v50

	;;#ASMEND
	s_cbranch_scc0 .LBB19_10
; %bb.4:
	s_mul_hi_i32 s1, s10, 0x2aaaaaab
	s_delay_alu instid0(SALU_CYCLE_1) | instskip(SKIP_1) | instid1(SALU_CYCLE_1)
	s_lshr_b32 s2, s1, 31
	s_ashr_i32 s1, s1, 2
	s_add_i32 s1, s1, s2
	s_delay_alu instid0(SALU_CYCLE_1)
	s_cmp_lt_i32 s1, 8
	s_cbranch_scc1 .LBB19_11
; %bb.5:
	s_cmp_lt_i32 s1, 16
	s_cbranch_scc1 .LBB19_12
; %bb.6:
	;; [unrolled: 3-line block ×3, first 2 shown]
	v_mov_b32_e32 v1, v29
	s_cmp_eq_u32 s1, 32
	s_cbranch_scc0 .LBB19_9
; %bb.8:
	s_delay_alu instid0(VALU_DEP_1) | instskip(SKIP_1) | instid1(VALU_DEP_1)
	v_mov_b32_dpp v1, v29 quad_perm:[1,0,3,2] row_mask:0xf bank_mask:0xf
	s_mov_b32 s2, 0x76543210
	v_cmp_gt_f32_e32 vcc_lo, v29, v1
	v_cndmask_b32_e32 v1, v1, v29, vcc_lo
	s_delay_alu instid0(VALU_DEP_1) | instskip(NEXT) | instid1(VALU_DEP_1)
	v_mov_b32_dpp v2, v1 quad_perm:[2,3,0,1] row_mask:0xf bank_mask:0xf
	v_cmp_gt_f32_e32 vcc_lo, v1, v2
	v_cndmask_b32_e32 v1, v2, v1, vcc_lo
	s_delay_alu instid0(VALU_DEP_1) | instskip(NEXT) | instid1(VALU_DEP_1)
	v_mov_b32_dpp v2, v1 row_xmask:7 row_mask:0xf bank_mask:0xf
	v_cmp_gt_f32_e32 vcc_lo, v1, v2
	v_cndmask_b32_e32 v1, v2, v1, vcc_lo
	s_delay_alu instid0(VALU_DEP_1) | instskip(NEXT) | instid1(VALU_DEP_1)
	v_mov_b32_dpp v2, v1 row_xmask:15 row_mask:0xf bank_mask:0xf
	v_cmp_gt_f32_e32 vcc_lo, v1, v2
	v_cndmask_b32_e32 v1, v2, v1, vcc_lo
	s_delay_alu instid0(VALU_DEP_1) | instskip(NEXT) | instid1(VALU_DEP_1)
	v_permlanex16_b32 v2, v1, s2, 0xfedcba98 op_sel:[1,1]
	v_cmp_gt_f32_e32 vcc_lo, v1, v2
	v_cndmask_b32_e32 v1, v2, v1, vcc_lo
.LBB19_9:
	s_mov_b32 s2, 0
	s_branch .LBB19_14
.LBB19_10:
	s_mov_b32 s1, 0
                                        ; implicit-def: $vgpr30
                                        ; implicit-def: $vgpr1_vgpr2
	s_and_b32 vcc_lo, exec_lo, s31
	s_cbranch_vccnz .LBB19_38
	s_branch .LBB19_41
.LBB19_11:
                                        ; implicit-def: $vgpr1
	s_branch .LBB19_21
.LBB19_12:
                                        ; implicit-def: $vgpr1
	s_branch .LBB19_18
.LBB19_13:
	s_mov_b32 s2, -1
                                        ; implicit-def: $vgpr1
.LBB19_14:
	s_delay_alu instid0(SALU_CYCLE_1)
	s_and_not1_b32 vcc_lo, exec_lo, s2
	s_cbranch_vccnz .LBB19_17
; %bb.15:
	v_mov_b32_e32 v1, v29
	s_cmp_eq_u32 s1, 16
	s_cbranch_scc0 .LBB19_17
; %bb.16:
	s_delay_alu instid0(VALU_DEP_1) | instskip(NEXT) | instid1(VALU_DEP_1)
	v_mov_b32_dpp v1, v29 quad_perm:[1,0,3,2] row_mask:0xf bank_mask:0xf
	v_cmp_gt_f32_e32 vcc_lo, v29, v1
	v_cndmask_b32_e32 v1, v1, v29, vcc_lo
	s_delay_alu instid0(VALU_DEP_1) | instskip(NEXT) | instid1(VALU_DEP_1)
	v_mov_b32_dpp v2, v1 quad_perm:[2,3,0,1] row_mask:0xf bank_mask:0xf
	v_cmp_gt_f32_e32 vcc_lo, v1, v2
	v_cndmask_b32_e32 v1, v2, v1, vcc_lo
	s_delay_alu instid0(VALU_DEP_1) | instskip(NEXT) | instid1(VALU_DEP_1)
	v_mov_b32_dpp v2, v1 row_half_mirror row_mask:0xf bank_mask:0xf
	v_cmp_gt_f32_e32 vcc_lo, v1, v2
	v_cndmask_b32_e32 v1, v2, v1, vcc_lo
	s_delay_alu instid0(VALU_DEP_1) | instskip(NEXT) | instid1(VALU_DEP_1)
	v_mov_b32_dpp v2, v1 row_mirror row_mask:0xf bank_mask:0xf
	v_cmp_gt_f32_e32 vcc_lo, v1, v2
	v_cndmask_b32_e32 v1, v2, v1, vcc_lo
.LBB19_17:
	s_cbranch_execnz .LBB19_20
.LBB19_18:
	v_mov_b32_e32 v1, v29
	s_cmp_eq_u32 s1, 8
	s_cbranch_scc0 .LBB19_20
; %bb.19:
	s_delay_alu instid0(VALU_DEP_1) | instskip(NEXT) | instid1(VALU_DEP_1)
	v_mov_b32_dpp v1, v29 quad_perm:[1,0,3,2] row_mask:0xf bank_mask:0xf
	v_cmp_gt_f32_e32 vcc_lo, v29, v1
	v_cndmask_b32_e32 v1, v1, v29, vcc_lo
	s_delay_alu instid0(VALU_DEP_1) | instskip(NEXT) | instid1(VALU_DEP_1)
	v_mov_b32_dpp v2, v1 quad_perm:[2,3,0,1] row_mask:0xf bank_mask:0xf
	v_cmp_gt_f32_e32 vcc_lo, v1, v2
	v_cndmask_b32_e32 v1, v2, v1, vcc_lo
	s_delay_alu instid0(VALU_DEP_1) | instskip(NEXT) | instid1(VALU_DEP_1)
	v_mov_b32_dpp v2, v1 row_half_mirror row_mask:0xf bank_mask:0xf
	v_cmp_gt_f32_e32 vcc_lo, v1, v2
	v_cndmask_b32_e32 v1, v2, v1, vcc_lo
.LBB19_20:
	s_cbranch_execnz .LBB19_28
.LBB19_21:
	s_cmp_lt_i32 s1, 4
	s_cbranch_scc1 .LBB19_24
; %bb.22:
	v_mov_b32_e32 v1, v29
	s_cmp_eq_u32 s1, 4
	s_cbranch_scc0 .LBB19_25
; %bb.23:
	s_delay_alu instid0(VALU_DEP_1) | instskip(NEXT) | instid1(VALU_DEP_1)
	v_mov_b32_dpp v1, v29 quad_perm:[1,0,3,2] row_mask:0xf bank_mask:0xf
	v_cmp_gt_f32_e32 vcc_lo, v29, v1
	v_cndmask_b32_e32 v1, v1, v29, vcc_lo
	s_delay_alu instid0(VALU_DEP_1) | instskip(NEXT) | instid1(VALU_DEP_1)
	v_mov_b32_dpp v2, v1 quad_perm:[2,3,0,1] row_mask:0xf bank_mask:0xf
	v_cmp_gt_f32_e32 vcc_lo, v1, v2
	v_cndmask_b32_e32 v1, v2, v1, vcc_lo
	s_cbranch_execz .LBB19_26
	s_branch .LBB19_28
.LBB19_24:
                                        ; implicit-def: $vgpr1
	s_branch .LBB19_26
.LBB19_25:
	s_cbranch_execnz .LBB19_28
.LBB19_26:
	v_mov_b32_e32 v1, v29
	s_cmp_lg_u32 s1, 2
	s_cbranch_scc1 .LBB19_28
; %bb.27:
	s_delay_alu instid0(VALU_DEP_1) | instskip(NEXT) | instid1(VALU_DEP_1)
	v_mov_b32_dpp v1, v29 quad_perm:[1,0,3,2] row_mask:0xf bank_mask:0xf
	v_cmp_gt_f32_e32 vcc_lo, v29, v1
	v_cndmask_b32_e32 v1, v1, v29, vcc_lo
.LBB19_28:
	v_cvt_f32_u32_e32 v2, s1
	s_sub_i32 s2, 0, s1
	s_mov_b32 s31, 0
	s_delay_alu instid0(VALU_DEP_1) | instskip(SKIP_2) | instid1(VALU_DEP_1)
	v_rcp_iflag_f32_e32 v2, v2
	s_waitcnt_depctr 0xfff
	v_mul_f32_e32 v2, 0x4f7ffffe, v2
	v_cvt_u32_f32_e32 v2, v2
	s_delay_alu instid0(VALU_DEP_1) | instskip(NEXT) | instid1(VALU_DEP_1)
	v_mul_lo_u32 v30, s2, v2
	v_mul_hi_u32 v30, v2, v30
	s_delay_alu instid0(VALU_DEP_1) | instskip(NEXT) | instid1(VALU_DEP_1)
	v_add_nc_u32_e32 v2, v2, v30
	v_mul_hi_u32 v2, v0, v2
	s_delay_alu instid0(VALU_DEP_1) | instskip(NEXT) | instid1(VALU_DEP_1)
	v_mul_lo_u32 v30, v2, s1
	v_sub_nc_u32_e32 v30, v0, v30
	s_delay_alu instid0(VALU_DEP_1) | instskip(SKIP_1) | instid1(VALU_DEP_2)
	v_subrev_nc_u32_e32 v32, s1, v30
	v_cmp_le_u32_e32 vcc_lo, s1, v30
	v_dual_cndmask_b32 v30, v30, v32 :: v_dual_add_nc_u32 v31, 1, v2
	s_delay_alu instid0(VALU_DEP_1) | instskip(NEXT) | instid1(VALU_DEP_2)
	v_cndmask_b32_e32 v2, v2, v31, vcc_lo
	v_cmp_le_u32_e32 vcc_lo, s1, v30
	s_delay_alu instid0(VALU_DEP_2) | instskip(NEXT) | instid1(VALU_DEP_1)
	v_dual_mul_f32 v30, 0x3b124925, v1 :: v_dual_add_nc_u32 v31, 1, v2
	v_cndmask_b32_e32 v31, v2, v31, vcc_lo
	v_cmp_gt_u32_e32 vcc_lo, s5, v13
	s_delay_alu instid0(VALU_DEP_2) | instskip(NEXT) | instid1(VALU_DEP_1)
	v_mul_lo_u32 v2, v31, s1
	v_sub_nc_u32_e32 v2, v0, v2
	s_delay_alu instid0(VALU_DEP_1) | instskip(NEXT) | instid1(VALU_DEP_1)
	v_cmp_eq_u32_e64 s1, 0, v2
                                        ; implicit-def: $vgpr1_vgpr2
	s_and_b32 s2, s1, vcc_lo
	s_mov_b32 s1, 0
	s_and_saveexec_b32 s3, s2
	s_delay_alu instid0(SALU_CYCLE_1)
	s_xor_b32 s8, exec_lo, s3
	s_cbranch_execz .LBB19_37
; %bb.29:
	s_bitcmp0_b32 s11, 0
	s_mov_b32 s6, 0
	s_cbranch_scc0 .LBB19_34
; %bb.30:
	s_ashr_i32 s1, s5, 31
	s_mul_hi_u32 s3, s5, s34
	s_mul_i32 s1, s1, s34
	s_mul_i32 s2, s5, s34
	s_add_i32 s3, s3, s1
	s_ashr_i32 s11, s10, 31
	s_delay_alu instid0(SALU_CYCLE_1) | instskip(NEXT) | instid1(SALU_CYCLE_1)
	s_or_b64 s[14:15], s[2:3], s[10:11]
	s_mov_b32 s7, s15
	s_delay_alu instid0(SALU_CYCLE_1)
	s_cmp_lg_u64 s[6:7], 0
	s_cbranch_scc0 .LBB19_45
; %bb.31:
	s_add_u32 s14, s10, s11
	s_mov_b32 s6, s11
	s_mov_b32 s7, s11
	s_addc_u32 s15, s11, s11
	s_delay_alu instid0(SALU_CYCLE_1) | instskip(NEXT) | instid1(SALU_CYCLE_1)
	s_xor_b64 s[14:15], s[14:15], s[6:7]
	v_cvt_f32_u32_e32 v1, s14
	v_cvt_f32_u32_e32 v2, s15
	s_sub_u32 s18, 0, s14
	s_subb_u32 s19, 0, s15
	s_delay_alu instid0(VALU_DEP_1) | instskip(NEXT) | instid1(VALU_DEP_1)
	v_fmamk_f32 v1, v2, 0x4f800000, v1
	v_rcp_f32_e32 v1, v1
	s_waitcnt_depctr 0xfff
	v_mul_f32_e32 v1, 0x5f7ffffc, v1
	s_delay_alu instid0(VALU_DEP_1) | instskip(NEXT) | instid1(VALU_DEP_1)
	v_mul_f32_e32 v2, 0x2f800000, v1
	v_trunc_f32_e32 v2, v2
	s_delay_alu instid0(VALU_DEP_1) | instskip(SKIP_1) | instid1(VALU_DEP_2)
	v_fmamk_f32 v1, v2, 0xcf800000, v1
	v_cvt_u32_f32_e32 v2, v2
	v_cvt_u32_f32_e32 v1, v1
	s_delay_alu instid0(VALU_DEP_2) | instskip(NEXT) | instid1(VALU_DEP_2)
	v_readfirstlane_b32 s1, v2
	v_readfirstlane_b32 s11, v1
	s_delay_alu instid0(VALU_DEP_2) | instskip(NEXT) | instid1(VALU_DEP_1)
	s_mul_i32 s20, s18, s1
	s_mul_hi_u32 s22, s18, s11
	s_mul_i32 s21, s19, s11
	s_add_i32 s20, s22, s20
	s_mul_i32 s23, s18, s11
	s_add_i32 s20, s20, s21
	s_mul_hi_u32 s22, s11, s23
	s_mul_hi_u32 s24, s1, s23
	s_mul_i32 s21, s1, s23
	s_mul_hi_u32 s23, s11, s20
	s_mul_i32 s11, s11, s20
	s_mul_hi_u32 s25, s1, s20
	s_add_u32 s11, s22, s11
	s_addc_u32 s22, 0, s23
	s_add_u32 s11, s11, s21
	s_mul_i32 s20, s1, s20
	s_addc_u32 s11, s22, s24
	s_addc_u32 s21, s25, 0
	s_add_u32 s11, s11, s20
	s_addc_u32 s20, 0, s21
	v_add_co_u32 v1, s11, v1, s11
	s_delay_alu instid0(VALU_DEP_1) | instskip(SKIP_1) | instid1(VALU_DEP_1)
	s_cmp_lg_u32 s11, 0
	s_addc_u32 s1, s1, s20
	v_readfirstlane_b32 s11, v1
	s_mul_i32 s20, s18, s1
	s_delay_alu instid0(VALU_DEP_1)
	s_mul_hi_u32 s21, s18, s11
	s_mul_i32 s19, s19, s11
	s_add_i32 s20, s21, s20
	s_mul_i32 s18, s18, s11
	s_add_i32 s20, s20, s19
	s_mul_hi_u32 s21, s1, s18
	s_mul_i32 s22, s1, s18
	s_mul_hi_u32 s18, s11, s18
	s_mul_hi_u32 s23, s11, s20
	s_mul_i32 s11, s11, s20
	s_mul_hi_u32 s19, s1, s20
	s_add_u32 s11, s18, s11
	s_addc_u32 s18, 0, s23
	s_add_u32 s11, s11, s22
	s_mul_i32 s20, s1, s20
	s_addc_u32 s11, s18, s21
	s_addc_u32 s18, s19, 0
	s_add_u32 s11, s11, s20
	s_addc_u32 s18, 0, s18
	v_add_co_u32 v1, s11, v1, s11
	s_delay_alu instid0(VALU_DEP_1) | instskip(SKIP_2) | instid1(SALU_CYCLE_1)
	s_cmp_lg_u32 s11, 0
	s_addc_u32 s1, s1, s18
	s_ashr_i32 s18, s3, 31
	s_add_u32 s20, s2, s18
	s_addc_u32 s21, s3, s18
	v_readfirstlane_b32 s3, v1
	s_mov_b32 s19, s18
	s_delay_alu instid0(SALU_CYCLE_1) | instskip(NEXT) | instid1(SALU_CYCLE_1)
	s_xor_b64 s[20:21], s[20:21], s[18:19]
	s_mul_i32 s22, s20, s1
	s_delay_alu instid0(VALU_DEP_1)
	s_mul_hi_u32 s23, s20, s3
	s_mul_hi_u32 s11, s20, s1
	;; [unrolled: 1-line block ×3, first 2 shown]
	s_mul_i32 s3, s21, s3
	s_add_u32 s22, s23, s22
	s_addc_u32 s11, 0, s11
	s_mul_hi_u32 s24, s21, s1
	s_add_u32 s3, s22, s3
	s_mul_i32 s1, s21, s1
	s_addc_u32 s3, s11, s25
	s_addc_u32 s11, s24, 0
	s_add_u32 s3, s3, s1
	s_addc_u32 s11, 0, s11
	s_mul_i32 s24, s14, s3
	s_mul_hi_u32 s1, s14, s3
	s_mul_i32 s23, s14, s11
	v_sub_co_u32 v1, s20, s20, s24
	s_mul_i32 s22, s15, s3
	s_add_i32 s1, s1, s23
	s_delay_alu instid0(SALU_CYCLE_1) | instskip(NEXT) | instid1(VALU_DEP_1)
	s_add_i32 s1, s1, s22
	v_sub_co_u32 v2, s23, v1, s14
	s_sub_i32 s22, s21, s1
	s_cmp_lg_u32 s20, 0
	s_subb_u32 s22, s22, s15
	s_cmp_lg_u32 s23, 0
	v_cmp_le_u32_e32 vcc_lo, s14, v2
	s_subb_u32 s22, s22, 0
	s_delay_alu instid0(SALU_CYCLE_1)
	s_cmp_ge_u32 s22, s15
	v_cndmask_b32_e64 v2, 0, -1, vcc_lo
	s_cselect_b32 s23, -1, 0
	s_cmp_eq_u32 s22, s15
	s_cselect_b32 vcc_lo, -1, 0
	s_add_u32 s22, s3, 1
	v_cndmask_b32_e32 v2, s23, v2, vcc_lo
	s_addc_u32 s23, s11, 0
	s_add_u32 s24, s3, 2
	s_addc_u32 s25, s11, 0
	s_cmp_lg_u32 s20, 0
	v_cmp_le_u32_e32 vcc_lo, s14, v1
	s_subb_u32 s1, s21, s1
	v_mov_b32_e32 v32, s24
	s_cmp_ge_u32 s1, s15
	v_cndmask_b32_e64 v1, 0, -1, vcc_lo
	s_cselect_b32 s14, -1, 0
	s_cmp_eq_u32 s1, s15
	v_cmp_ne_u32_e32 vcc_lo, 0, v2
	v_mov_b32_e32 v2, s25
	s_cselect_b32 s1, -1, 0
	s_xor_b64 s[6:7], s[18:19], s[6:7]
	v_cndmask_b32_e64 v1, s14, v1, s1
	v_cndmask_b32_e32 v32, s22, v32, vcc_lo
	v_cndmask_b32_e32 v2, s23, v2, vcc_lo
	s_delay_alu instid0(VALU_DEP_3) | instskip(NEXT) | instid1(VALU_DEP_2)
	v_cmp_ne_u32_e32 vcc_lo, 0, v1
	v_cndmask_b32_e32 v1, s11, v2, vcc_lo
	s_delay_alu instid0(VALU_DEP_4) | instskip(NEXT) | instid1(VALU_DEP_2)
	v_cndmask_b32_e32 v2, s3, v32, vcc_lo
	v_xor_b32_e32 v32, s7, v1
	s_delay_alu instid0(VALU_DEP_2) | instskip(NEXT) | instid1(VALU_DEP_1)
	v_xor_b32_e32 v2, s6, v2
	v_sub_co_u32 v1, vcc_lo, v2, s6
	s_delay_alu instid0(VALU_DEP_3)
	v_subrev_co_ci_u32_e32 v2, vcc_lo, s7, v32, vcc_lo
	s_cbranch_execnz .LBB19_33
.LBB19_32:
	v_cvt_f32_u32_e32 v1, s10
	s_sub_i32 s3, 0, s10
	s_delay_alu instid0(VALU_DEP_1) | instskip(SKIP_2) | instid1(VALU_DEP_1)
	v_rcp_iflag_f32_e32 v1, v1
	s_waitcnt_depctr 0xfff
	v_mul_f32_e32 v1, 0x4f7ffffe, v1
	v_cvt_u32_f32_e32 v1, v1
	s_delay_alu instid0(VALU_DEP_1) | instskip(NEXT) | instid1(VALU_DEP_1)
	v_readfirstlane_b32 s1, v1
	s_mul_i32 s3, s3, s1
	s_delay_alu instid0(SALU_CYCLE_1) | instskip(NEXT) | instid1(SALU_CYCLE_1)
	s_mul_hi_u32 s3, s1, s3
	s_add_i32 s1, s1, s3
	s_delay_alu instid0(SALU_CYCLE_1) | instskip(NEXT) | instid1(SALU_CYCLE_1)
	s_mul_hi_u32 s1, s2, s1
	s_mul_i32 s3, s1, s10
	s_delay_alu instid0(SALU_CYCLE_1)
	s_sub_i32 s2, s2, s3
	s_add_i32 s3, s1, 1
	s_sub_i32 s6, s2, s10
	s_cmp_ge_u32 s2, s10
	s_cselect_b32 s1, s3, s1
	s_cselect_b32 s2, s6, s2
	s_add_i32 s6, s1, 1
	s_cmp_ge_u32 s2, s10
	s_mov_b32 s3, 0
	s_cselect_b32 s2, s6, s1
	s_delay_alu instid0(SALU_CYCLE_1)
	v_dual_mov_b32 v1, s2 :: v_dual_mov_b32 v2, s3
.LBB19_33:
	s_delay_alu instid0(VALU_DEP_1) | instskip(NEXT) | instid1(VALU_DEP_2)
	v_add_co_u32 v1, vcc_lo, v1, v31
	v_add_co_ci_u32_e32 v2, vcc_lo, 0, v2, vcc_lo
	s_branch .LBB19_36
.LBB19_34:
                                        ; implicit-def: $vgpr1_vgpr2
	s_cbranch_execz .LBB19_36
; %bb.35:
	v_mul_lo_u32 v1, v31, s4
	s_delay_alu instid0(VALU_DEP_1) | instskip(SKIP_1) | instid1(VALU_DEP_2)
	v_ashrrev_i32_e32 v2, 31, v1
	v_add_co_u32 v1, vcc_lo, v1, s34
	v_add_co_ci_u32_e32 v2, vcc_lo, 0, v2, vcc_lo
.LBB19_36:
	s_mov_b32 s1, exec_lo
.LBB19_37:
	s_or_b32 exec_lo, exec_lo, s8
	s_delay_alu instid0(SALU_CYCLE_1)
	s_and_b32 vcc_lo, exec_lo, s31
	s_cbranch_vccz .LBB19_41
.LBB19_38:
	v_mov_b32_dpp v1, v29 quad_perm:[1,0,3,2] row_mask:0xf bank_mask:0xf
	s_delay_alu instid0(VALU_DEP_1) | instskip(SKIP_1) | instid1(VALU_DEP_1)
	v_cmp_gt_f32_e32 vcc_lo, v29, v1
	v_cndmask_b32_e32 v1, v1, v29, vcc_lo
	v_mov_b32_dpp v2, v1 quad_perm:[2,3,0,1] row_mask:0xf bank_mask:0xf
	s_delay_alu instid0(VALU_DEP_1) | instskip(SKIP_1) | instid1(VALU_DEP_1)
	v_cmp_gt_f32_e32 vcc_lo, v1, v2
	v_cndmask_b32_e32 v1, v2, v1, vcc_lo
	v_mov_b32_dpp v2, v1 row_xmask:7 row_mask:0xf bank_mask:0xf
	s_delay_alu instid0(VALU_DEP_1) | instskip(SKIP_1) | instid1(VALU_DEP_1)
	v_cmp_gt_f32_e32 vcc_lo, v1, v2
	v_cndmask_b32_e32 v1, v2, v1, vcc_lo
	v_mov_b32_dpp v2, v1 row_xmask:15 row_mask:0xf bank_mask:0xf
	s_delay_alu instid0(VALU_DEP_1)
	v_cmp_gt_f32_e32 vcc_lo, v1, v2
	s_and_saveexec_b32 s1, s0
	s_cbranch_execz .LBB19_40
; %bb.39:
	v_cndmask_b32_e32 v1, v2, v1, vcc_lo
	v_lshrrev_b32_e32 v2, 3, v0
	s_mov_b32 s0, 0x76543210
	s_delay_alu instid0(VALU_DEP_1) | instskip(NEXT) | instid1(VALU_DEP_3)
	v_and_b32_e32 v2, 0x7c, v2
	v_permlanex16_b32 v29, v1, s0, 0xfedcba98 op_sel:[1,1]
	s_delay_alu instid0(VALU_DEP_1)
	v_cmp_gt_f32_e32 vcc_lo, v1, v29
	v_cndmask_b32_e32 v1, v29, v1, vcc_lo
	ds_store_b32 v2, v1
.LBB19_40:
	s_or_b32 exec_lo, exec_lo, s1
	s_waitcnt lgkmcnt(0)
	s_barrier
	buffer_gl0_inv
	ds_load_b32 v1, v14
	v_cmp_eq_u32_e64 s1, 0, v0
	s_waitcnt lgkmcnt(0)
	v_mov_b32_dpp v2, v1 quad_perm:[1,0,3,2] row_mask:0xf bank_mask:0xf
	s_delay_alu instid0(VALU_DEP_1) | instskip(SKIP_1) | instid1(VALU_DEP_1)
	v_cmp_gt_f32_e32 vcc_lo, v1, v2
	v_cndmask_b32_e32 v1, v2, v1, vcc_lo
	v_mov_b32_dpp v2, v1 quad_perm:[2,3,0,1] row_mask:0xf bank_mask:0xf
	s_delay_alu instid0(VALU_DEP_1) | instskip(SKIP_1) | instid1(VALU_DEP_1)
	v_cmp_gt_f32_e32 vcc_lo, v1, v2
	v_cndmask_b32_e32 v1, v2, v1, vcc_lo
	v_mov_b32_dpp v2, v1 row_xmask:7 row_mask:0xf bank_mask:0xf
	s_delay_alu instid0(VALU_DEP_1) | instskip(SKIP_1) | instid1(VALU_DEP_1)
	v_cmp_gt_f32_e32 vcc_lo, v1, v2
	v_cndmask_b32_e32 v1, v2, v1, vcc_lo
	v_dual_mul_f32 v30, 0x3b124925, v1 :: v_dual_mov_b32 v1, s34
	v_mov_b32_e32 v2, s35
.LBB19_41:
	s_and_saveexec_b32 s0, s1
	s_cbranch_execz .LBB19_43
; %bb.42:
	s_delay_alu instid0(VALU_DEP_1) | instskip(NEXT) | instid1(VALU_DEP_1)
	v_lshlrev_b64 v[0:1], 2, v[1:2]
	v_add_co_u32 v0, vcc_lo, s16, v0
	s_delay_alu instid0(VALU_DEP_2)
	v_add_co_ci_u32_e32 v1, vcc_lo, s17, v1, vcc_lo
	global_store_b32 v[0:1], v30, off
.LBB19_43:
	s_or_b32 exec_lo, exec_lo, s0
	;;#ASMSTART
	v_rcp_f32 v2, v30
	;;#ASMEND
	v_dual_mul_f32 v0, v27, v2 :: v_dual_mov_b32 v27, 0x43e00000
	v_dual_mul_f32 v1, v28, v2 :: v_dual_mov_b32 v14, 0xc3e00000
	v_mul_f32_e32 v25, v25, v2
	v_mul_f32_e32 v26, v26, v2
	;;#ASMSTART
	v_med3_f32 v0, v0, v14, v27
v_med3_f32 v1, v1, v14, v27
v_cvt_pk_fp8_f32 v28, v0, v1
	;;#ASMEND
	;;#ASMSTART
	v_med3_f32 v25, v25, v14, v27
v_med3_f32 v26, v26, v14, v27
v_cvt_pk_fp8_f32 v0, v25, v26
	;;#ASMEND
	v_perm_b32 v1, v0, v28, 0x5040100
	v_and_b32_e32 v0, 0xffffff00, v0
	s_add_i32 s0, s5, 3
	v_mul_f32_e32 v24, v24, v2
	s_ashr_i32 s1, s0, 31
	v_lshrrev_b32_e32 v25, 16, v1
	s_lshr_b32 s1, s1, 30
	v_mul_f32_e32 v21, v21, v2
	v_mul_f32_e32 v22, v22, v2
	s_add_i32 s0, s0, s1
	v_and_b32_e32 v25, 0xff, v25
	s_ashr_i32 s1, s9, 31
	s_mul_hi_u32 s3, s9, s34
	s_mul_i32 s1, s1, s34
	s_and_b32 s2, s0, -4
	v_or_b32_e32 v0, v25, v0
	v_mul_f32_e32 v23, v23, v2
	s_mul_i32 s0, s9, s34
	s_add_i32 s3, s3, s1
	s_add_u32 s0, s12, s0
	v_lshlrev_b32_e32 v0, 16, v0
	;;#ASMSTART
	v_med3_f32 v23, v23, v14, v27
v_med3_f32 v24, v24, v14, v27
v_cvt_pk_fp8_f32 v25, v23, v24
	;;#ASMEND
	;;#ASMSTART
	v_med3_f32 v21, v21, v14, v27
v_med3_f32 v22, v22, v14, v27
v_cvt_pk_fp8_f32 v23, v21, v22
	;;#ASMEND
	v_lshlrev_b32_e32 v21, 16, v23
	s_addc_u32 s1, s13, s3
	v_and_or_b32 v0, 0xffff, v1, v0
	s_and_b32 s1, s1, 0xffff
	s_mov_b32 s3, -1
	v_and_or_b32 v1, 0xffff, v25, v21
	v_mul_f32_e32 v19, v19, v2
	v_mul_f32_e32 v20, v20, v2
	;; [unrolled: 1-line block ×4, first 2 shown]
	buffer_store_b64 v[0:1], v13, s[0:3], 0 offen
	;;#ASMSTART
	s_nop 0
	;;#ASMEND
	;;#ASMSTART
	v_med3_f32 v19, v19, v14, v27
v_med3_f32 v20, v20, v14, v27
v_cvt_pk_fp8_f32 v0, v19, v20
	;;#ASMEND
	;;#ASMSTART
	v_med3_f32 v17, v17, v14, v27
v_med3_f32 v18, v18, v14, v27
v_cvt_pk_fp8_f32 v1, v17, v18
	;;#ASMEND
	v_perm_b32 v0, v1, v0, 0x5040100
	v_and_b32_e32 v1, 0xffffff00, v1
	v_mul_f32_e32 v15, v15, v2
	v_mul_f32_e32 v16, v16, v2
	v_mul_f32_e32 v11, v11, v2
	v_lshrrev_b32_e32 v17, 16, v0
	v_mul_f32_e32 v12, v12, v2
	v_mul_f32_e32 v10, v10, v2
	;; [unrolled: 1-line block ×4, first 2 shown]
	v_dual_mul_f32 v8, v8, v2 :: v_dual_and_b32 v17, 0xff, v17
	v_mul_f32_e32 v6, v6, v2
	v_mul_f32_e32 v5, v5, v2
	v_mul_f32_e32 v3, v3, v2
	s_delay_alu instid0(VALU_DEP_4) | instskip(SKIP_3) | instid1(VALU_DEP_2)
	v_or_b32_e32 v1, v17, v1
	;;#ASMSTART
	v_med3_f32 v15, v15, v14, v27
v_med3_f32 v16, v16, v14, v27
v_cvt_pk_fp8_f32 v17, v15, v16
	;;#ASMEND
	;;#ASMSTART
	v_med3_f32 v11, v11, v14, v27
v_med3_f32 v12, v12, v14, v27
v_cvt_pk_fp8_f32 v15, v11, v12
	;;#ASMEND
	v_dual_mul_f32 v2, v4, v2 :: v_dual_lshlrev_b32 v11, 16, v15
	v_lshlrev_b32_e32 v12, 16, v1
	s_delay_alu instid0(VALU_DEP_2) | instskip(NEXT) | instid1(VALU_DEP_2)
	v_and_or_b32 v1, 0xffff, v17, v11
	v_and_or_b32 v0, 0xffff, v0, v12
	buffer_store_b64 v[0:1], v13, s[0:3], 8 offen
	;;#ASMSTART
	s_nop 0
	;;#ASMEND
	;;#ASMSTART
	v_med3_f32 v10, v10, v14, v27
v_med3_f32 v9, v9, v14, v27
v_cvt_pk_fp8_f32 v0, v10, v9
	;;#ASMEND
	;;#ASMSTART
	v_med3_f32 v7, v7, v14, v27
v_med3_f32 v8, v8, v14, v27
v_cvt_pk_fp8_f32 v1, v7, v8
	;;#ASMEND
	v_perm_b32 v0, v1, v0, 0x5040100
	v_and_b32_e32 v1, 0xffffff00, v1
	;;#ASMSTART
	v_med3_f32 v6, v6, v14, v27
v_med3_f32 v5, v5, v14, v27
v_cvt_pk_fp8_f32 v4, v6, v5
	;;#ASMEND
	;;#ASMSTART
	v_med3_f32 v3, v3, v14, v27
v_med3_f32 v2, v2, v14, v27
v_cvt_pk_fp8_f32 v5, v3, v2
	;;#ASMEND
	v_lshlrev_b32_e32 v2, 16, v5
	v_lshrrev_b32_e32 v7, 16, v0
	s_delay_alu instid0(VALU_DEP_1) | instskip(NEXT) | instid1(VALU_DEP_1)
	v_and_b32_e32 v7, 0xff, v7
	v_or_b32_e32 v1, v7, v1
	s_delay_alu instid0(VALU_DEP_1) | instskip(SKIP_1) | instid1(VALU_DEP_2)
	v_lshlrev_b32_e32 v3, 16, v1
	v_and_or_b32 v1, 0xffff, v4, v2
	v_and_or_b32 v0, 0xffff, v0, v3
	buffer_store_b64 v[0:1], v13, s[0:3], 16 offen
	;;#ASMSTART
	s_nop 0
	;;#ASMEND
.LBB19_44:
	s_nop 0
	s_sendmsg sendmsg(MSG_DEALLOC_VGPRS)
	s_endpgm
.LBB19_45:
                                        ; implicit-def: $vgpr1_vgpr2
	s_branch .LBB19_32
	.section	.rodata,"a",@progbits
	.p2align	6, 0x0
	.amdhsa_kernel _ZN5aiter24add_rmsnorm_quant_kernelIDF16_DB8_Li256ELi24ELb1ELb1ELb0ELi1EEEvPT0_PT_PfS5_S5_S5_diiiiiiib
		.amdhsa_group_segment_fixed_size 64
		.amdhsa_private_segment_fixed_size 0
		.amdhsa_kernarg_size 88
		.amdhsa_user_sgpr_count 15
		.amdhsa_user_sgpr_dispatch_ptr 0
		.amdhsa_user_sgpr_queue_ptr 0
		.amdhsa_user_sgpr_kernarg_segment_ptr 1
		.amdhsa_user_sgpr_dispatch_id 0
		.amdhsa_user_sgpr_private_segment_size 0
		.amdhsa_wavefront_size32 1
		.amdhsa_uses_dynamic_stack 0
		.amdhsa_enable_private_segment 0
		.amdhsa_system_sgpr_workgroup_id_x 1
		.amdhsa_system_sgpr_workgroup_id_y 0
		.amdhsa_system_sgpr_workgroup_id_z 0
		.amdhsa_system_sgpr_workgroup_info 0
		.amdhsa_system_vgpr_workitem_id 0
		.amdhsa_next_free_vgpr 65
		.amdhsa_next_free_sgpr 36
		.amdhsa_reserve_vcc 1
		.amdhsa_float_round_mode_32 0
		.amdhsa_float_round_mode_16_64 0
		.amdhsa_float_denorm_mode_32 3
		.amdhsa_float_denorm_mode_16_64 3
		.amdhsa_dx10_clamp 1
		.amdhsa_ieee_mode 1
		.amdhsa_fp16_overflow 0
		.amdhsa_workgroup_processor_mode 1
		.amdhsa_memory_ordered 1
		.amdhsa_forward_progress 0
		.amdhsa_shared_vgpr_count 0
		.amdhsa_exception_fp_ieee_invalid_op 0
		.amdhsa_exception_fp_denorm_src 0
		.amdhsa_exception_fp_ieee_div_zero 0
		.amdhsa_exception_fp_ieee_overflow 0
		.amdhsa_exception_fp_ieee_underflow 0
		.amdhsa_exception_fp_ieee_inexact 0
		.amdhsa_exception_int_div_zero 0
	.end_amdhsa_kernel
	.section	.text._ZN5aiter24add_rmsnorm_quant_kernelIDF16_DB8_Li256ELi24ELb1ELb1ELb0ELi1EEEvPT0_PT_PfS5_S5_S5_diiiiiiib,"axG",@progbits,_ZN5aiter24add_rmsnorm_quant_kernelIDF16_DB8_Li256ELi24ELb1ELb1ELb0ELi1EEEvPT0_PT_PfS5_S5_S5_diiiiiiib,comdat
.Lfunc_end19:
	.size	_ZN5aiter24add_rmsnorm_quant_kernelIDF16_DB8_Li256ELi24ELb1ELb1ELb0ELi1EEEvPT0_PT_PfS5_S5_S5_diiiiiiib, .Lfunc_end19-_ZN5aiter24add_rmsnorm_quant_kernelIDF16_DB8_Li256ELi24ELb1ELb1ELb0ELi1EEEvPT0_PT_PfS5_S5_S5_diiiiiiib
                                        ; -- End function
	.section	.AMDGPU.csdata,"",@progbits
; Kernel info:
; codeLenInByte = 5496
; NumSgprs: 38
; NumVgprs: 65
; ScratchSize: 0
; MemoryBound: 0
; FloatMode: 240
; IeeeMode: 1
; LDSByteSize: 64 bytes/workgroup (compile time only)
; SGPRBlocks: 4
; VGPRBlocks: 8
; NumSGPRsForWavesPerEU: 38
; NumVGPRsForWavesPerEU: 65
; Occupancy: 16
; WaveLimiterHint : 0
; COMPUTE_PGM_RSRC2:SCRATCH_EN: 0
; COMPUTE_PGM_RSRC2:USER_SGPR: 15
; COMPUTE_PGM_RSRC2:TRAP_HANDLER: 0
; COMPUTE_PGM_RSRC2:TGID_X_EN: 1
; COMPUTE_PGM_RSRC2:TGID_Y_EN: 0
; COMPUTE_PGM_RSRC2:TGID_Z_EN: 0
; COMPUTE_PGM_RSRC2:TIDIG_COMP_CNT: 0
	.section	.text._ZN5aiter24add_rmsnorm_quant_kernelItDB8_Li256ELi24ELb1ELb1ELb0ELi1EEEvPT0_PT_PfS5_S5_S5_diiiiiiib,"axG",@progbits,_ZN5aiter24add_rmsnorm_quant_kernelItDB8_Li256ELi24ELb1ELb1ELb0ELi1EEEvPT0_PT_PfS5_S5_S5_diiiiiiib,comdat
	.protected	_ZN5aiter24add_rmsnorm_quant_kernelItDB8_Li256ELi24ELb1ELb1ELb0ELi1EEEvPT0_PT_PfS5_S5_S5_diiiiiiib ; -- Begin function _ZN5aiter24add_rmsnorm_quant_kernelItDB8_Li256ELi24ELb1ELb1ELb0ELi1EEEvPT0_PT_PfS5_S5_S5_diiiiiiib
	.globl	_ZN5aiter24add_rmsnorm_quant_kernelItDB8_Li256ELi24ELb1ELb1ELb0ELi1EEEvPT0_PT_PfS5_S5_S5_diiiiiiib
	.p2align	8
	.type	_ZN5aiter24add_rmsnorm_quant_kernelItDB8_Li256ELi24ELb1ELb1ELb0ELi1EEEvPT0_PT_PfS5_S5_S5_diiiiiiib,@function
_ZN5aiter24add_rmsnorm_quant_kernelItDB8_Li256ELi24ELb1ELb1ELb0ELi1EEEvPT0_PT_PfS5_S5_S5_diiiiiiib: ; @_ZN5aiter24add_rmsnorm_quant_kernelItDB8_Li256ELi24ELb1ELb1ELb0ELi1EEEvPT0_PT_PfS5_S5_S5_diiiiiiib
; %bb.0:
	s_load_b256 s[4:11], s[0:1], 0x38
	s_mov_b32 s34, s15
	s_mov_b32 s35, 0
	s_waitcnt lgkmcnt(0)
	s_ashr_i32 s3, s4, 31
	s_mov_b32 s2, s4
	s_delay_alu instid0(SALU_CYCLE_1) | instskip(NEXT) | instid1(VALU_DEP_1)
	v_cmp_ge_i64_e64 s2, s[34:35], s[2:3]
	s_and_b32 vcc_lo, exec_lo, s2
	s_cbranch_vccnz .LBB20_44
; %bb.1:
	s_load_b256 s[12:19], s[0:1], 0x0
	s_ashr_i32 s2, s6, 31
	s_mul_hi_u32 s3, s6, s34
	s_mul_i32 s20, s2, s34
	s_mul_i32 s2, s6, s34
	s_add_i32 s3, s3, s20
	s_load_b256 s[20:27], s[0:1], 0x20
	s_lshl_b64 s[2:3], s[2:3], 1
	s_mul_hi_u32 s1, s7, s34
	v_mul_u32_u24_e32 v51, 48, v0
	s_mov_b32 s31, -1
	s_waitcnt lgkmcnt(0)
	s_add_u32 s28, s18, s2
	s_addc_u32 s2, s19, s3
	s_add_i32 s3, s5, 1
	s_and_b32 s29, s2, 0xffff
	s_lshr_b32 s0, s3, 31
	s_mul_i32 s2, s7, s34
	s_add_i32 s3, s3, s0
	s_delay_alu instid0(SALU_CYCLE_1) | instskip(NEXT) | instid1(SALU_CYCLE_1)
	s_lshl_b32 s0, s3, 1
	s_and_b32 s30, s0, -4
	s_ashr_i32 s0, s7, 31
	s_clause 0x1
	buffer_load_b128 v[13:16], v51, s[28:31], 0 offen
	buffer_load_b128 v[17:20], v51, s[28:31], 16 offen
	s_mul_i32 s0, s0, s34
	buffer_load_b128 v[21:24], v51, s[28:31], 32 offen
	s_add_i32 s3, s1, s0
	s_and_b32 s1, s23, 0xffff
	s_lshl_b64 s[2:3], s[2:3], 1
	s_delay_alu instid0(SALU_CYCLE_1)
	s_add_u32 s28, s20, s2
	s_addc_u32 s0, s21, s3
	s_mov_b32 s3, s31
	s_and_b32 s29, s0, 0xffff
	s_clause 0x2
	buffer_load_b128 v[25:28], v51, s[28:31], 0 offen
	buffer_load_b128 v[29:32], v51, s[28:31], 16 offen
	;; [unrolled: 1-line block ×3, first 2 shown]
	s_mov_b32 s0, s22
	s_mov_b32 s2, s30
	s_clause 0x2
	buffer_load_b128 v[9:12], v51, s[0:3], 0 offen
	buffer_load_b128 v[5:8], v51, s[0:3], 16 offen
	;; [unrolled: 1-line block ×3, first 2 shown]
	s_ashr_i32 s0, s8, 31
	s_mul_hi_u32 s1, s8, s34
	s_mul_i32 s2, s0, s34
	s_mul_i32 s0, s8, s34
	s_add_i32 s1, s1, s2
	s_delay_alu instid0(SALU_CYCLE_1) | instskip(NEXT) | instid1(SALU_CYCLE_1)
	s_lshl_b64 s[0:1], s[0:1], 1
	s_add_u32 s28, s14, s0
	s_addc_u32 s0, s15, s1
	s_delay_alu instid0(SALU_CYCLE_1)
	s_and_b32 s29, s0, 0xffff
	s_waitcnt vmcnt(8)
	v_lshrrev_b32_e32 v37, 16, v13
	s_waitcnt vmcnt(7)
	v_lshrrev_b32_e32 v43, 16, v17
	v_and_b32_e32 v44, 0xffff, v17
	s_waitcnt vmcnt(6)
	v_lshrrev_b32_e32 v54, 16, v22
	v_lshrrev_b32_e32 v45, 16, v18
	v_and_b32_e32 v46, 0xffff, v18
	v_lshrrev_b32_e32 v52, 16, v21
	v_lshrrev_b32_e32 v38, 16, v14
	v_lshrrev_b32_e32 v39, 16, v15
	v_lshrrev_b32_e32 v47, 16, v19
	v_lshrrev_b32_e32 v41, 16, v16
	s_waitcnt vmcnt(5)
	v_and_b32_e32 v17, 0xffff, v25
	v_and_b32_e32 v18, 0xffff, v26
	;; [unrolled: 1-line block ×3, first 2 shown]
	v_lshrrev_b32_e32 v49, 16, v20
	v_and_b32_e32 v50, 0xffff, v20
	v_cvt_f32_u32_e32 v17, v17
	v_and_b32_e32 v55, 0xffff, v22
	v_lshrrev_b32_e32 v22, 16, v27
	v_cvt_f32_u32_e32 v18, v18
	v_and_b32_e32 v40, 0xffff, v15
	v_lshrrev_b32_e32 v15, 16, v25
	v_cvt_f32_u32_e32 v16, v37
	v_cvt_f32_u32_e32 v22, v22
	v_and_b32_e32 v53, 0xffff, v21
	v_and_b32_e32 v21, 0xffff, v27
	v_cvt_f32_u32_e32 v15, v15
	v_cvt_f32_u32_e32 v20, v38
	v_and_b32_e32 v14, 0xffff, v14
	v_lshrrev_b32_e32 v56, 16, v23
	v_cvt_f32_u32_e32 v21, v21
	v_add_f32_e32 v15, v16, v15
	v_and_b32_e32 v48, 0xffff, v19
	v_lshrrev_b32_e32 v19, 16, v26
	v_cvt_f32_u32_e32 v14, v14
	v_lshrrev_b32_e32 v58, 16, v24
	s_waitcnt vmcnt(4)
	v_and_b32_e32 v26, 0xffff, v30
	v_cvt_f32_u32_e32 v19, v19
	v_and_b32_e32 v13, 0xffff, v13
	s_delay_alu instid0(VALU_DEP_3) | instskip(NEXT) | instid1(VALU_DEP_2)
	v_cvt_f32_u32_e32 v26, v26
	v_cvt_f32_u32_e32 v13, v13
	s_delay_alu instid0(VALU_DEP_1)
	v_dual_add_f32 v16, v13, v17 :: v_dual_mul_f32 v13, v15, v15
	v_dual_add_f32 v17, v14, v18 :: v_dual_add_f32 v18, v20, v19
	v_cvt_f32_u32_e32 v14, v40
	v_cvt_f32_u32_e32 v20, v39
	s_waitcnt vmcnt(3)
	v_dual_fmac_f32 v13, v16, v16 :: v_dual_and_b32 v40, 0xffff, v35
	v_lshrrev_b32_e32 v35, 16, v35
	v_add_f32_e32 v19, v14, v21
	v_lshrrev_b32_e32 v21, 16, v28
	s_delay_alu instid0(VALU_DEP_4) | instskip(SKIP_2) | instid1(VALU_DEP_4)
	v_dual_fmac_f32 v13, v17, v17 :: v_dual_add_f32 v20, v20, v22
	v_cvt_f32_u32_e32 v22, v41
	v_cvt_f32_u32_e32 v14, v42
	;; [unrolled: 1-line block ×3, first 2 shown]
	s_delay_alu instid0(VALU_DEP_4)
	v_fmac_f32_e32 v13, v18, v18
	v_and_b32_e32 v57, 0xffff, v23
	v_and_b32_e32 v23, 0xffff, v28
	v_lshrrev_b32_e32 v28, 16, v30
	v_lshrrev_b32_e32 v30, 16, v31
	v_dual_fmac_f32 v13, v19, v19 :: v_dual_add_f32 v22, v22, v25
	s_delay_alu instid0(VALU_DEP_4) | instskip(SKIP_1) | instid1(VALU_DEP_4)
	v_cvt_f32_u32_e32 v23, v23
	v_cvt_f32_u32_e32 v25, v43
	;; [unrolled: 1-line block ×3, first 2 shown]
	s_delay_alu instid0(VALU_DEP_4)
	v_fmac_f32_e32 v13, v20, v20
	v_and_b32_e32 v37, 0xffff, v24
	v_dual_add_f32 v21, v14, v23 :: v_dual_and_b32 v24, 0xffff, v29
	v_cvt_f32_u32_e32 v14, v44
	v_lshrrev_b32_e32 v23, 16, v29
	v_and_b32_e32 v29, 0xffff, v31
	s_delay_alu instid0(VALU_DEP_4)
	v_cvt_f32_u32_e32 v24, v24
	v_cvt_f32_u32_e32 v28, v28
	v_and_b32_e32 v31, 0xffff, v32
	v_cvt_f32_u32_e32 v27, v23
	v_cvt_f32_u32_e32 v29, v29
	v_add_f32_e32 v23, v14, v24
	v_cvt_f32_u32_e32 v14, v46
	v_cvt_f32_u32_e32 v31, v31
	v_add_f32_e32 v24, v25, v27
	v_cvt_f32_u32_e32 v27, v45
	v_fmac_f32_e32 v13, v21, v21
	v_add_f32_e32 v25, v14, v26
	v_cvt_f32_u32_e32 v14, v48
	v_cvt_f32_u32_e32 v41, v35
	v_add_f32_e32 v26, v27, v28
	v_cvt_f32_u32_e32 v28, v47
	v_perm_b32 v42, v22, v21, 0x7060302
	v_add_f32_e32 v27, v14, v29
	v_lshrrev_b32_e32 v29, 16, v32
	v_cvt_f32_u32_e32 v14, v50
	v_add_f32_e32 v28, v28, v30
	v_cvt_f32_u32_e32 v30, v49
	v_and_b32_e32 v32, 0xffff, v33
	v_cvt_f32_u32_e32 v38, v29
	v_add_f32_e32 v29, v14, v31
	v_cvt_f32_u32_e32 v14, v53
	v_lshrrev_b32_e32 v31, 16, v33
	v_cvt_f32_u32_e32 v32, v32
	v_add_f32_e32 v30, v30, v38
	v_and_b32_e32 v38, 0xffff, v34
	v_cvt_f32_u32_e32 v33, v52
	v_and_b32_e32 v52, 31, v0
	v_cvt_f32_u32_e32 v39, v31
	v_fmac_f32_e32 v13, v22, v22
	v_add_f32_e32 v31, v14, v32
	v_cvt_f32_u32_e32 v14, v55
	v_lshrrev_b32_e32 v34, 16, v34
	v_add_f32_e32 v32, v33, v39
	v_cvt_f32_u32_e32 v38, v38
	v_fmac_f32_e32 v13, v23, v23
	v_cvt_f32_u32_e32 v39, v54
	v_cvt_f32_u32_e32 v34, v34
	v_perm_b32 v46, v30, v29, 0x7060302
	v_add_f32_e32 v33, v14, v38
	v_cvt_f32_u32_e32 v14, v57
	v_cvt_f32_u32_e32 v38, v40
	v_and_b32_e32 v40, 0xffff, v36
	v_add_f32_e32 v34, v39, v34
	v_cvt_f32_u32_e32 v39, v56
	v_fmac_f32_e32 v13, v24, v24
	v_add_f32_e32 v35, v14, v38
	v_cvt_f32_u32_e32 v14, v37
	v_lshrrev_b32_e32 v37, 16, v36
	v_add_f32_e32 v36, v39, v41
	v_cvt_f32_u32_e32 v38, v40
	v_cvt_f32_u32_e32 v39, v58
	v_perm_b32 v41, v20, v19, 0x7060302
	v_cvt_f32_u32_e32 v40, v37
	v_fmac_f32_e32 v13, v25, v25
	v_add_f32_e32 v37, v14, v38
	v_perm_b32 v45, v28, v27, 0x7060302
	v_perm_b32 v44, v26, v25, 0x7060302
	s_delay_alu instid0(VALU_DEP_4) | instskip(SKIP_3) | instid1(VALU_DEP_4)
	v_dual_add_f32 v38, v39, v40 :: v_dual_fmac_f32 v13, v26, v26
	v_perm_b32 v40, v18, v17, 0x7060302
	v_perm_b32 v39, v15, v16, 0x7060302
	;; [unrolled: 1-line block ×4, first 2 shown]
	v_fmac_f32_e32 v13, v27, v27
	v_perm_b32 v49, v36, v35, 0x7060302
	v_perm_b32 v48, v34, v33, 0x7060302
	;; [unrolled: 1-line block ×3, first 2 shown]
	v_cmp_eq_u32_e64 s0, 31, v52
	v_fmac_f32_e32 v13, v28, v28
	buffer_store_b128 v[39:42], v51, s[28:31], 0 offen
	;;#ASMSTART
	s_nop 0
	;;#ASMEND
	buffer_store_b128 v[43:46], v51, s[28:31], 16 offen
	;;#ASMSTART
	s_nop 0
	;;#ASMEND
	v_fmac_f32_e32 v13, v29, v29
	buffer_store_b128 v[47:50], v51, s[28:31], 32 offen
	;;#ASMSTART
	s_nop 0
	;;#ASMEND
	v_fmac_f32_e32 v13, v30, v30
	s_delay_alu instid0(VALU_DEP_1) | instskip(NEXT) | instid1(VALU_DEP_1)
	v_fmac_f32_e32 v13, v31, v31
	v_fmac_f32_e32 v13, v32, v32
	s_delay_alu instid0(VALU_DEP_1) | instskip(NEXT) | instid1(VALU_DEP_1)
	v_fmac_f32_e32 v13, v33, v33
	;; [unrolled: 3-line block ×4, first 2 shown]
	v_fmac_f32_e32 v13, v38, v38
	s_delay_alu instid0(VALU_DEP_1) | instskip(NEXT) | instid1(VALU_DEP_1)
	v_mov_b32_dpp v14, v13 quad_perm:[1,0,3,2] row_mask:0xf bank_mask:0xf
	v_add_f32_e32 v13, v13, v14
	s_delay_alu instid0(VALU_DEP_1) | instskip(NEXT) | instid1(VALU_DEP_1)
	v_mov_b32_dpp v14, v13 quad_perm:[2,3,0,1] row_mask:0xf bank_mask:0xf
	v_add_f32_e32 v13, v13, v14
	s_delay_alu instid0(VALU_DEP_1) | instskip(NEXT) | instid1(VALU_DEP_1)
	v_mov_b32_dpp v14, v13 row_xmask:7 row_mask:0xf bank_mask:0xf
	v_add_f32_e32 v13, v13, v14
	s_delay_alu instid0(VALU_DEP_1)
	v_mov_b32_dpp v14, v13 row_xmask:15 row_mask:0xf bank_mask:0xf
	s_and_saveexec_b32 s1, s0
	s_cbranch_execz .LBB20_3
; %bb.2:
	s_delay_alu instid0(VALU_DEP_1) | instskip(SKIP_2) | instid1(VALU_DEP_2)
	v_add_f32_e32 v13, v13, v14
	s_mov_b32 s2, 0x76543210
	v_lshrrev_b32_e32 v14, 3, v0
	v_permlanex16_b32 v39, v13, s2, 0xfedcba98 op_sel:[1,1]
	s_delay_alu instid0(VALU_DEP_1)
	v_dual_add_f32 v13, v13, v39 :: v_dual_and_b32 v14, 0x7c, v14
	ds_store_b32 v14, v13 offset:32
.LBB20_3:
	s_or_b32 exec_lo, exec_lo, s1
	v_and_b32_e32 v13, 7, v0
	s_waitcnt vmcnt(0) lgkmcnt(0)
	s_waitcnt_vscnt null, 0x0
	s_barrier
	buffer_gl0_inv
	v_cvt_f32_i32_e32 v40, s5
	v_lshlrev_b32_e32 v14, 2, v13
	s_cmp_lg_u32 s10, 0
	ds_load_b32 v13, v14 offset:32
	s_waitcnt lgkmcnt(0)
	v_mov_b32_dpp v39, v13 quad_perm:[1,0,3,2] row_mask:0xf bank_mask:0xf
	s_delay_alu instid0(VALU_DEP_1) | instskip(NEXT) | instid1(VALU_DEP_1)
	v_add_f32_e32 v13, v13, v39
	v_mov_b32_dpp v39, v13 quad_perm:[2,3,0,1] row_mask:0xf bank_mask:0xf
	s_delay_alu instid0(VALU_DEP_1) | instskip(NEXT) | instid1(VALU_DEP_1)
	v_add_f32_e32 v13, v13, v39
	v_mov_b32_dpp v39, v13 row_xmask:7 row_mask:0xf bank_mask:0xf
	s_delay_alu instid0(VALU_DEP_1) | instskip(NEXT) | instid1(VALU_DEP_1)
	v_add_f32_e32 v13, v13, v39
	v_div_scale_f32 v39, null, v40, v40, v13
	v_div_scale_f32 v43, vcc_lo, v13, v40, v13
	s_delay_alu instid0(VALU_DEP_2) | instskip(SKIP_2) | instid1(VALU_DEP_1)
	v_rcp_f32_e32 v41, v39
	s_waitcnt_depctr 0xfff
	v_fma_f32 v42, -v39, v41, 1.0
	v_fmac_f32_e32 v41, v42, v41
	s_delay_alu instid0(VALU_DEP_1) | instskip(NEXT) | instid1(VALU_DEP_1)
	v_mul_f32_e32 v42, v43, v41
	v_fma_f32 v44, -v39, v42, v43
	s_delay_alu instid0(VALU_DEP_1) | instskip(NEXT) | instid1(VALU_DEP_1)
	v_fmac_f32_e32 v42, v44, v41
	v_fma_f32 v39, -v39, v42, v43
	s_delay_alu instid0(VALU_DEP_1) | instskip(SKIP_2) | instid1(VALU_DEP_3)
	v_div_fmas_f32 v39, v39, v41, v42
	v_and_b32_e32 v42, 0xffff, v11
	v_lshrrev_b32_e32 v11, 16, v11
	v_div_fixup_f32 v13, v39, v40, v13
	s_delay_alu instid0(VALU_DEP_3) | instskip(NEXT) | instid1(VALU_DEP_3)
	v_cvt_f32_u32_e32 v42, v42
	v_cvt_f32_u32_e32 v11, v11
	s_delay_alu instid0(VALU_DEP_3) | instskip(SKIP_1) | instid1(VALU_DEP_2)
	v_cvt_f64_f32_e32 v[39:40], v13
	v_mul_u32_u24_e32 v13, 24, v0
	v_add_f64 v[39:40], v[39:40], s[24:25]
	s_delay_alu instid0(VALU_DEP_1) | instskip(SKIP_2) | instid1(VALU_DEP_2)
	v_cvt_f32_f64_e32 v39, v[39:40]
	v_and_b32_e32 v40, 0xffff, v9
	v_lshrrev_b32_e32 v9, 16, v9
	v_cvt_f32_u32_e32 v40, v40
	s_delay_alu instid0(VALU_DEP_2) | instskip(SKIP_4) | instid1(VALU_DEP_4)
	v_cvt_f32_u32_e32 v9, v9
	v_mul_f32_e32 v53, 0x4b800000, v39
	v_cmp_gt_f32_e32 vcc_lo, 0x800000, v39
	v_and_b32_e32 v46, 0xffff, v7
	v_lshrrev_b32_e32 v7, 16, v7
	v_cndmask_b32_e32 v39, v39, v53, vcc_lo
	s_delay_alu instid0(VALU_DEP_3) | instskip(NEXT) | instid1(VALU_DEP_3)
	v_cvt_f32_u32_e32 v46, v46
	v_cvt_f32_u32_e32 v7, v7
	s_delay_alu instid0(VALU_DEP_3) | instskip(SKIP_4) | instid1(VALU_DEP_3)
	v_rsq_f32_e32 v39, v39
	s_waitcnt_depctr 0xfff
	v_mul_f32_e32 v53, 0x45800000, v39
	v_and_b32_e32 v50, 0xffff, v3
	v_lshrrev_b32_e32 v3, 16, v3
	v_cndmask_b32_e32 v39, v39, v53, vcc_lo
	v_and_b32_e32 v43, 0xffff, v12
	v_lshrrev_b32_e32 v12, 16, v12
	v_and_b32_e32 v47, 0xffff, v8
	v_lshrrev_b32_e32 v8, 16, v8
	v_dual_mul_f32 v22, v22, v39 :: v_dual_and_b32 v41, 0xffff, v10
	v_mul_f32_e32 v16, v16, v39
	v_lshrrev_b32_e32 v10, 16, v10
	v_dual_mul_f32 v15, v15, v39 :: v_dual_and_b32 v44, 0xffff, v5
	v_lshrrev_b32_e32 v5, 16, v5
	v_dual_mul_f32 v20, v20, v39 :: v_dual_and_b32 v45, 0xffff, v6
	;; [unrolled: 2-line block ×3, first 2 shown]
	v_lshrrev_b32_e32 v4, 16, v4
	v_cvt_f32_u32_e32 v12, v12
	v_cvt_f32_u32_e32 v8, v8
	v_mul_f32_e32 v30, v30, v39
	v_dual_mul_f32 v57, v27, v39 :: v_dual_and_b32 v48, 0xffff, v1
	v_mul_f32_e32 v17, v17, v39
	v_dual_mul_f32 v54, v24, v39 :: v_dual_and_b32 v49, 0xffff, v2
	v_lshrrev_b32_e32 v2, 16, v2
	v_cvt_f32_u32_e32 v41, v41
	v_cvt_f32_u32_e32 v10, v10
	;; [unrolled: 1-line block ×6, first 2 shown]
	v_mul_f32_e32 v18, v18, v39
	v_dual_mul_f32 v21, v21, v39 :: v_dual_mul_f32 v22, v22, v12
	v_mul_f32_e32 v58, v28, v39
	v_dual_mul_f32 v27, v16, v40 :: v_dual_mul_f32 v28, v15, v9
	;; [unrolled: 2-line block ×3, first 2 shown]
	v_mul_f32_e32 v35, v35, v39
	v_lshrrev_b32_e32 v1, 16, v1
	v_dual_mov_b32 v52, 0x2edbe6ff :: v_dual_mul_f32 v19, v19, v39
	v_cvt_f32_u32_e32 v44, v44
	v_cvt_f32_u32_e32 v49, v49
	;; [unrolled: 1-line block ×3, first 2 shown]
	v_mul_f32_e32 v53, v23, v39
	v_dual_mul_f32 v55, v25, v39 :: v_dual_mul_f32 v26, v18, v10
	v_mul_f32_e32 v18, v56, v6
	v_dual_mul_f32 v4, v38, v4 :: v_dual_mul_f32 v33, v33, v39
	v_mul_f32_e32 v6, v35, v50
	v_mul_f32_e32 v24, v20, v11
	;; [unrolled: 1-line block ×4, first 2 shown]
	v_cvt_f32_u32_e32 v43, v43
	v_cvt_f32_u32_e32 v1, v1
	v_dual_mul_f32 v32, v32, v39 :: v_dual_mul_f32 v23, v19, v42
	v_cvt_f32_u32_e32 v45, v45
	v_cvt_f32_u32_e32 v47, v47
	v_cvt_f32_u32_e32 v48, v48
	v_mul_f32_e32 v25, v17, v41
	v_mul_f32_e32 v19, v53, v44
	v_dual_mul_f32 v31, v31, v39 :: v_dual_mul_f32 v8, v34, v2
	v_mul_f32_e32 v29, v29, v39
	v_cvt_f32_u32_e32 v3, v3
	v_dual_mul_f32 v36, v36, v39 :: v_dual_mul_f32 v17, v55, v45
	v_dual_mul_f32 v21, v21, v43 :: v_dual_and_b32 v30, 0x7fffffff, v26
	v_cvt_f32_u32_e32 v51, v51
	v_dual_mul_f32 v37, v37, v39 :: v_dual_and_b32 v2, 0x7fffffff, v28
	v_dual_mul_f32 v16, v58, v7 :: v_dual_mul_f32 v9, v32, v1
	v_and_b32_e32 v1, 0x7fffffff, v27
	;;#ASMSTART
	v_max3_f32 v1, v52, v1, v2

	;;#ASMEND
	v_dual_mul_f32 v10, v31, v48 :: v_dual_mul_f32 v7, v33, v49
	v_dual_mul_f32 v11, v29, v47 :: v_dual_and_b32 v32, 0x7fffffff, v24
	v_and_b32_e32 v29, 0x7fffffff, v25
	;;#ASMSTART
	v_max3_f32 v1, v1, v29, v30

	;;#ASMEND
	v_and_b32_e32 v31, 0x7fffffff, v23
	;;#ASMSTART
	v_max3_f32 v1, v1, v31, v32

	;;#ASMEND
	v_dual_mul_f32 v5, v36, v3 :: v_dual_and_b32 v34, 0x7fffffff, v22
	v_and_b32_e32 v33, 0x7fffffff, v21
	;;#ASMSTART
	v_max3_f32 v1, v1, v33, v34

	;;#ASMEND
	v_dual_mul_f32 v3, v37, v51 :: v_dual_and_b32 v36, 0x7fffffff, v20
	v_and_b32_e32 v35, 0x7fffffff, v19
	;;#ASMSTART
	v_max3_f32 v1, v1, v35, v36

	;;#ASMEND
	v_and_b32_e32 v37, 0x7fffffff, v17
	v_and_b32_e32 v38, 0x7fffffff, v18
	;;#ASMSTART
	v_max3_f32 v1, v1, v37, v38

	;;#ASMEND
	v_and_b32_e32 v39, 0x7fffffff, v15
	v_and_b32_e32 v40, 0x7fffffff, v16
	;;#ASMSTART
	v_max3_f32 v1, v1, v39, v40

	;;#ASMEND
	v_and_b32_e32 v41, 0x7fffffff, v11
	v_and_b32_e32 v42, 0x7fffffff, v12
	;;#ASMSTART
	v_max3_f32 v1, v1, v41, v42

	;;#ASMEND
	v_and_b32_e32 v43, 0x7fffffff, v10
	v_and_b32_e32 v44, 0x7fffffff, v9
	;;#ASMSTART
	v_max3_f32 v1, v1, v43, v44

	;;#ASMEND
	v_and_b32_e32 v45, 0x7fffffff, v7
	v_and_b32_e32 v46, 0x7fffffff, v8
	;;#ASMSTART
	v_max3_f32 v1, v1, v45, v46

	;;#ASMEND
	v_and_b32_e32 v47, 0x7fffffff, v6
	v_and_b32_e32 v48, 0x7fffffff, v5
	v_and_b32_e32 v49, 0x7fffffff, v3
	;; [unrolled: 1-line block ×3, first 2 shown]
	;;#ASMSTART
	v_max3_f32 v1, v1, v47, v48

	;;#ASMEND
	;;#ASMSTART
	v_max3_f32 v29, v1, v49, v50

	;;#ASMEND
	s_cbranch_scc0 .LBB20_10
; %bb.4:
	s_mul_hi_i32 s1, s10, 0x2aaaaaab
	s_delay_alu instid0(SALU_CYCLE_1) | instskip(SKIP_1) | instid1(SALU_CYCLE_1)
	s_lshr_b32 s2, s1, 31
	s_ashr_i32 s1, s1, 2
	s_add_i32 s1, s1, s2
	s_delay_alu instid0(SALU_CYCLE_1)
	s_cmp_lt_i32 s1, 8
	s_cbranch_scc1 .LBB20_11
; %bb.5:
	s_cmp_lt_i32 s1, 16
	s_cbranch_scc1 .LBB20_12
; %bb.6:
	;; [unrolled: 3-line block ×3, first 2 shown]
	v_mov_b32_e32 v1, v29
	s_cmp_eq_u32 s1, 32
	s_cbranch_scc0 .LBB20_9
; %bb.8:
	s_delay_alu instid0(VALU_DEP_1) | instskip(SKIP_1) | instid1(VALU_DEP_1)
	v_mov_b32_dpp v1, v29 quad_perm:[1,0,3,2] row_mask:0xf bank_mask:0xf
	s_mov_b32 s2, 0x76543210
	v_cmp_gt_f32_e32 vcc_lo, v29, v1
	v_cndmask_b32_e32 v1, v1, v29, vcc_lo
	s_delay_alu instid0(VALU_DEP_1) | instskip(NEXT) | instid1(VALU_DEP_1)
	v_mov_b32_dpp v2, v1 quad_perm:[2,3,0,1] row_mask:0xf bank_mask:0xf
	v_cmp_gt_f32_e32 vcc_lo, v1, v2
	v_cndmask_b32_e32 v1, v2, v1, vcc_lo
	s_delay_alu instid0(VALU_DEP_1) | instskip(NEXT) | instid1(VALU_DEP_1)
	v_mov_b32_dpp v2, v1 row_xmask:7 row_mask:0xf bank_mask:0xf
	v_cmp_gt_f32_e32 vcc_lo, v1, v2
	v_cndmask_b32_e32 v1, v2, v1, vcc_lo
	s_delay_alu instid0(VALU_DEP_1) | instskip(NEXT) | instid1(VALU_DEP_1)
	v_mov_b32_dpp v2, v1 row_xmask:15 row_mask:0xf bank_mask:0xf
	v_cmp_gt_f32_e32 vcc_lo, v1, v2
	v_cndmask_b32_e32 v1, v2, v1, vcc_lo
	s_delay_alu instid0(VALU_DEP_1) | instskip(NEXT) | instid1(VALU_DEP_1)
	v_permlanex16_b32 v2, v1, s2, 0xfedcba98 op_sel:[1,1]
	v_cmp_gt_f32_e32 vcc_lo, v1, v2
	v_cndmask_b32_e32 v1, v2, v1, vcc_lo
.LBB20_9:
	s_mov_b32 s2, 0
	s_branch .LBB20_14
.LBB20_10:
	s_mov_b32 s1, 0
                                        ; implicit-def: $vgpr30
                                        ; implicit-def: $vgpr1_vgpr2
	s_and_b32 vcc_lo, exec_lo, s31
	s_cbranch_vccnz .LBB20_38
	s_branch .LBB20_41
.LBB20_11:
                                        ; implicit-def: $vgpr1
	s_branch .LBB20_21
.LBB20_12:
                                        ; implicit-def: $vgpr1
	s_branch .LBB20_18
.LBB20_13:
	s_mov_b32 s2, -1
                                        ; implicit-def: $vgpr1
.LBB20_14:
	s_delay_alu instid0(SALU_CYCLE_1)
	s_and_not1_b32 vcc_lo, exec_lo, s2
	s_cbranch_vccnz .LBB20_17
; %bb.15:
	v_mov_b32_e32 v1, v29
	s_cmp_eq_u32 s1, 16
	s_cbranch_scc0 .LBB20_17
; %bb.16:
	s_delay_alu instid0(VALU_DEP_1) | instskip(NEXT) | instid1(VALU_DEP_1)
	v_mov_b32_dpp v1, v29 quad_perm:[1,0,3,2] row_mask:0xf bank_mask:0xf
	v_cmp_gt_f32_e32 vcc_lo, v29, v1
	v_cndmask_b32_e32 v1, v1, v29, vcc_lo
	s_delay_alu instid0(VALU_DEP_1) | instskip(NEXT) | instid1(VALU_DEP_1)
	v_mov_b32_dpp v2, v1 quad_perm:[2,3,0,1] row_mask:0xf bank_mask:0xf
	v_cmp_gt_f32_e32 vcc_lo, v1, v2
	v_cndmask_b32_e32 v1, v2, v1, vcc_lo
	s_delay_alu instid0(VALU_DEP_1) | instskip(NEXT) | instid1(VALU_DEP_1)
	v_mov_b32_dpp v2, v1 row_half_mirror row_mask:0xf bank_mask:0xf
	v_cmp_gt_f32_e32 vcc_lo, v1, v2
	v_cndmask_b32_e32 v1, v2, v1, vcc_lo
	s_delay_alu instid0(VALU_DEP_1) | instskip(NEXT) | instid1(VALU_DEP_1)
	v_mov_b32_dpp v2, v1 row_mirror row_mask:0xf bank_mask:0xf
	v_cmp_gt_f32_e32 vcc_lo, v1, v2
	v_cndmask_b32_e32 v1, v2, v1, vcc_lo
.LBB20_17:
	s_cbranch_execnz .LBB20_20
.LBB20_18:
	v_mov_b32_e32 v1, v29
	s_cmp_eq_u32 s1, 8
	s_cbranch_scc0 .LBB20_20
; %bb.19:
	s_delay_alu instid0(VALU_DEP_1) | instskip(NEXT) | instid1(VALU_DEP_1)
	v_mov_b32_dpp v1, v29 quad_perm:[1,0,3,2] row_mask:0xf bank_mask:0xf
	v_cmp_gt_f32_e32 vcc_lo, v29, v1
	v_cndmask_b32_e32 v1, v1, v29, vcc_lo
	s_delay_alu instid0(VALU_DEP_1) | instskip(NEXT) | instid1(VALU_DEP_1)
	v_mov_b32_dpp v2, v1 quad_perm:[2,3,0,1] row_mask:0xf bank_mask:0xf
	v_cmp_gt_f32_e32 vcc_lo, v1, v2
	v_cndmask_b32_e32 v1, v2, v1, vcc_lo
	s_delay_alu instid0(VALU_DEP_1) | instskip(NEXT) | instid1(VALU_DEP_1)
	v_mov_b32_dpp v2, v1 row_half_mirror row_mask:0xf bank_mask:0xf
	v_cmp_gt_f32_e32 vcc_lo, v1, v2
	v_cndmask_b32_e32 v1, v2, v1, vcc_lo
.LBB20_20:
	s_cbranch_execnz .LBB20_28
.LBB20_21:
	s_cmp_lt_i32 s1, 4
	s_cbranch_scc1 .LBB20_24
; %bb.22:
	v_mov_b32_e32 v1, v29
	s_cmp_eq_u32 s1, 4
	s_cbranch_scc0 .LBB20_25
; %bb.23:
	s_delay_alu instid0(VALU_DEP_1) | instskip(NEXT) | instid1(VALU_DEP_1)
	v_mov_b32_dpp v1, v29 quad_perm:[1,0,3,2] row_mask:0xf bank_mask:0xf
	v_cmp_gt_f32_e32 vcc_lo, v29, v1
	v_cndmask_b32_e32 v1, v1, v29, vcc_lo
	s_delay_alu instid0(VALU_DEP_1) | instskip(NEXT) | instid1(VALU_DEP_1)
	v_mov_b32_dpp v2, v1 quad_perm:[2,3,0,1] row_mask:0xf bank_mask:0xf
	v_cmp_gt_f32_e32 vcc_lo, v1, v2
	v_cndmask_b32_e32 v1, v2, v1, vcc_lo
	s_cbranch_execz .LBB20_26
	s_branch .LBB20_28
.LBB20_24:
                                        ; implicit-def: $vgpr1
	s_branch .LBB20_26
.LBB20_25:
	s_cbranch_execnz .LBB20_28
.LBB20_26:
	v_mov_b32_e32 v1, v29
	s_cmp_lg_u32 s1, 2
	s_cbranch_scc1 .LBB20_28
; %bb.27:
	s_delay_alu instid0(VALU_DEP_1) | instskip(NEXT) | instid1(VALU_DEP_1)
	v_mov_b32_dpp v1, v29 quad_perm:[1,0,3,2] row_mask:0xf bank_mask:0xf
	v_cmp_gt_f32_e32 vcc_lo, v29, v1
	v_cndmask_b32_e32 v1, v1, v29, vcc_lo
.LBB20_28:
	v_cvt_f32_u32_e32 v2, s1
	s_sub_i32 s2, 0, s1
	s_mov_b32 s31, 0
	s_delay_alu instid0(VALU_DEP_1) | instskip(SKIP_2) | instid1(VALU_DEP_1)
	v_rcp_iflag_f32_e32 v2, v2
	s_waitcnt_depctr 0xfff
	v_mul_f32_e32 v2, 0x4f7ffffe, v2
	v_cvt_u32_f32_e32 v2, v2
	s_delay_alu instid0(VALU_DEP_1) | instskip(NEXT) | instid1(VALU_DEP_1)
	v_mul_lo_u32 v30, s2, v2
	v_mul_hi_u32 v30, v2, v30
	s_delay_alu instid0(VALU_DEP_1) | instskip(NEXT) | instid1(VALU_DEP_1)
	v_add_nc_u32_e32 v2, v2, v30
	v_mul_hi_u32 v2, v0, v2
	s_delay_alu instid0(VALU_DEP_1) | instskip(NEXT) | instid1(VALU_DEP_1)
	v_mul_lo_u32 v30, v2, s1
	v_sub_nc_u32_e32 v30, v0, v30
	s_delay_alu instid0(VALU_DEP_1) | instskip(SKIP_1) | instid1(VALU_DEP_2)
	v_subrev_nc_u32_e32 v32, s1, v30
	v_cmp_le_u32_e32 vcc_lo, s1, v30
	v_dual_cndmask_b32 v30, v30, v32 :: v_dual_add_nc_u32 v31, 1, v2
	s_delay_alu instid0(VALU_DEP_1) | instskip(NEXT) | instid1(VALU_DEP_2)
	v_cndmask_b32_e32 v2, v2, v31, vcc_lo
	v_cmp_le_u32_e32 vcc_lo, s1, v30
	s_delay_alu instid0(VALU_DEP_2) | instskip(NEXT) | instid1(VALU_DEP_1)
	v_dual_mul_f32 v30, 0x3b124925, v1 :: v_dual_add_nc_u32 v31, 1, v2
	v_cndmask_b32_e32 v31, v2, v31, vcc_lo
	v_cmp_gt_u32_e32 vcc_lo, s5, v13
	s_delay_alu instid0(VALU_DEP_2) | instskip(NEXT) | instid1(VALU_DEP_1)
	v_mul_lo_u32 v2, v31, s1
	v_sub_nc_u32_e32 v2, v0, v2
	s_delay_alu instid0(VALU_DEP_1) | instskip(NEXT) | instid1(VALU_DEP_1)
	v_cmp_eq_u32_e64 s1, 0, v2
                                        ; implicit-def: $vgpr1_vgpr2
	s_and_b32 s2, s1, vcc_lo
	s_mov_b32 s1, 0
	s_and_saveexec_b32 s3, s2
	s_delay_alu instid0(SALU_CYCLE_1)
	s_xor_b32 s8, exec_lo, s3
	s_cbranch_execz .LBB20_37
; %bb.29:
	s_bitcmp0_b32 s11, 0
	s_mov_b32 s6, 0
	s_cbranch_scc0 .LBB20_34
; %bb.30:
	s_ashr_i32 s1, s5, 31
	s_mul_hi_u32 s3, s5, s34
	s_mul_i32 s1, s1, s34
	s_mul_i32 s2, s5, s34
	s_add_i32 s3, s3, s1
	s_ashr_i32 s11, s10, 31
	s_delay_alu instid0(SALU_CYCLE_1) | instskip(NEXT) | instid1(SALU_CYCLE_1)
	s_or_b64 s[14:15], s[2:3], s[10:11]
	s_mov_b32 s7, s15
	s_delay_alu instid0(SALU_CYCLE_1)
	s_cmp_lg_u64 s[6:7], 0
	s_cbranch_scc0 .LBB20_45
; %bb.31:
	s_add_u32 s14, s10, s11
	s_mov_b32 s6, s11
	s_mov_b32 s7, s11
	s_addc_u32 s15, s11, s11
	s_delay_alu instid0(SALU_CYCLE_1) | instskip(NEXT) | instid1(SALU_CYCLE_1)
	s_xor_b64 s[14:15], s[14:15], s[6:7]
	v_cvt_f32_u32_e32 v1, s14
	v_cvt_f32_u32_e32 v2, s15
	s_sub_u32 s18, 0, s14
	s_subb_u32 s19, 0, s15
	s_delay_alu instid0(VALU_DEP_1) | instskip(NEXT) | instid1(VALU_DEP_1)
	v_fmamk_f32 v1, v2, 0x4f800000, v1
	v_rcp_f32_e32 v1, v1
	s_waitcnt_depctr 0xfff
	v_mul_f32_e32 v1, 0x5f7ffffc, v1
	s_delay_alu instid0(VALU_DEP_1) | instskip(NEXT) | instid1(VALU_DEP_1)
	v_mul_f32_e32 v2, 0x2f800000, v1
	v_trunc_f32_e32 v2, v2
	s_delay_alu instid0(VALU_DEP_1) | instskip(SKIP_1) | instid1(VALU_DEP_2)
	v_fmamk_f32 v1, v2, 0xcf800000, v1
	v_cvt_u32_f32_e32 v2, v2
	v_cvt_u32_f32_e32 v1, v1
	s_delay_alu instid0(VALU_DEP_2) | instskip(NEXT) | instid1(VALU_DEP_2)
	v_readfirstlane_b32 s1, v2
	v_readfirstlane_b32 s11, v1
	s_delay_alu instid0(VALU_DEP_2) | instskip(NEXT) | instid1(VALU_DEP_1)
	s_mul_i32 s20, s18, s1
	s_mul_hi_u32 s22, s18, s11
	s_mul_i32 s21, s19, s11
	s_add_i32 s20, s22, s20
	s_mul_i32 s23, s18, s11
	s_add_i32 s20, s20, s21
	s_mul_hi_u32 s22, s11, s23
	s_mul_hi_u32 s24, s1, s23
	s_mul_i32 s21, s1, s23
	s_mul_hi_u32 s23, s11, s20
	s_mul_i32 s11, s11, s20
	s_mul_hi_u32 s25, s1, s20
	s_add_u32 s11, s22, s11
	s_addc_u32 s22, 0, s23
	s_add_u32 s11, s11, s21
	s_mul_i32 s20, s1, s20
	s_addc_u32 s11, s22, s24
	s_addc_u32 s21, s25, 0
	s_add_u32 s11, s11, s20
	s_addc_u32 s20, 0, s21
	v_add_co_u32 v1, s11, v1, s11
	s_delay_alu instid0(VALU_DEP_1) | instskip(SKIP_1) | instid1(VALU_DEP_1)
	s_cmp_lg_u32 s11, 0
	s_addc_u32 s1, s1, s20
	v_readfirstlane_b32 s11, v1
	s_mul_i32 s20, s18, s1
	s_delay_alu instid0(VALU_DEP_1)
	s_mul_hi_u32 s21, s18, s11
	s_mul_i32 s19, s19, s11
	s_add_i32 s20, s21, s20
	s_mul_i32 s18, s18, s11
	s_add_i32 s20, s20, s19
	s_mul_hi_u32 s21, s1, s18
	s_mul_i32 s22, s1, s18
	s_mul_hi_u32 s18, s11, s18
	s_mul_hi_u32 s23, s11, s20
	s_mul_i32 s11, s11, s20
	s_mul_hi_u32 s19, s1, s20
	s_add_u32 s11, s18, s11
	s_addc_u32 s18, 0, s23
	s_add_u32 s11, s11, s22
	s_mul_i32 s20, s1, s20
	s_addc_u32 s11, s18, s21
	s_addc_u32 s18, s19, 0
	s_add_u32 s11, s11, s20
	s_addc_u32 s18, 0, s18
	v_add_co_u32 v1, s11, v1, s11
	s_delay_alu instid0(VALU_DEP_1) | instskip(SKIP_2) | instid1(SALU_CYCLE_1)
	s_cmp_lg_u32 s11, 0
	s_addc_u32 s1, s1, s18
	s_ashr_i32 s18, s3, 31
	s_add_u32 s20, s2, s18
	s_addc_u32 s21, s3, s18
	v_readfirstlane_b32 s3, v1
	s_mov_b32 s19, s18
	s_delay_alu instid0(SALU_CYCLE_1) | instskip(NEXT) | instid1(SALU_CYCLE_1)
	s_xor_b64 s[20:21], s[20:21], s[18:19]
	s_mul_i32 s22, s20, s1
	s_delay_alu instid0(VALU_DEP_1)
	s_mul_hi_u32 s23, s20, s3
	s_mul_hi_u32 s11, s20, s1
	;; [unrolled: 1-line block ×3, first 2 shown]
	s_mul_i32 s3, s21, s3
	s_add_u32 s22, s23, s22
	s_addc_u32 s11, 0, s11
	s_mul_hi_u32 s24, s21, s1
	s_add_u32 s3, s22, s3
	s_mul_i32 s1, s21, s1
	s_addc_u32 s3, s11, s25
	s_addc_u32 s11, s24, 0
	s_add_u32 s3, s3, s1
	s_addc_u32 s11, 0, s11
	s_mul_i32 s24, s14, s3
	s_mul_hi_u32 s1, s14, s3
	s_mul_i32 s23, s14, s11
	v_sub_co_u32 v1, s20, s20, s24
	s_mul_i32 s22, s15, s3
	s_add_i32 s1, s1, s23
	s_delay_alu instid0(SALU_CYCLE_1) | instskip(NEXT) | instid1(VALU_DEP_1)
	s_add_i32 s1, s1, s22
	v_sub_co_u32 v2, s23, v1, s14
	s_sub_i32 s22, s21, s1
	s_cmp_lg_u32 s20, 0
	s_subb_u32 s22, s22, s15
	s_cmp_lg_u32 s23, 0
	v_cmp_le_u32_e32 vcc_lo, s14, v2
	s_subb_u32 s22, s22, 0
	s_delay_alu instid0(SALU_CYCLE_1)
	s_cmp_ge_u32 s22, s15
	v_cndmask_b32_e64 v2, 0, -1, vcc_lo
	s_cselect_b32 s23, -1, 0
	s_cmp_eq_u32 s22, s15
	s_cselect_b32 vcc_lo, -1, 0
	s_add_u32 s22, s3, 1
	v_cndmask_b32_e32 v2, s23, v2, vcc_lo
	s_addc_u32 s23, s11, 0
	s_add_u32 s24, s3, 2
	s_addc_u32 s25, s11, 0
	s_cmp_lg_u32 s20, 0
	v_cmp_le_u32_e32 vcc_lo, s14, v1
	s_subb_u32 s1, s21, s1
	v_mov_b32_e32 v32, s24
	s_cmp_ge_u32 s1, s15
	v_cndmask_b32_e64 v1, 0, -1, vcc_lo
	s_cselect_b32 s14, -1, 0
	s_cmp_eq_u32 s1, s15
	v_cmp_ne_u32_e32 vcc_lo, 0, v2
	v_mov_b32_e32 v2, s25
	s_cselect_b32 s1, -1, 0
	s_xor_b64 s[6:7], s[18:19], s[6:7]
	v_cndmask_b32_e64 v1, s14, v1, s1
	v_cndmask_b32_e32 v32, s22, v32, vcc_lo
	v_cndmask_b32_e32 v2, s23, v2, vcc_lo
	s_delay_alu instid0(VALU_DEP_3) | instskip(NEXT) | instid1(VALU_DEP_2)
	v_cmp_ne_u32_e32 vcc_lo, 0, v1
	v_cndmask_b32_e32 v1, s11, v2, vcc_lo
	s_delay_alu instid0(VALU_DEP_4) | instskip(NEXT) | instid1(VALU_DEP_2)
	v_cndmask_b32_e32 v2, s3, v32, vcc_lo
	v_xor_b32_e32 v32, s7, v1
	s_delay_alu instid0(VALU_DEP_2) | instskip(NEXT) | instid1(VALU_DEP_1)
	v_xor_b32_e32 v2, s6, v2
	v_sub_co_u32 v1, vcc_lo, v2, s6
	s_delay_alu instid0(VALU_DEP_3)
	v_subrev_co_ci_u32_e32 v2, vcc_lo, s7, v32, vcc_lo
	s_cbranch_execnz .LBB20_33
.LBB20_32:
	v_cvt_f32_u32_e32 v1, s10
	s_sub_i32 s3, 0, s10
	s_delay_alu instid0(VALU_DEP_1) | instskip(SKIP_2) | instid1(VALU_DEP_1)
	v_rcp_iflag_f32_e32 v1, v1
	s_waitcnt_depctr 0xfff
	v_mul_f32_e32 v1, 0x4f7ffffe, v1
	v_cvt_u32_f32_e32 v1, v1
	s_delay_alu instid0(VALU_DEP_1) | instskip(NEXT) | instid1(VALU_DEP_1)
	v_readfirstlane_b32 s1, v1
	s_mul_i32 s3, s3, s1
	s_delay_alu instid0(SALU_CYCLE_1) | instskip(NEXT) | instid1(SALU_CYCLE_1)
	s_mul_hi_u32 s3, s1, s3
	s_add_i32 s1, s1, s3
	s_delay_alu instid0(SALU_CYCLE_1) | instskip(NEXT) | instid1(SALU_CYCLE_1)
	s_mul_hi_u32 s1, s2, s1
	s_mul_i32 s3, s1, s10
	s_delay_alu instid0(SALU_CYCLE_1)
	s_sub_i32 s2, s2, s3
	s_add_i32 s3, s1, 1
	s_sub_i32 s6, s2, s10
	s_cmp_ge_u32 s2, s10
	s_cselect_b32 s1, s3, s1
	s_cselect_b32 s2, s6, s2
	s_add_i32 s6, s1, 1
	s_cmp_ge_u32 s2, s10
	s_mov_b32 s3, 0
	s_cselect_b32 s2, s6, s1
	s_delay_alu instid0(SALU_CYCLE_1)
	v_dual_mov_b32 v1, s2 :: v_dual_mov_b32 v2, s3
.LBB20_33:
	s_delay_alu instid0(VALU_DEP_1) | instskip(NEXT) | instid1(VALU_DEP_2)
	v_add_co_u32 v1, vcc_lo, v1, v31
	v_add_co_ci_u32_e32 v2, vcc_lo, 0, v2, vcc_lo
	s_branch .LBB20_36
.LBB20_34:
                                        ; implicit-def: $vgpr1_vgpr2
	s_cbranch_execz .LBB20_36
; %bb.35:
	v_mul_lo_u32 v1, v31, s4
	s_delay_alu instid0(VALU_DEP_1) | instskip(SKIP_1) | instid1(VALU_DEP_2)
	v_ashrrev_i32_e32 v2, 31, v1
	v_add_co_u32 v1, vcc_lo, v1, s34
	v_add_co_ci_u32_e32 v2, vcc_lo, 0, v2, vcc_lo
.LBB20_36:
	s_mov_b32 s1, exec_lo
.LBB20_37:
	s_or_b32 exec_lo, exec_lo, s8
	s_delay_alu instid0(SALU_CYCLE_1)
	s_and_b32 vcc_lo, exec_lo, s31
	s_cbranch_vccz .LBB20_41
.LBB20_38:
	v_mov_b32_dpp v1, v29 quad_perm:[1,0,3,2] row_mask:0xf bank_mask:0xf
	s_delay_alu instid0(VALU_DEP_1) | instskip(SKIP_1) | instid1(VALU_DEP_1)
	v_cmp_gt_f32_e32 vcc_lo, v29, v1
	v_cndmask_b32_e32 v1, v1, v29, vcc_lo
	v_mov_b32_dpp v2, v1 quad_perm:[2,3,0,1] row_mask:0xf bank_mask:0xf
	s_delay_alu instid0(VALU_DEP_1) | instskip(SKIP_1) | instid1(VALU_DEP_1)
	v_cmp_gt_f32_e32 vcc_lo, v1, v2
	v_cndmask_b32_e32 v1, v2, v1, vcc_lo
	v_mov_b32_dpp v2, v1 row_xmask:7 row_mask:0xf bank_mask:0xf
	s_delay_alu instid0(VALU_DEP_1) | instskip(SKIP_1) | instid1(VALU_DEP_1)
	v_cmp_gt_f32_e32 vcc_lo, v1, v2
	v_cndmask_b32_e32 v1, v2, v1, vcc_lo
	v_mov_b32_dpp v2, v1 row_xmask:15 row_mask:0xf bank_mask:0xf
	s_delay_alu instid0(VALU_DEP_1)
	v_cmp_gt_f32_e32 vcc_lo, v1, v2
	s_and_saveexec_b32 s1, s0
	s_cbranch_execz .LBB20_40
; %bb.39:
	v_cndmask_b32_e32 v1, v2, v1, vcc_lo
	v_lshrrev_b32_e32 v2, 3, v0
	s_mov_b32 s0, 0x76543210
	s_delay_alu instid0(VALU_DEP_1) | instskip(NEXT) | instid1(VALU_DEP_3)
	v_and_b32_e32 v2, 0x7c, v2
	v_permlanex16_b32 v29, v1, s0, 0xfedcba98 op_sel:[1,1]
	s_delay_alu instid0(VALU_DEP_1)
	v_cmp_gt_f32_e32 vcc_lo, v1, v29
	v_cndmask_b32_e32 v1, v29, v1, vcc_lo
	ds_store_b32 v2, v1
.LBB20_40:
	s_or_b32 exec_lo, exec_lo, s1
	s_waitcnt lgkmcnt(0)
	s_barrier
	buffer_gl0_inv
	ds_load_b32 v1, v14
	v_cmp_eq_u32_e64 s1, 0, v0
	s_waitcnt lgkmcnt(0)
	v_mov_b32_dpp v2, v1 quad_perm:[1,0,3,2] row_mask:0xf bank_mask:0xf
	s_delay_alu instid0(VALU_DEP_1) | instskip(SKIP_1) | instid1(VALU_DEP_1)
	v_cmp_gt_f32_e32 vcc_lo, v1, v2
	v_cndmask_b32_e32 v1, v2, v1, vcc_lo
	v_mov_b32_dpp v2, v1 quad_perm:[2,3,0,1] row_mask:0xf bank_mask:0xf
	s_delay_alu instid0(VALU_DEP_1) | instskip(SKIP_1) | instid1(VALU_DEP_1)
	v_cmp_gt_f32_e32 vcc_lo, v1, v2
	v_cndmask_b32_e32 v1, v2, v1, vcc_lo
	v_mov_b32_dpp v2, v1 row_xmask:7 row_mask:0xf bank_mask:0xf
	s_delay_alu instid0(VALU_DEP_1) | instskip(SKIP_1) | instid1(VALU_DEP_1)
	v_cmp_gt_f32_e32 vcc_lo, v1, v2
	v_cndmask_b32_e32 v1, v2, v1, vcc_lo
	v_dual_mul_f32 v30, 0x3b124925, v1 :: v_dual_mov_b32 v1, s34
	v_mov_b32_e32 v2, s35
.LBB20_41:
	s_and_saveexec_b32 s0, s1
	s_cbranch_execz .LBB20_43
; %bb.42:
	s_delay_alu instid0(VALU_DEP_1) | instskip(NEXT) | instid1(VALU_DEP_1)
	v_lshlrev_b64 v[0:1], 2, v[1:2]
	v_add_co_u32 v0, vcc_lo, s16, v0
	s_delay_alu instid0(VALU_DEP_2)
	v_add_co_ci_u32_e32 v1, vcc_lo, s17, v1, vcc_lo
	global_store_b32 v[0:1], v30, off
.LBB20_43:
	s_or_b32 exec_lo, exec_lo, s0
	;;#ASMSTART
	v_rcp_f32 v2, v30
	;;#ASMEND
	v_dual_mul_f32 v0, v27, v2 :: v_dual_mov_b32 v27, 0x43e00000
	v_dual_mul_f32 v1, v28, v2 :: v_dual_mov_b32 v14, 0xc3e00000
	v_mul_f32_e32 v25, v25, v2
	v_mul_f32_e32 v26, v26, v2
	;;#ASMSTART
	v_med3_f32 v0, v0, v14, v27
v_med3_f32 v1, v1, v14, v27
v_cvt_pk_fp8_f32 v28, v0, v1
	;;#ASMEND
	;;#ASMSTART
	v_med3_f32 v25, v25, v14, v27
v_med3_f32 v26, v26, v14, v27
v_cvt_pk_fp8_f32 v0, v25, v26
	;;#ASMEND
	v_perm_b32 v1, v0, v28, 0x5040100
	v_and_b32_e32 v0, 0xffffff00, v0
	s_add_i32 s0, s5, 3
	v_mul_f32_e32 v24, v24, v2
	s_ashr_i32 s1, s0, 31
	v_lshrrev_b32_e32 v25, 16, v1
	s_lshr_b32 s1, s1, 30
	v_mul_f32_e32 v21, v21, v2
	v_mul_f32_e32 v22, v22, v2
	s_add_i32 s0, s0, s1
	v_and_b32_e32 v25, 0xff, v25
	s_ashr_i32 s1, s9, 31
	s_mul_hi_u32 s3, s9, s34
	s_mul_i32 s1, s1, s34
	s_and_b32 s2, s0, -4
	v_or_b32_e32 v0, v25, v0
	v_mul_f32_e32 v23, v23, v2
	s_mul_i32 s0, s9, s34
	s_add_i32 s3, s3, s1
	s_add_u32 s0, s12, s0
	v_lshlrev_b32_e32 v0, 16, v0
	;;#ASMSTART
	v_med3_f32 v23, v23, v14, v27
v_med3_f32 v24, v24, v14, v27
v_cvt_pk_fp8_f32 v25, v23, v24
	;;#ASMEND
	;;#ASMSTART
	v_med3_f32 v21, v21, v14, v27
v_med3_f32 v22, v22, v14, v27
v_cvt_pk_fp8_f32 v23, v21, v22
	;;#ASMEND
	v_lshlrev_b32_e32 v21, 16, v23
	s_addc_u32 s1, s13, s3
	v_and_or_b32 v0, 0xffff, v1, v0
	s_and_b32 s1, s1, 0xffff
	s_mov_b32 s3, -1
	v_and_or_b32 v1, 0xffff, v25, v21
	v_mul_f32_e32 v19, v19, v2
	v_mul_f32_e32 v20, v20, v2
	;; [unrolled: 1-line block ×4, first 2 shown]
	buffer_store_b64 v[0:1], v13, s[0:3], 0 offen
	;;#ASMSTART
	s_nop 0
	;;#ASMEND
	;;#ASMSTART
	v_med3_f32 v19, v19, v14, v27
v_med3_f32 v20, v20, v14, v27
v_cvt_pk_fp8_f32 v0, v19, v20
	;;#ASMEND
	;;#ASMSTART
	v_med3_f32 v17, v17, v14, v27
v_med3_f32 v18, v18, v14, v27
v_cvt_pk_fp8_f32 v1, v17, v18
	;;#ASMEND
	v_perm_b32 v0, v1, v0, 0x5040100
	v_and_b32_e32 v1, 0xffffff00, v1
	v_mul_f32_e32 v15, v15, v2
	v_mul_f32_e32 v16, v16, v2
	;; [unrolled: 1-line block ×3, first 2 shown]
	v_lshrrev_b32_e32 v17, 16, v0
	v_mul_f32_e32 v12, v12, v2
	v_mul_f32_e32 v10, v10, v2
	;; [unrolled: 1-line block ×4, first 2 shown]
	v_dual_mul_f32 v8, v8, v2 :: v_dual_and_b32 v17, 0xff, v17
	v_mul_f32_e32 v6, v6, v2
	v_mul_f32_e32 v5, v5, v2
	;; [unrolled: 1-line block ×3, first 2 shown]
	s_delay_alu instid0(VALU_DEP_4) | instskip(SKIP_3) | instid1(VALU_DEP_2)
	v_or_b32_e32 v1, v17, v1
	;;#ASMSTART
	v_med3_f32 v15, v15, v14, v27
v_med3_f32 v16, v16, v14, v27
v_cvt_pk_fp8_f32 v17, v15, v16
	;;#ASMEND
	;;#ASMSTART
	v_med3_f32 v11, v11, v14, v27
v_med3_f32 v12, v12, v14, v27
v_cvt_pk_fp8_f32 v15, v11, v12
	;;#ASMEND
	v_dual_mul_f32 v2, v4, v2 :: v_dual_lshlrev_b32 v11, 16, v15
	v_lshlrev_b32_e32 v12, 16, v1
	s_delay_alu instid0(VALU_DEP_2) | instskip(NEXT) | instid1(VALU_DEP_2)
	v_and_or_b32 v1, 0xffff, v17, v11
	v_and_or_b32 v0, 0xffff, v0, v12
	buffer_store_b64 v[0:1], v13, s[0:3], 8 offen
	;;#ASMSTART
	s_nop 0
	;;#ASMEND
	;;#ASMSTART
	v_med3_f32 v10, v10, v14, v27
v_med3_f32 v9, v9, v14, v27
v_cvt_pk_fp8_f32 v0, v10, v9
	;;#ASMEND
	;;#ASMSTART
	v_med3_f32 v7, v7, v14, v27
v_med3_f32 v8, v8, v14, v27
v_cvt_pk_fp8_f32 v1, v7, v8
	;;#ASMEND
	v_perm_b32 v0, v1, v0, 0x5040100
	v_and_b32_e32 v1, 0xffffff00, v1
	;;#ASMSTART
	v_med3_f32 v6, v6, v14, v27
v_med3_f32 v5, v5, v14, v27
v_cvt_pk_fp8_f32 v4, v6, v5
	;;#ASMEND
	;;#ASMSTART
	v_med3_f32 v3, v3, v14, v27
v_med3_f32 v2, v2, v14, v27
v_cvt_pk_fp8_f32 v5, v3, v2
	;;#ASMEND
	v_lshlrev_b32_e32 v2, 16, v5
	v_lshrrev_b32_e32 v7, 16, v0
	s_delay_alu instid0(VALU_DEP_1) | instskip(NEXT) | instid1(VALU_DEP_1)
	v_and_b32_e32 v7, 0xff, v7
	v_or_b32_e32 v1, v7, v1
	s_delay_alu instid0(VALU_DEP_1) | instskip(SKIP_1) | instid1(VALU_DEP_2)
	v_lshlrev_b32_e32 v3, 16, v1
	v_and_or_b32 v1, 0xffff, v4, v2
	v_and_or_b32 v0, 0xffff, v0, v3
	buffer_store_b64 v[0:1], v13, s[0:3], 16 offen
	;;#ASMSTART
	s_nop 0
	;;#ASMEND
.LBB20_44:
	s_nop 0
	s_sendmsg sendmsg(MSG_DEALLOC_VGPRS)
	s_endpgm
.LBB20_45:
                                        ; implicit-def: $vgpr1_vgpr2
	s_branch .LBB20_32
	.section	.rodata,"a",@progbits
	.p2align	6, 0x0
	.amdhsa_kernel _ZN5aiter24add_rmsnorm_quant_kernelItDB8_Li256ELi24ELb1ELb1ELb0ELi1EEEvPT0_PT_PfS5_S5_S5_diiiiiiib
		.amdhsa_group_segment_fixed_size 64
		.amdhsa_private_segment_fixed_size 0
		.amdhsa_kernarg_size 88
		.amdhsa_user_sgpr_count 15
		.amdhsa_user_sgpr_dispatch_ptr 0
		.amdhsa_user_sgpr_queue_ptr 0
		.amdhsa_user_sgpr_kernarg_segment_ptr 1
		.amdhsa_user_sgpr_dispatch_id 0
		.amdhsa_user_sgpr_private_segment_size 0
		.amdhsa_wavefront_size32 1
		.amdhsa_uses_dynamic_stack 0
		.amdhsa_enable_private_segment 0
		.amdhsa_system_sgpr_workgroup_id_x 1
		.amdhsa_system_sgpr_workgroup_id_y 0
		.amdhsa_system_sgpr_workgroup_id_z 0
		.amdhsa_system_sgpr_workgroup_info 0
		.amdhsa_system_vgpr_workitem_id 0
		.amdhsa_next_free_vgpr 59
		.amdhsa_next_free_sgpr 36
		.amdhsa_reserve_vcc 1
		.amdhsa_float_round_mode_32 0
		.amdhsa_float_round_mode_16_64 0
		.amdhsa_float_denorm_mode_32 3
		.amdhsa_float_denorm_mode_16_64 3
		.amdhsa_dx10_clamp 1
		.amdhsa_ieee_mode 1
		.amdhsa_fp16_overflow 0
		.amdhsa_workgroup_processor_mode 1
		.amdhsa_memory_ordered 1
		.amdhsa_forward_progress 0
		.amdhsa_shared_vgpr_count 0
		.amdhsa_exception_fp_ieee_invalid_op 0
		.amdhsa_exception_fp_denorm_src 0
		.amdhsa_exception_fp_ieee_div_zero 0
		.amdhsa_exception_fp_ieee_overflow 0
		.amdhsa_exception_fp_ieee_underflow 0
		.amdhsa_exception_fp_ieee_inexact 0
		.amdhsa_exception_int_div_zero 0
	.end_amdhsa_kernel
	.section	.text._ZN5aiter24add_rmsnorm_quant_kernelItDB8_Li256ELi24ELb1ELb1ELb0ELi1EEEvPT0_PT_PfS5_S5_S5_diiiiiiib,"axG",@progbits,_ZN5aiter24add_rmsnorm_quant_kernelItDB8_Li256ELi24ELb1ELb1ELb0ELi1EEEvPT0_PT_PfS5_S5_S5_diiiiiiib,comdat
.Lfunc_end20:
	.size	_ZN5aiter24add_rmsnorm_quant_kernelItDB8_Li256ELi24ELb1ELb1ELb0ELi1EEEvPT0_PT_PfS5_S5_S5_diiiiiiib, .Lfunc_end20-_ZN5aiter24add_rmsnorm_quant_kernelItDB8_Li256ELi24ELb1ELb1ELb0ELi1EEEvPT0_PT_PfS5_S5_S5_diiiiiiib
                                        ; -- End function
	.section	.AMDGPU.csdata,"",@progbits
; Kernel info:
; codeLenInByte = 5744
; NumSgprs: 38
; NumVgprs: 59
; ScratchSize: 0
; MemoryBound: 0
; FloatMode: 240
; IeeeMode: 1
; LDSByteSize: 64 bytes/workgroup (compile time only)
; SGPRBlocks: 4
; VGPRBlocks: 7
; NumSGPRsForWavesPerEU: 38
; NumVGPRsForWavesPerEU: 59
; Occupancy: 16
; WaveLimiterHint : 0
; COMPUTE_PGM_RSRC2:SCRATCH_EN: 0
; COMPUTE_PGM_RSRC2:USER_SGPR: 15
; COMPUTE_PGM_RSRC2:TRAP_HANDLER: 0
; COMPUTE_PGM_RSRC2:TGID_X_EN: 1
; COMPUTE_PGM_RSRC2:TGID_Y_EN: 0
; COMPUTE_PGM_RSRC2:TGID_Z_EN: 0
; COMPUTE_PGM_RSRC2:TIDIG_COMP_CNT: 0
	.section	.text._ZN5aiter24add_rmsnorm_quant_kernelIDF16_DB8_Li256ELi32ELb1ELb1ELb1ELi1EEEvPT0_PT_PfS5_S5_S5_diiiiiiib,"axG",@progbits,_ZN5aiter24add_rmsnorm_quant_kernelIDF16_DB8_Li256ELi32ELb1ELb1ELb1ELi1EEEvPT0_PT_PfS5_S5_S5_diiiiiiib,comdat
	.protected	_ZN5aiter24add_rmsnorm_quant_kernelIDF16_DB8_Li256ELi32ELb1ELb1ELb1ELi1EEEvPT0_PT_PfS5_S5_S5_diiiiiiib ; -- Begin function _ZN5aiter24add_rmsnorm_quant_kernelIDF16_DB8_Li256ELi32ELb1ELb1ELb1ELi1EEEvPT0_PT_PfS5_S5_S5_diiiiiiib
	.globl	_ZN5aiter24add_rmsnorm_quant_kernelIDF16_DB8_Li256ELi32ELb1ELb1ELb1ELi1EEEvPT0_PT_PfS5_S5_S5_diiiiiiib
	.p2align	8
	.type	_ZN5aiter24add_rmsnorm_quant_kernelIDF16_DB8_Li256ELi32ELb1ELb1ELb1ELi1EEEvPT0_PT_PfS5_S5_S5_diiiiiiib,@function
_ZN5aiter24add_rmsnorm_quant_kernelIDF16_DB8_Li256ELi32ELb1ELb1ELb1ELi1EEEvPT0_PT_PfS5_S5_S5_diiiiiiib: ; @_ZN5aiter24add_rmsnorm_quant_kernelIDF16_DB8_Li256ELi32ELb1ELb1ELb1ELi1EEEvPT0_PT_PfS5_S5_S5_diiiiiiib
; %bb.0:
	s_load_b256 s[4:11], s[0:1], 0x38
	s_mov_b32 s34, s15
	s_mov_b32 s35, 0
	s_waitcnt lgkmcnt(0)
	s_ashr_i32 s3, s4, 31
	s_mov_b32 s2, s4
	s_delay_alu instid0(SALU_CYCLE_1) | instskip(NEXT) | instid1(VALU_DEP_1)
	v_cmp_ge_i64_e64 s2, s[34:35], s[2:3]
	s_and_b32 vcc_lo, exec_lo, s2
	s_cbranch_vccnz .LBB21_44
; %bb.1:
	s_clause 0x1
	s_load_b256 s[12:19], s[0:1], 0x0
	s_load_b256 s[20:27], s[0:1], 0x20
	s_ashr_i32 s1, s6, 31
	v_lshlrev_b32_e32 v30, 5, v0
	s_mul_hi_u32 s2, s6, s34
	s_mul_i32 s3, s1, s34
	s_waitcnt lgkmcnt(0)
	s_mul_i32 s26, s6, s34
	s_add_i32 s27, s2, s3
	v_lshlrev_b32_e32 v1, 3, v0
	v_and_b32_e32 v2, 0x7c00, v30
	s_lshl_b64 s[26:27], s[26:27], 1
	s_mov_b32 s31, -1
	s_movk_i32 s0, 0x200
	s_movk_i32 s1, 0x400
	v_and_or_b32 v29, 0xf8, v1, v2
	s_movk_i32 s2, 0x600
	s_mov_b32 s39, s31
	s_delay_alu instid0(VALU_DEP_1)
	v_lshlrev_b32_e32 v31, 1, v29
	s_add_u32 s28, s18, s26
	s_addc_u32 s3, s19, s27
	s_add_i32 s6, s5, 1
	s_mul_hi_u32 s18, s7, s34
	s_lshr_b32 s19, s6, 31
	s_and_b32 s29, s3, 0xffff
	s_add_i32 s6, s6, s19
	s_ashr_i32 s19, s7, 31
	s_lshl_b32 s6, s6, 1
	s_mul_i32 s19, s19, s34
	s_and_b32 s30, s6, -4
	s_mul_i32 s6, s7, s34
	s_add_i32 s7, s18, s19
	s_and_b32 s37, s23, 0xffff
	s_lshl_b64 s[6:7], s[6:7], 1
	s_clause 0x3
	buffer_load_b128 v[32:35], v31, s[28:31], 0 offen glc slc
	buffer_load_b128 v[36:39], v31, s[28:31], s0 offen glc slc
	;; [unrolled: 1-line block ×4, first 2 shown]
	s_add_u32 s28, s20, s6
	s_addc_u32 s3, s21, s7
	s_mov_b32 s36, s22
	s_and_b32 s29, s3, 0xffff
	s_clause 0x3
	buffer_load_b128 v[44:47], v31, s[28:31], 0 offen glc slc
	buffer_load_b128 v[48:51], v31, s[28:31], s0 offen glc slc
	;; [unrolled: 1-line block ×4, first 2 shown]
	s_mov_b32 s38, s30
	s_ashr_i32 s3, s8, 31
	s_mul_hi_u32 s7, s8, s34
	s_mul_i32 s3, s3, s34
	s_mul_i32 s6, s8, s34
	s_add_i32 s7, s7, s3
	s_delay_alu instid0(SALU_CYCLE_1) | instskip(NEXT) | instid1(SALU_CYCLE_1)
	s_lshl_b64 s[6:7], s[6:7], 1
	s_add_u32 s28, s14, s6
	s_addc_u32 s3, s15, s7
	s_delay_alu instid0(SALU_CYCLE_1)
	s_and_b32 s29, s3, 0xffff
	s_waitcnt vmcnt(6)
	v_cvt_f32_f16_e32 v59, v36
	v_cvt_f32_f16_e32 v52, v32
	v_lshrrev_b32_e32 v32, 16, v32
	v_cvt_f32_f16_e32 v53, v33
	v_lshrrev_b32_e32 v54, 16, v33
	s_waitcnt vmcnt(3)
	v_lshrrev_b32_e32 v33, 16, v44
	v_cvt_f32_f16_e32 v55, v34
	v_lshrrev_b32_e32 v56, 16, v34
	v_cvt_f32_f16_e32 v57, v35
	;; [unrolled: 2-line block ×3, first 2 shown]
	v_cvt_f32_f16_e32 v33, v33
	v_cvt_f32_f16_e32 v34, v44
	;; [unrolled: 1-line block ×3, first 2 shown]
	v_lshrrev_b32_e32 v60, 16, v36
	v_lshrrev_b32_e32 v36, 16, v45
	v_add_f32_e32 v32, v32, v33
	s_delay_alu instid0(VALU_DEP_4)
	v_dual_add_f32 v33, v52, v34 :: v_dual_add_f32 v34, v53, v35
	s_clause 0x3
	buffer_load_b128 v[13:16], v31, s[36:39], 0 offen
	buffer_load_b128 v[9:12], v31, s[36:39], s0 offen
	;; [unrolled: 1-line block ×4, first 2 shown]
	v_cvt_f32_f16_e32 v61, v37
	v_lshrrev_b32_e32 v62, 16, v37
	v_cvt_f32_f16_e32 v65, v39
	v_lshrrev_b32_e32 v66, 16, v39
	v_cvt_f32_f16_e32 v37, v54
	v_cvt_f32_f16_e32 v36, v36
	v_lshrrev_b32_e32 v39, 16, v46
	v_cvt_f32_f16_e32 v63, v38
	v_lshrrev_b32_e32 v64, 16, v38
	;; [unrolled: 2-line block ×3, first 2 shown]
	v_cvt_f32_f16_e32 v38, v46
	v_add_f32_e32 v35, v37, v36
	v_cvt_f32_f16_e32 v37, v56
	v_cvt_f32_f16_e32 v39, v39
	v_lshrrev_b32_e32 v40, 16, v47
	v_dual_add_f32 v36, v55, v38 :: v_dual_and_b32 v69, 31, v0
	v_cvt_f32_f16_e32 v70, v41
	v_lshrrev_b32_e32 v44, 16, v41
	v_mul_f32_e32 v71, v32, v32
	v_cvt_f32_f16_e32 v45, v42
	v_lshrrev_b32_e32 v52, 16, v42
	v_cvt_f32_f16_e32 v38, v47
	v_add_f32_e32 v37, v37, v39
	v_cvt_f32_f16_e32 v39, v58
	v_cvt_f32_f16_e32 v40, v40
	s_waitcnt vmcnt(6)
	v_cvt_f32_f16_e32 v41, v48
	v_lshrrev_b32_e32 v42, 16, v48
	v_cvt_f32_f16_e32 v47, v25
	v_add_f32_e32 v38, v57, v38
	v_lshrrev_b32_e32 v53, 16, v25
	v_add_f32_e32 v25, v39, v40
	v_cvt_f32_f16_e32 v40, v60
	v_cvt_f32_f16_e32 v42, v42
	v_fmac_f32_e32 v71, v33, v33
	v_cvt_f32_f16_e32 v44, v44
	v_add_f32_e32 v39, v59, v41
	v_cvt_f32_f16_e32 v41, v49
	v_lshrrev_b32_e32 v49, 16, v49
	v_cvt_f32_f16_e32 v48, v26
	v_lshrrev_b32_e32 v54, 16, v26
	v_add_f32_e32 v26, v40, v42
	v_dual_fmac_f32 v71, v34, v34 :: v_dual_add_f32 v40, v61, v41
	v_cvt_f32_f16_e32 v42, v62
	v_cvt_f32_f16_e32 v49, v49
	;; [unrolled: 1-line block ×3, first 2 shown]
	v_lshrrev_b32_e32 v50, 16, v50
	v_cvt_f32_f16_e32 v55, v27
	v_lshrrev_b32_e32 v56, 16, v27
	v_add_f32_e32 v27, v42, v49
	v_cvt_f32_f16_e32 v42, v64
	v_cvt_f32_f16_e32 v49, v50
	;; [unrolled: 1-line block ×3, first 2 shown]
	v_lshrrev_b32_e32 v51, 16, v51
	v_cvt_f32_f16_e32 v57, v28
	v_lshrrev_b32_e32 v50, 16, v28
	v_add_f32_e32 v28, v42, v49
	v_cvt_f32_f16_e32 v49, v66
	v_cvt_f32_f16_e32 v51, v51
	v_dual_fmac_f32 v71, v35, v35 :: v_dual_add_f32 v42, v65, v58
	s_waitcnt vmcnt(5)
	v_cvt_f32_f16_e32 v58, v21
	v_lshrrev_b32_e32 v60, 16, v21
	v_add_f32_e32 v21, v49, v51
	v_lshrrev_b32_e32 v51, 16, v22
	v_cvt_f32_f16_e32 v46, v43
	v_lshrrev_b32_e32 v43, 16, v43
	v_cvt_f32_f16_e32 v59, v68
	v_cvt_f32_f16_e32 v49, v22
	;; [unrolled: 1-line block ×3, first 2 shown]
	v_add_f32_e32 v22, v67, v58
	v_cvt_f32_f16_e32 v58, v23
	v_fmac_f32_e32 v71, v36, v36
	v_lshrrev_b32_e32 v61, 16, v23
	v_cvt_f32_f16_e32 v51, v51
	v_cvt_f32_f16_e32 v52, v52
	v_add_f32_e32 v23, v59, v60
	v_cvt_f32_f16_e32 v59, v43
	v_cvt_f32_f16_e32 v60, v24
	v_add_f32_e32 v43, v70, v49
	v_lshrrev_b32_e32 v49, 16, v24
	v_add_f32_e32 v24, v44, v51
	v_add_f32_e32 v44, v45, v58
	v_cvt_f32_f16_e32 v51, v54
	v_cvt_f32_f16_e32 v54, v61
	v_fmac_f32_e32 v71, v37, v37
	s_waitcnt vmcnt(4)
	v_cvt_f32_f16_e32 v58, v18
	v_lshrrev_b32_e32 v61, 16, v18
	v_cvt_f32_f16_e32 v45, v49
	v_add_f32_e32 v18, v52, v54
	v_fmac_f32_e32 v71, v38, v38
	v_cvt_f32_f16_e32 v52, v19
	v_lshrrev_b32_e32 v54, 16, v19
	v_add_f32_e32 v19, v46, v60
	v_cvt_f32_f16_e32 v60, v50
	v_cvt_f32_f16_e32 v50, v20
	v_lshrrev_b32_e32 v49, 16, v20
	v_add_f32_e32 v20, v59, v45
	v_dual_fmac_f32 v71, v25, v25 :: v_dual_add_f32 v46, v48, v58
	v_cvt_f32_f16_e32 v62, v17
	v_cvt_f32_f16_e32 v59, v61
	s_delay_alu instid0(VALU_DEP_3) | instskip(SKIP_1) | instid1(VALU_DEP_4)
	v_dual_add_f32 v48, v57, v50 :: v_dual_fmac_f32 v71, v39, v39
	v_add_f32_e32 v41, v63, v41
	v_add_f32_e32 v45, v47, v62
	;; [unrolled: 1-line block ×3, first 2 shown]
	v_cvt_f32_f16_e32 v52, v49
	v_dual_fmac_f32 v71, v26, v26 :: v_dual_add_f32 v50, v51, v59
	v_lshrrev_b32_e32 v17, 16, v17
	v_cvt_f32_f16_e32 v53, v53
	s_delay_alu instid0(VALU_DEP_4) | instskip(NEXT) | instid1(VALU_DEP_4)
	v_add_f32_e32 v52, v60, v52
	v_fmac_f32_e32 v71, v40, v40
	v_cvt_f32_f16_e32 v56, v56
	v_cvt_f32_f16_e32 v17, v17
	;; [unrolled: 1-line block ×3, first 2 shown]
	v_cvt_f16_f32_e32 v60, v32
	v_fmac_f32_e32 v71, v27, v27
	v_cvt_f16_f32_e32 v55, v36
	v_add_f32_e32 v49, v53, v17
	v_add_f32_e32 v51, v56, v54
	v_cvt_f16_f32_e32 v17, v33
	v_fmac_f32_e32 v71, v41, v41
	v_cvt_f16_f32_e32 v53, v34
	v_cvt_f16_f32_e32 v54, v35
	;; [unrolled: 1-line block ×4, first 2 shown]
	v_fmac_f32_e32 v71, v28, v28
	v_cvt_f16_f32_e32 v58, v40
	v_pack_b32_f16 v54, v53, v54
	v_pack_b32_f16 v53, v17, v60
	v_cvt_f16_f32_e32 v59, v41
	v_fmac_f32_e32 v71, v42, v42
	v_cvt_f16_f32_e32 v62, v42
	v_cvt_f16_f32_e32 v73, v37
	v_cvt_f16_f32_e32 v56, v25
	v_cvt_f16_f32_e32 v74, v26
	v_fmac_f32_e32 v71, v21, v21
	v_cvt_f16_f32_e32 v75, v27
	v_cvt_f16_f32_e32 v76, v28
	v_cvt_f16_f32_e32 v77, v21
	;; [unrolled: 5-line block ×6, first 2 shown]
	v_pack_b32_f16 v56, v57, v56
	v_fmac_f32_e32 v71, v44, v44
	v_pack_b32_f16 v55, v55, v73
	v_pack_b32_f16 v60, v62, v77
	v_pack_b32_f16 v59, v59, v76
	v_pack_b32_f16 v58, v58, v75
	v_fmac_f32_e32 v71, v18, v18
	v_pack_b32_f16 v57, v61, v74
	v_pack_b32_f16 v64, v64, v81
	v_pack_b32_f16 v63, v63, v80
	v_pack_b32_f16 v62, v66, v79
	v_fmac_f32_e32 v71, v19, v19
	v_pack_b32_f16 v61, v65, v78
	v_pack_b32_f16 v68, v68, v86
	v_pack_b32_f16 v67, v67, v85
	v_pack_b32_f16 v66, v72, v84
	v_fmac_f32_e32 v71, v20, v20
	v_pack_b32_f16 v65, v70, v83
	buffer_store_b128 v[53:56], v31, s[28:31], 0 offen glc slc
	;;#ASMSTART
	s_nop 0
	;;#ASMEND
	buffer_store_b128 v[57:60], v31, s[28:31], s0 offen glc slc
	v_fmac_f32_e32 v71, v45, v45
	v_cmp_eq_u32_e64 s0, 31, v69
	;;#ASMSTART
	s_nop 0
	;;#ASMEND
	buffer_store_b128 v[61:64], v31, s[28:31], s1 offen glc slc
	;;#ASMSTART
	s_nop 0
	;;#ASMEND
	v_fmac_f32_e32 v71, v49, v49
	buffer_store_b128 v[65:68], v31, s[28:31], s2 offen glc slc
	;;#ASMSTART
	s_nop 0
	;;#ASMEND
	v_fmac_f32_e32 v71, v46, v46
	s_delay_alu instid0(VALU_DEP_1) | instskip(NEXT) | instid1(VALU_DEP_1)
	v_fmac_f32_e32 v71, v50, v50
	v_fmac_f32_e32 v71, v47, v47
	s_delay_alu instid0(VALU_DEP_1) | instskip(NEXT) | instid1(VALU_DEP_1)
	v_fmac_f32_e32 v71, v51, v51
	;; [unrolled: 3-line block ×3, first 2 shown]
	v_mov_b32_dpp v82, v71 quad_perm:[1,0,3,2] row_mask:0xf bank_mask:0xf
	s_delay_alu instid0(VALU_DEP_1) | instskip(NEXT) | instid1(VALU_DEP_1)
	v_add_f32_e32 v71, v71, v82
	v_mov_b32_dpp v17, v71 quad_perm:[2,3,0,1] row_mask:0xf bank_mask:0xf
	s_delay_alu instid0(VALU_DEP_1) | instskip(NEXT) | instid1(VALU_DEP_1)
	v_add_f32_e32 v17, v71, v17
	v_mov_b32_dpp v71, v17 row_xmask:7 row_mask:0xf bank_mask:0xf
	s_delay_alu instid0(VALU_DEP_1) | instskip(NEXT) | instid1(VALU_DEP_1)
	v_add_f32_e32 v17, v17, v71
	v_mov_b32_dpp v53, v17 row_xmask:15 row_mask:0xf bank_mask:0xf
	s_and_saveexec_b32 s1, s0
	s_cbranch_execz .LBB21_3
; %bb.2:
	s_delay_alu instid0(VALU_DEP_1) | instskip(SKIP_2) | instid1(VALU_DEP_2)
	v_add_f32_e32 v17, v17, v53
	s_mov_b32 s2, 0x76543210
	v_lshrrev_b32_e32 v31, 3, v0
	v_permlanex16_b32 v53, v17, s2, 0xfedcba98 op_sel:[1,1]
	s_delay_alu instid0(VALU_DEP_2) | instskip(NEXT) | instid1(VALU_DEP_2)
	v_and_b32_e32 v31, 0x7c, v31
	v_add_f32_e32 v17, v17, v53
	ds_store_b32 v31, v17 offset:32
.LBB21_3:
	s_or_b32 exec_lo, exec_lo, s1
	v_and_b32_e32 v17, 7, v0
	s_waitcnt vmcnt(0) lgkmcnt(0)
	s_waitcnt_vscnt null, 0x0
	s_barrier
	buffer_gl0_inv
	v_cvt_f32_i32_e32 v54, s5
	v_lshlrev_b32_e32 v17, 2, v17
	v_cvt_f32_f16_e32 v59, v11
	v_lshrrev_b32_e32 v11, 16, v11
	v_cvt_f32_f16_e32 v63, v7
	v_lshrrev_b32_e32 v7, 16, v7
	ds_load_b32 v31, v17 offset:32
	v_cvt_f32_f16_e32 v60, v12
	v_lshrrev_b32_e32 v12, 16, v12
	v_cvt_f32_f16_e32 v61, v5
	v_lshrrev_b32_e32 v5, 16, v5
	;; [unrolled: 2-line block ×6, first 2 shown]
	v_cvt_f32_f16_e32 v11, v11
	v_cvt_f32_f16_e32 v7, v7
	;; [unrolled: 1-line block ×3, first 2 shown]
	v_lshrrev_b32_e32 v4, 16, v4
	v_cvt_f32_f16_e32 v12, v12
	v_cvt_f32_f16_e32 v5, v5
	;; [unrolled: 1-line block ×3, first 2 shown]
	s_waitcnt lgkmcnt(0)
	v_mov_b32_dpp v53, v31 quad_perm:[1,0,3,2] row_mask:0xf bank_mask:0xf
	v_cvt_f32_f16_e32 v8, v8
	v_cvt_f32_f16_e32 v1, v1
	;; [unrolled: 1-line block ×4, first 2 shown]
	v_add_f32_e32 v31, v31, v53
	s_cmp_lg_u32 s10, 0
	s_delay_alu instid0(VALU_DEP_1) | instskip(NEXT) | instid1(VALU_DEP_1)
	v_mov_b32_dpp v53, v31 quad_perm:[2,3,0,1] row_mask:0xf bank_mask:0xf
	v_add_f32_e32 v31, v31, v53
	s_delay_alu instid0(VALU_DEP_1) | instskip(NEXT) | instid1(VALU_DEP_1)
	v_mov_b32_dpp v53, v31 row_xmask:7 row_mask:0xf bank_mask:0xf
	v_add_f32_e32 v31, v31, v53
	s_delay_alu instid0(VALU_DEP_1) | instskip(SKIP_1) | instid1(VALU_DEP_2)
	v_div_scale_f32 v53, null, v54, v54, v31
	v_div_scale_f32 v57, vcc_lo, v31, v54, v31
	v_rcp_f32_e32 v55, v53
	s_waitcnt_depctr 0xfff
	v_fma_f32 v56, -v53, v55, 1.0
	s_delay_alu instid0(VALU_DEP_1) | instskip(NEXT) | instid1(VALU_DEP_1)
	v_fmac_f32_e32 v55, v56, v55
	v_mul_f32_e32 v56, v57, v55
	s_delay_alu instid0(VALU_DEP_1) | instskip(NEXT) | instid1(VALU_DEP_1)
	v_fma_f32 v58, -v53, v56, v57
	v_fmac_f32_e32 v56, v58, v55
	v_cvt_f32_f16_e32 v58, v10
	v_lshrrev_b32_e32 v10, 16, v10
	s_delay_alu instid0(VALU_DEP_3) | instskip(SKIP_2) | instid1(VALU_DEP_4)
	v_fma_f32 v53, -v53, v56, v57
	v_cvt_f32_f16_e32 v57, v9
	v_lshrrev_b32_e32 v9, 16, v9
	v_cvt_f32_f16_e32 v10, v10
	s_delay_alu instid0(VALU_DEP_4)
	v_div_fmas_f32 v53, v53, v55, v56
	v_cvt_f32_f16_e32 v55, v15
	v_lshrrev_b32_e32 v15, 16, v15
	v_cvt_f32_f16_e32 v56, v16
	v_lshrrev_b32_e32 v16, 16, v16
	v_div_fixup_f32 v31, v53, v54, v31
	v_cvt_f32_f16_e32 v9, v9
	v_cvt_f32_f16_e32 v15, v15
	s_delay_alu instid0(VALU_DEP_4) | instskip(NEXT) | instid1(VALU_DEP_4)
	v_cvt_f32_f16_e32 v16, v16
	v_cvt_f64_f32_e32 v[53:54], v31
	s_delay_alu instid0(VALU_DEP_1) | instskip(NEXT) | instid1(VALU_DEP_1)
	v_add_f64 v[53:54], v[53:54], s[24:25]
	v_cvt_f32_f64_e32 v31, v[53:54]
	v_cvt_f32_f16_e32 v53, v13
	v_lshrrev_b32_e32 v13, 16, v13
	v_cvt_f32_f16_e32 v54, v14
	v_lshrrev_b32_e32 v14, 16, v14
	s_delay_alu instid0(VALU_DEP_3) | instskip(NEXT) | instid1(VALU_DEP_2)
	v_cvt_f32_f16_e32 v13, v13
	v_cvt_f32_f16_e32 v14, v14
	v_cmp_gt_f32_e32 vcc_lo, 0x800000, v31
	v_mul_f32_e32 v66, 0x4b800000, v31
	s_delay_alu instid0(VALU_DEP_1) | instskip(SKIP_2) | instid1(VALU_DEP_3)
	v_cndmask_b32_e32 v31, v31, v66, vcc_lo
	v_cvt_f32_f16_e32 v66, v3
	v_lshrrev_b32_e32 v3, 16, v3
	v_rsq_f32_e32 v31, v31
	s_delay_alu instid0(VALU_DEP_1) | instskip(SKIP_2) | instid1(VALU_DEP_1)
	v_cvt_f32_f16_e32 v3, v3
	s_waitcnt_depctr 0xfff
	v_mul_f32_e32 v70, 0x45800000, v31
	v_cndmask_b32_e32 v31, v31, v70, vcc_lo
	s_delay_alu instid0(VALU_DEP_1)
	v_dual_mov_b32 v69, 0x2edbe6ff :: v_dual_mul_f32 v32, v32, v31
	v_dual_mul_f32 v33, v33, v31 :: v_dual_mul_f32 v72, v31, v26
	v_dual_mul_f32 v71, v37, v31 :: v_dual_mul_f32 v40, v31, v40
	v_mul_f32_e32 v35, v35, v31
	v_dual_mul_f32 v25, v25, v31 :: v_dual_mul_f32 v74, v31, v28
	v_mul_f32_e32 v44, v31, v44
	v_mul_f32_e32 v78, v31, v18
	v_dual_mul_f32 v34, v34, v31 :: v_dual_mul_f32 v21, v31, v21
	v_dual_mul_f32 v70, v36, v31 :: v_dual_mul_f32 v75, v31, v22
	v_mul_f32_e32 v38, v31, v38
	v_mul_f32_e32 v41, v31, v41
	s_delay_alu instid0(VALU_DEP_4)
	v_dual_mul_f32 v46, v31, v46 :: v_dual_mul_f32 v21, v21, v12
	v_dual_mul_f32 v42, v31, v42 :: v_dual_mul_f32 v37, v32, v13
	v_mul_f32_e32 v39, v31, v39
	v_mul_f32_e32 v76, v31, v23
	;; [unrolled: 1-line block ×3, first 2 shown]
	v_dual_mul_f32 v77, v31, v24 :: v_dual_mul_f32 v22, v41, v59
	v_mul_f32_e32 v80, v31, v20
	v_mul_f32_e32 v36, v33, v53
	;; [unrolled: 1-line block ×3, first 2 shown]
	v_dual_mul_f32 v45, v31, v45 :: v_dual_mul_f32 v24, v40, v58
	v_mul_f32_e32 v35, v35, v14
	v_dual_mul_f32 v23, v74, v11 :: v_dual_mul_f32 v50, v31, v50
	v_mul_f32_e32 v13, v78, v7
	v_dual_mul_f32 v49, v31, v49 :: v_dual_mul_f32 v14, v44, v63
	v_dual_mul_f32 v47, v31, v47 :: v_dual_mul_f32 v34, v34, v54
	v_mul_f32_e32 v32, v70, v55
	v_mul_f32_e32 v33, v71, v15
	;; [unrolled: 1-line block ×5, first 2 shown]
	v_dual_mul_f32 v52, v31, v52 :: v_dual_mul_f32 v7, v46, v67
	v_dual_mul_f32 v51, v31, v51 :: v_dual_mul_f32 v28, v38, v56
	v_mul_f32_e32 v31, v25, v16
	s_delay_alu instid0(VALU_DEP_3)
	v_mul_f32_e32 v4, v52, v4
	v_mul_f32_e32 v20, v42, v60
	v_dual_mul_f32 v18, v76, v5 :: v_dual_mul_f32 v25, v73, v10
	v_mul_f32_e32 v16, v77, v6
	v_mul_f32_e32 v12, v80, v8
	;; [unrolled: 1-line block ×3, first 2 shown]
	v_dual_mul_f32 v8, v50, v2 :: v_dual_mul_f32 v9, v49, v1
	v_mul_f32_e32 v26, v39, v57
	v_dual_mul_f32 v6, v47, v66 :: v_dual_and_b32 v1, 0x7fffffff, v36
	v_and_b32_e32 v2, 0x7fffffff, v37
	;;#ASMSTART
	v_max3_f32 v1, v69, v1, v2

	;;#ASMEND
	v_and_b32_e32 v38, 0x7fffffff, v34
	v_and_b32_e32 v39, 0x7fffffff, v35
	;;#ASMSTART
	v_max3_f32 v1, v1, v38, v39

	;;#ASMEND
	v_dual_mul_f32 v19, v75, v61 :: v_dual_and_b32 v40, 0x7fffffff, v32
	v_and_b32_e32 v41, 0x7fffffff, v33
	;;#ASMSTART
	v_max3_f32 v1, v1, v40, v41

	;;#ASMEND
	v_dual_mul_f32 v15, v43, v62 :: v_dual_and_b32 v42, 0x7fffffff, v28
	;; [unrolled: 6-line block ×3, first 2 shown]
	v_mul_f32_e32 v3, v48, v68
	v_dual_mul_f32 v11, v79, v64 :: v_dual_and_b32 v44, 0x7fffffff, v26
	v_and_b32_e32 v45, 0x7fffffff, v27
	;;#ASMSTART
	v_max3_f32 v1, v1, v44, v45

	;;#ASMEND
	v_and_b32_e32 v47, 0x7fffffff, v25
	;;#ASMSTART
	v_max3_f32 v1, v1, v46, v47

	;;#ASMEND
	v_and_b32_e32 v48, 0x7fffffff, v22
	v_and_b32_e32 v49, 0x7fffffff, v23
	;;#ASMSTART
	v_max3_f32 v1, v1, v48, v49

	;;#ASMEND
	v_and_b32_e32 v50, 0x7fffffff, v20
	;; [unrolled: 6-line block ×9, first 2 shown]
	v_and_b32_e32 v65, 0x7fffffff, v5
	v_and_b32_e32 v66, 0x7fffffff, v3
	;; [unrolled: 1-line block ×3, first 2 shown]
	;;#ASMSTART
	v_max3_f32 v1, v1, v64, v65

	;;#ASMEND
	;;#ASMSTART
	v_max3_f32 v38, v1, v66, v67

	;;#ASMEND
	s_cbranch_scc0 .LBB21_10
; %bb.4:
	s_ashr_i32 s7, s10, 31
	s_delay_alu instid0(SALU_CYCLE_1) | instskip(NEXT) | instid1(SALU_CYCLE_1)
	s_lshr_b32 s1, s7, 27
	s_add_i32 s1, s10, s1
	s_delay_alu instid0(SALU_CYCLE_1) | instskip(NEXT) | instid1(SALU_CYCLE_1)
	s_ashr_i32 s1, s1, 5
	s_cmp_lt_i32 s1, 8
	s_cbranch_scc1 .LBB21_11
; %bb.5:
	s_cmp_lt_i32 s1, 16
	s_cbranch_scc1 .LBB21_12
; %bb.6:
	;; [unrolled: 3-line block ×3, first 2 shown]
	v_mov_b32_e32 v1, v38
	s_cmp_eq_u32 s1, 32
	s_cbranch_scc0 .LBB21_9
; %bb.8:
	s_delay_alu instid0(VALU_DEP_1) | instskip(SKIP_1) | instid1(VALU_DEP_1)
	v_mov_b32_dpp v1, v38 quad_perm:[1,0,3,2] row_mask:0xf bank_mask:0xf
	s_mov_b32 s2, 0x76543210
	v_cmp_gt_f32_e32 vcc_lo, v38, v1
	v_cndmask_b32_e32 v1, v1, v38, vcc_lo
	s_delay_alu instid0(VALU_DEP_1) | instskip(NEXT) | instid1(VALU_DEP_1)
	v_mov_b32_dpp v2, v1 quad_perm:[2,3,0,1] row_mask:0xf bank_mask:0xf
	v_cmp_gt_f32_e32 vcc_lo, v1, v2
	v_cndmask_b32_e32 v1, v2, v1, vcc_lo
	s_delay_alu instid0(VALU_DEP_1) | instskip(NEXT) | instid1(VALU_DEP_1)
	v_mov_b32_dpp v2, v1 row_xmask:7 row_mask:0xf bank_mask:0xf
	v_cmp_gt_f32_e32 vcc_lo, v1, v2
	v_cndmask_b32_e32 v1, v2, v1, vcc_lo
	s_delay_alu instid0(VALU_DEP_1) | instskip(NEXT) | instid1(VALU_DEP_1)
	v_mov_b32_dpp v2, v1 row_xmask:15 row_mask:0xf bank_mask:0xf
	v_cmp_gt_f32_e32 vcc_lo, v1, v2
	v_cndmask_b32_e32 v1, v2, v1, vcc_lo
	s_delay_alu instid0(VALU_DEP_1) | instskip(NEXT) | instid1(VALU_DEP_1)
	v_permlanex16_b32 v2, v1, s2, 0xfedcba98 op_sel:[1,1]
	v_cmp_gt_f32_e32 vcc_lo, v1, v2
	v_cndmask_b32_e32 v1, v2, v1, vcc_lo
.LBB21_9:
	s_mov_b32 s2, 0
	s_branch .LBB21_14
.LBB21_10:
	s_mov_b32 s1, 0
                                        ; implicit-def: $vgpr30
                                        ; implicit-def: $vgpr1_vgpr2
	s_and_b32 vcc_lo, exec_lo, s31
	s_cbranch_vccnz .LBB21_38
	s_branch .LBB21_41
.LBB21_11:
                                        ; implicit-def: $vgpr1
	s_branch .LBB21_21
.LBB21_12:
                                        ; implicit-def: $vgpr1
	s_branch .LBB21_18
.LBB21_13:
	s_mov_b32 s2, -1
                                        ; implicit-def: $vgpr1
.LBB21_14:
	s_delay_alu instid0(SALU_CYCLE_1)
	s_and_not1_b32 vcc_lo, exec_lo, s2
	s_cbranch_vccnz .LBB21_17
; %bb.15:
	v_mov_b32_e32 v1, v38
	s_cmp_eq_u32 s1, 16
	s_cbranch_scc0 .LBB21_17
; %bb.16:
	s_delay_alu instid0(VALU_DEP_1) | instskip(NEXT) | instid1(VALU_DEP_1)
	v_mov_b32_dpp v1, v38 quad_perm:[1,0,3,2] row_mask:0xf bank_mask:0xf
	v_cmp_gt_f32_e32 vcc_lo, v38, v1
	v_cndmask_b32_e32 v1, v1, v38, vcc_lo
	s_delay_alu instid0(VALU_DEP_1) | instskip(NEXT) | instid1(VALU_DEP_1)
	v_mov_b32_dpp v2, v1 quad_perm:[2,3,0,1] row_mask:0xf bank_mask:0xf
	v_cmp_gt_f32_e32 vcc_lo, v1, v2
	v_cndmask_b32_e32 v1, v2, v1, vcc_lo
	s_delay_alu instid0(VALU_DEP_1) | instskip(NEXT) | instid1(VALU_DEP_1)
	v_mov_b32_dpp v2, v1 row_half_mirror row_mask:0xf bank_mask:0xf
	v_cmp_gt_f32_e32 vcc_lo, v1, v2
	v_cndmask_b32_e32 v1, v2, v1, vcc_lo
	s_delay_alu instid0(VALU_DEP_1) | instskip(NEXT) | instid1(VALU_DEP_1)
	v_mov_b32_dpp v2, v1 row_mirror row_mask:0xf bank_mask:0xf
	v_cmp_gt_f32_e32 vcc_lo, v1, v2
	v_cndmask_b32_e32 v1, v2, v1, vcc_lo
.LBB21_17:
	s_cbranch_execnz .LBB21_20
.LBB21_18:
	v_mov_b32_e32 v1, v38
	s_cmp_eq_u32 s1, 8
	s_cbranch_scc0 .LBB21_20
; %bb.19:
	s_delay_alu instid0(VALU_DEP_1) | instskip(NEXT) | instid1(VALU_DEP_1)
	v_mov_b32_dpp v1, v38 quad_perm:[1,0,3,2] row_mask:0xf bank_mask:0xf
	v_cmp_gt_f32_e32 vcc_lo, v38, v1
	v_cndmask_b32_e32 v1, v1, v38, vcc_lo
	s_delay_alu instid0(VALU_DEP_1) | instskip(NEXT) | instid1(VALU_DEP_1)
	v_mov_b32_dpp v2, v1 quad_perm:[2,3,0,1] row_mask:0xf bank_mask:0xf
	v_cmp_gt_f32_e32 vcc_lo, v1, v2
	v_cndmask_b32_e32 v1, v2, v1, vcc_lo
	s_delay_alu instid0(VALU_DEP_1) | instskip(NEXT) | instid1(VALU_DEP_1)
	v_mov_b32_dpp v2, v1 row_half_mirror row_mask:0xf bank_mask:0xf
	v_cmp_gt_f32_e32 vcc_lo, v1, v2
	v_cndmask_b32_e32 v1, v2, v1, vcc_lo
.LBB21_20:
	s_cbranch_execnz .LBB21_28
.LBB21_21:
	s_cmp_lt_i32 s1, 4
	s_cbranch_scc1 .LBB21_24
; %bb.22:
	v_mov_b32_e32 v1, v38
	s_cmp_eq_u32 s1, 4
	s_cbranch_scc0 .LBB21_25
; %bb.23:
	s_delay_alu instid0(VALU_DEP_1) | instskip(NEXT) | instid1(VALU_DEP_1)
	v_mov_b32_dpp v1, v38 quad_perm:[1,0,3,2] row_mask:0xf bank_mask:0xf
	v_cmp_gt_f32_e32 vcc_lo, v38, v1
	v_cndmask_b32_e32 v1, v1, v38, vcc_lo
	s_delay_alu instid0(VALU_DEP_1) | instskip(NEXT) | instid1(VALU_DEP_1)
	v_mov_b32_dpp v2, v1 quad_perm:[2,3,0,1] row_mask:0xf bank_mask:0xf
	v_cmp_gt_f32_e32 vcc_lo, v1, v2
	v_cndmask_b32_e32 v1, v2, v1, vcc_lo
	s_cbranch_execz .LBB21_26
	s_branch .LBB21_28
.LBB21_24:
                                        ; implicit-def: $vgpr1
	s_branch .LBB21_26
.LBB21_25:
	s_cbranch_execnz .LBB21_28
.LBB21_26:
	v_mov_b32_e32 v1, v38
	s_cmp_lg_u32 s1, 2
	s_cbranch_scc1 .LBB21_28
; %bb.27:
	s_delay_alu instid0(VALU_DEP_1) | instskip(NEXT) | instid1(VALU_DEP_1)
	v_mov_b32_dpp v1, v38 quad_perm:[1,0,3,2] row_mask:0xf bank_mask:0xf
	v_cmp_gt_f32_e32 vcc_lo, v38, v1
	v_cndmask_b32_e32 v1, v1, v38, vcc_lo
.LBB21_28:
	v_cvt_f32_u32_e32 v2, s1
	s_sub_i32 s2, 0, s1
	s_mov_b32 s31, 0
	s_delay_alu instid0(VALU_DEP_1) | instskip(SKIP_2) | instid1(VALU_DEP_1)
	v_rcp_iflag_f32_e32 v2, v2
	s_waitcnt_depctr 0xfff
	v_mul_f32_e32 v2, 0x4f7ffffe, v2
	v_cvt_u32_f32_e32 v2, v2
	s_delay_alu instid0(VALU_DEP_1) | instskip(NEXT) | instid1(VALU_DEP_1)
	v_mul_lo_u32 v39, s2, v2
	v_mul_hi_u32 v39, v2, v39
	s_delay_alu instid0(VALU_DEP_1) | instskip(NEXT) | instid1(VALU_DEP_1)
	v_add_nc_u32_e32 v2, v2, v39
	v_mul_hi_u32 v2, v0, v2
	s_delay_alu instid0(VALU_DEP_1) | instskip(SKIP_1) | instid1(VALU_DEP_2)
	v_mul_lo_u32 v39, v2, s1
	v_add_nc_u32_e32 v40, 1, v2
	v_sub_nc_u32_e32 v39, v0, v39
	s_delay_alu instid0(VALU_DEP_1) | instskip(SKIP_1) | instid1(VALU_DEP_2)
	v_subrev_nc_u32_e32 v41, s1, v39
	v_cmp_le_u32_e32 vcc_lo, s1, v39
	v_dual_cndmask_b32 v39, v39, v41 :: v_dual_cndmask_b32 v2, v2, v40
	s_delay_alu instid0(VALU_DEP_1) | instskip(NEXT) | instid1(VALU_DEP_2)
	v_cmp_le_u32_e32 vcc_lo, s1, v39
	v_add_nc_u32_e32 v40, 1, v2
	s_delay_alu instid0(VALU_DEP_1) | instskip(SKIP_2) | instid1(VALU_DEP_3)
	v_cndmask_b32_e32 v39, v2, v40, vcc_lo
	v_cmp_gt_u32_e32 vcc_lo, s5, v30
	v_mul_f32_e32 v30, 0x3b124925, v1
	v_mul_lo_u32 v2, v39, s1
	s_delay_alu instid0(VALU_DEP_1) | instskip(NEXT) | instid1(VALU_DEP_1)
	v_sub_nc_u32_e32 v2, v0, v2
	v_cmp_eq_u32_e64 s1, 0, v2
                                        ; implicit-def: $vgpr1_vgpr2
	s_delay_alu instid0(VALU_DEP_1) | instskip(SKIP_2) | instid1(SALU_CYCLE_1)
	s_and_b32 s2, s1, vcc_lo
	s_mov_b32 s1, 0
	s_and_saveexec_b32 s3, s2
	s_xor_b32 s8, exec_lo, s3
	s_cbranch_execz .LBB21_37
; %bb.29:
	s_bitcmp0_b32 s11, 0
	s_mov_b32 s6, 0
	s_cbranch_scc0 .LBB21_34
; %bb.30:
	s_ashr_i32 s1, s5, 31
	s_mul_hi_u32 s3, s5, s34
	s_mul_i32 s1, s1, s34
	s_mul_i32 s2, s5, s34
	s_add_i32 s3, s3, s1
	s_mov_b32 s11, s7
	s_delay_alu instid0(SALU_CYCLE_1) | instskip(NEXT) | instid1(SALU_CYCLE_1)
	s_or_b64 s[14:15], s[2:3], s[10:11]
	s_mov_b32 s7, s15
	s_delay_alu instid0(SALU_CYCLE_1)
	s_cmp_lg_u64 s[6:7], 0
	s_cbranch_scc0 .LBB21_45
; %bb.31:
	s_add_u32 s14, s10, s11
	s_mov_b32 s6, s11
	s_mov_b32 s7, s11
	s_addc_u32 s15, s11, s11
	s_delay_alu instid0(SALU_CYCLE_1) | instskip(NEXT) | instid1(SALU_CYCLE_1)
	s_xor_b64 s[14:15], s[14:15], s[6:7]
	v_cvt_f32_u32_e32 v1, s14
	v_cvt_f32_u32_e32 v2, s15
	s_sub_u32 s18, 0, s14
	s_subb_u32 s19, 0, s15
	s_delay_alu instid0(VALU_DEP_1) | instskip(NEXT) | instid1(VALU_DEP_1)
	v_fmamk_f32 v1, v2, 0x4f800000, v1
	v_rcp_f32_e32 v1, v1
	s_waitcnt_depctr 0xfff
	v_mul_f32_e32 v1, 0x5f7ffffc, v1
	s_delay_alu instid0(VALU_DEP_1) | instskip(NEXT) | instid1(VALU_DEP_1)
	v_mul_f32_e32 v2, 0x2f800000, v1
	v_trunc_f32_e32 v2, v2
	s_delay_alu instid0(VALU_DEP_1) | instskip(SKIP_1) | instid1(VALU_DEP_2)
	v_fmamk_f32 v1, v2, 0xcf800000, v1
	v_cvt_u32_f32_e32 v2, v2
	v_cvt_u32_f32_e32 v1, v1
	s_delay_alu instid0(VALU_DEP_2) | instskip(NEXT) | instid1(VALU_DEP_2)
	v_readfirstlane_b32 s1, v2
	v_readfirstlane_b32 s11, v1
	s_delay_alu instid0(VALU_DEP_2) | instskip(NEXT) | instid1(VALU_DEP_1)
	s_mul_i32 s20, s18, s1
	s_mul_hi_u32 s22, s18, s11
	s_mul_i32 s21, s19, s11
	s_add_i32 s20, s22, s20
	s_mul_i32 s23, s18, s11
	s_add_i32 s20, s20, s21
	s_mul_hi_u32 s22, s11, s23
	s_mul_hi_u32 s24, s1, s23
	s_mul_i32 s21, s1, s23
	s_mul_hi_u32 s23, s11, s20
	s_mul_i32 s11, s11, s20
	s_mul_hi_u32 s25, s1, s20
	s_add_u32 s11, s22, s11
	s_addc_u32 s22, 0, s23
	s_add_u32 s11, s11, s21
	s_mul_i32 s20, s1, s20
	s_addc_u32 s11, s22, s24
	s_addc_u32 s21, s25, 0
	s_add_u32 s11, s11, s20
	s_addc_u32 s20, 0, s21
	v_add_co_u32 v1, s11, v1, s11
	s_delay_alu instid0(VALU_DEP_1) | instskip(SKIP_1) | instid1(VALU_DEP_1)
	s_cmp_lg_u32 s11, 0
	s_addc_u32 s1, s1, s20
	v_readfirstlane_b32 s11, v1
	s_mul_i32 s20, s18, s1
	s_delay_alu instid0(VALU_DEP_1)
	s_mul_hi_u32 s21, s18, s11
	s_mul_i32 s19, s19, s11
	s_add_i32 s20, s21, s20
	s_mul_i32 s18, s18, s11
	s_add_i32 s20, s20, s19
	s_mul_hi_u32 s21, s1, s18
	s_mul_i32 s22, s1, s18
	s_mul_hi_u32 s18, s11, s18
	s_mul_hi_u32 s23, s11, s20
	s_mul_i32 s11, s11, s20
	s_mul_hi_u32 s19, s1, s20
	s_add_u32 s11, s18, s11
	s_addc_u32 s18, 0, s23
	s_add_u32 s11, s11, s22
	s_mul_i32 s20, s1, s20
	s_addc_u32 s11, s18, s21
	s_addc_u32 s18, s19, 0
	s_add_u32 s11, s11, s20
	s_addc_u32 s18, 0, s18
	v_add_co_u32 v1, s11, v1, s11
	s_delay_alu instid0(VALU_DEP_1) | instskip(SKIP_2) | instid1(SALU_CYCLE_1)
	s_cmp_lg_u32 s11, 0
	s_addc_u32 s1, s1, s18
	s_ashr_i32 s18, s3, 31
	s_add_u32 s20, s2, s18
	s_addc_u32 s21, s3, s18
	v_readfirstlane_b32 s3, v1
	s_mov_b32 s19, s18
	s_delay_alu instid0(SALU_CYCLE_1) | instskip(NEXT) | instid1(SALU_CYCLE_1)
	s_xor_b64 s[20:21], s[20:21], s[18:19]
	s_mul_i32 s22, s20, s1
	s_delay_alu instid0(VALU_DEP_1)
	s_mul_hi_u32 s23, s20, s3
	s_mul_hi_u32 s11, s20, s1
	;; [unrolled: 1-line block ×3, first 2 shown]
	s_mul_i32 s3, s21, s3
	s_add_u32 s22, s23, s22
	s_addc_u32 s11, 0, s11
	s_mul_hi_u32 s24, s21, s1
	s_add_u32 s3, s22, s3
	s_mul_i32 s1, s21, s1
	s_addc_u32 s3, s11, s25
	s_addc_u32 s11, s24, 0
	s_add_u32 s3, s3, s1
	s_addc_u32 s11, 0, s11
	s_mul_i32 s24, s14, s3
	s_mul_hi_u32 s1, s14, s3
	s_mul_i32 s23, s14, s11
	v_sub_co_u32 v1, s20, s20, s24
	s_mul_i32 s22, s15, s3
	s_add_i32 s1, s1, s23
	s_delay_alu instid0(SALU_CYCLE_1) | instskip(NEXT) | instid1(VALU_DEP_1)
	s_add_i32 s1, s1, s22
	v_sub_co_u32 v2, s23, v1, s14
	s_sub_i32 s22, s21, s1
	s_cmp_lg_u32 s20, 0
	s_subb_u32 s22, s22, s15
	s_cmp_lg_u32 s23, 0
	v_cmp_le_u32_e32 vcc_lo, s14, v2
	s_subb_u32 s22, s22, 0
	s_delay_alu instid0(SALU_CYCLE_1)
	s_cmp_ge_u32 s22, s15
	v_cndmask_b32_e64 v2, 0, -1, vcc_lo
	s_cselect_b32 s23, -1, 0
	s_cmp_eq_u32 s22, s15
	s_cselect_b32 vcc_lo, -1, 0
	s_add_u32 s22, s3, 1
	v_cndmask_b32_e32 v2, s23, v2, vcc_lo
	s_addc_u32 s23, s11, 0
	s_add_u32 s24, s3, 2
	s_addc_u32 s25, s11, 0
	s_cmp_lg_u32 s20, 0
	v_cmp_le_u32_e32 vcc_lo, s14, v1
	s_subb_u32 s1, s21, s1
	v_mov_b32_e32 v40, s24
	s_cmp_ge_u32 s1, s15
	v_cndmask_b32_e64 v1, 0, -1, vcc_lo
	s_cselect_b32 s14, -1, 0
	s_cmp_eq_u32 s1, s15
	v_cmp_ne_u32_e32 vcc_lo, 0, v2
	v_mov_b32_e32 v2, s25
	s_cselect_b32 s1, -1, 0
	s_xor_b64 s[6:7], s[18:19], s[6:7]
	v_cndmask_b32_e64 v1, s14, v1, s1
	v_cndmask_b32_e32 v40, s22, v40, vcc_lo
	v_cndmask_b32_e32 v2, s23, v2, vcc_lo
	s_delay_alu instid0(VALU_DEP_3) | instskip(NEXT) | instid1(VALU_DEP_2)
	v_cmp_ne_u32_e32 vcc_lo, 0, v1
	v_cndmask_b32_e32 v1, s11, v2, vcc_lo
	s_delay_alu instid0(VALU_DEP_4) | instskip(NEXT) | instid1(VALU_DEP_2)
	v_cndmask_b32_e32 v2, s3, v40, vcc_lo
	v_xor_b32_e32 v40, s7, v1
	s_delay_alu instid0(VALU_DEP_2) | instskip(NEXT) | instid1(VALU_DEP_1)
	v_xor_b32_e32 v2, s6, v2
	v_sub_co_u32 v1, vcc_lo, v2, s6
	s_delay_alu instid0(VALU_DEP_3)
	v_subrev_co_ci_u32_e32 v2, vcc_lo, s7, v40, vcc_lo
	s_cbranch_execnz .LBB21_33
.LBB21_32:
	v_cvt_f32_u32_e32 v1, s10
	s_sub_i32 s3, 0, s10
	s_delay_alu instid0(VALU_DEP_1) | instskip(SKIP_2) | instid1(VALU_DEP_1)
	v_rcp_iflag_f32_e32 v1, v1
	s_waitcnt_depctr 0xfff
	v_mul_f32_e32 v1, 0x4f7ffffe, v1
	v_cvt_u32_f32_e32 v1, v1
	s_delay_alu instid0(VALU_DEP_1) | instskip(NEXT) | instid1(VALU_DEP_1)
	v_readfirstlane_b32 s1, v1
	s_mul_i32 s3, s3, s1
	s_delay_alu instid0(SALU_CYCLE_1) | instskip(NEXT) | instid1(SALU_CYCLE_1)
	s_mul_hi_u32 s3, s1, s3
	s_add_i32 s1, s1, s3
	s_delay_alu instid0(SALU_CYCLE_1) | instskip(NEXT) | instid1(SALU_CYCLE_1)
	s_mul_hi_u32 s1, s2, s1
	s_mul_i32 s3, s1, s10
	s_delay_alu instid0(SALU_CYCLE_1)
	s_sub_i32 s2, s2, s3
	s_add_i32 s3, s1, 1
	s_sub_i32 s6, s2, s10
	s_cmp_ge_u32 s2, s10
	s_cselect_b32 s1, s3, s1
	s_cselect_b32 s2, s6, s2
	s_add_i32 s6, s1, 1
	s_cmp_ge_u32 s2, s10
	s_mov_b32 s3, 0
	s_cselect_b32 s2, s6, s1
	s_delay_alu instid0(SALU_CYCLE_1)
	v_dual_mov_b32 v1, s2 :: v_dual_mov_b32 v2, s3
.LBB21_33:
	s_delay_alu instid0(VALU_DEP_1) | instskip(NEXT) | instid1(VALU_DEP_2)
	v_add_co_u32 v1, vcc_lo, v1, v39
	v_add_co_ci_u32_e32 v2, vcc_lo, 0, v2, vcc_lo
	s_branch .LBB21_36
.LBB21_34:
                                        ; implicit-def: $vgpr1_vgpr2
	s_cbranch_execz .LBB21_36
; %bb.35:
	v_mul_lo_u32 v1, v39, s4
	s_delay_alu instid0(VALU_DEP_1) | instskip(SKIP_1) | instid1(VALU_DEP_2)
	v_ashrrev_i32_e32 v2, 31, v1
	v_add_co_u32 v1, vcc_lo, v1, s34
	v_add_co_ci_u32_e32 v2, vcc_lo, 0, v2, vcc_lo
.LBB21_36:
	s_mov_b32 s1, exec_lo
.LBB21_37:
	s_or_b32 exec_lo, exec_lo, s8
	s_delay_alu instid0(SALU_CYCLE_1)
	s_and_b32 vcc_lo, exec_lo, s31
	s_cbranch_vccz .LBB21_41
.LBB21_38:
	v_mov_b32_dpp v1, v38 quad_perm:[1,0,3,2] row_mask:0xf bank_mask:0xf
	s_delay_alu instid0(VALU_DEP_1) | instskip(SKIP_1) | instid1(VALU_DEP_1)
	v_cmp_gt_f32_e32 vcc_lo, v38, v1
	v_cndmask_b32_e32 v1, v1, v38, vcc_lo
	v_mov_b32_dpp v2, v1 quad_perm:[2,3,0,1] row_mask:0xf bank_mask:0xf
	s_delay_alu instid0(VALU_DEP_1) | instskip(SKIP_1) | instid1(VALU_DEP_1)
	v_cmp_gt_f32_e32 vcc_lo, v1, v2
	v_cndmask_b32_e32 v1, v2, v1, vcc_lo
	v_mov_b32_dpp v2, v1 row_xmask:7 row_mask:0xf bank_mask:0xf
	s_delay_alu instid0(VALU_DEP_1) | instskip(SKIP_1) | instid1(VALU_DEP_1)
	v_cmp_gt_f32_e32 vcc_lo, v1, v2
	v_cndmask_b32_e32 v1, v2, v1, vcc_lo
	v_mov_b32_dpp v2, v1 row_xmask:15 row_mask:0xf bank_mask:0xf
	s_delay_alu instid0(VALU_DEP_1)
	v_cmp_gt_f32_e32 vcc_lo, v1, v2
	s_and_saveexec_b32 s1, s0
	s_cbranch_execz .LBB21_40
; %bb.39:
	v_cndmask_b32_e32 v1, v2, v1, vcc_lo
	v_lshrrev_b32_e32 v2, 3, v0
	s_mov_b32 s0, 0x76543210
	s_delay_alu instid0(VALU_DEP_1) | instskip(NEXT) | instid1(VALU_DEP_3)
	v_and_b32_e32 v2, 0x7c, v2
	v_permlanex16_b32 v30, v1, s0, 0xfedcba98 op_sel:[1,1]
	s_delay_alu instid0(VALU_DEP_1)
	v_cmp_gt_f32_e32 vcc_lo, v1, v30
	v_cndmask_b32_e32 v1, v30, v1, vcc_lo
	ds_store_b32 v2, v1
.LBB21_40:
	s_or_b32 exec_lo, exec_lo, s1
	s_waitcnt lgkmcnt(0)
	s_barrier
	buffer_gl0_inv
	ds_load_b32 v1, v17
	v_cmp_eq_u32_e64 s1, 0, v0
	s_waitcnt lgkmcnt(0)
	v_mov_b32_dpp v2, v1 quad_perm:[1,0,3,2] row_mask:0xf bank_mask:0xf
	s_delay_alu instid0(VALU_DEP_1) | instskip(SKIP_1) | instid1(VALU_DEP_1)
	v_cmp_gt_f32_e32 vcc_lo, v1, v2
	v_cndmask_b32_e32 v1, v2, v1, vcc_lo
	v_mov_b32_dpp v2, v1 quad_perm:[2,3,0,1] row_mask:0xf bank_mask:0xf
	s_delay_alu instid0(VALU_DEP_1) | instskip(SKIP_1) | instid1(VALU_DEP_1)
	v_cmp_gt_f32_e32 vcc_lo, v1, v2
	v_cndmask_b32_e32 v1, v2, v1, vcc_lo
	v_mov_b32_dpp v2, v1 row_xmask:7 row_mask:0xf bank_mask:0xf
	s_delay_alu instid0(VALU_DEP_1) | instskip(SKIP_1) | instid1(VALU_DEP_1)
	v_cmp_gt_f32_e32 vcc_lo, v1, v2
	v_cndmask_b32_e32 v1, v2, v1, vcc_lo
	v_dual_mul_f32 v30, 0x3b124925, v1 :: v_dual_mov_b32 v1, s34
	v_mov_b32_e32 v2, s35
.LBB21_41:
	s_and_saveexec_b32 s0, s1
	s_cbranch_execz .LBB21_43
; %bb.42:
	s_delay_alu instid0(VALU_DEP_1) | instskip(NEXT) | instid1(VALU_DEP_1)
	v_lshlrev_b64 v[0:1], 2, v[1:2]
	v_add_co_u32 v0, vcc_lo, s16, v0
	s_delay_alu instid0(VALU_DEP_2)
	v_add_co_ci_u32_e32 v1, vcc_lo, s17, v1, vcc_lo
	global_store_b32 v[0:1], v30, off
.LBB21_43:
	s_or_b32 exec_lo, exec_lo, s0
	;;#ASMSTART
	v_rcp_f32 v2, v30
	;;#ASMEND
	v_dual_mul_f32 v0, v2, v36 :: v_dual_mov_b32 v17, 0xc3e00000
	v_dual_mul_f32 v1, v2, v37 :: v_dual_mov_b32 v30, 0x43e00000
	v_mul_f32_e32 v34, v2, v34
	v_mul_f32_e32 v35, v2, v35
	;;#ASMSTART
	v_med3_f32 v0, v0, v17, v30
v_med3_f32 v1, v1, v17, v30
v_cvt_pk_fp8_f32 v36, v0, v1
	;;#ASMEND
	;;#ASMSTART
	v_med3_f32 v34, v34, v17, v30
v_med3_f32 v35, v35, v17, v30
v_cvt_pk_fp8_f32 v0, v34, v35
	;;#ASMEND
	v_perm_b32 v1, v0, v36, 0x5040100
	v_and_b32_e32 v0, 0xffffff00, v0
	s_add_i32 s0, s5, 3
	v_mul_f32_e32 v33, v2, v33
	s_ashr_i32 s1, s0, 31
	v_lshrrev_b32_e32 v34, 16, v1
	v_mul_f32_e32 v32, v2, v32
	s_lshr_b32 s1, s1, 30
	v_mul_f32_e32 v28, v2, v28
	s_add_i32 s0, s0, s1
	v_and_b32_e32 v34, 0xff, v34
	s_ashr_i32 s1, s9, 31
	s_mul_hi_u32 s3, s9, s34
	s_mul_i32 s1, s1, s34
	s_and_b32 s2, s0, -4
	v_or_b32_e32 v0, v34, v0
	v_mul_f32_e32 v31, v2, v31
	;;#ASMSTART
	v_med3_f32 v32, v32, v17, v30
v_med3_f32 v33, v33, v17, v30
v_cvt_pk_fp8_f32 v34, v32, v33
	;;#ASMEND
	s_mul_i32 s0, s9, s34
	s_add_i32 s3, s3, s1
	v_lshlrev_b32_e32 v0, 16, v0
	;;#ASMSTART
	v_med3_f32 v28, v28, v17, v30
v_med3_f32 v31, v31, v17, v30
v_cvt_pk_fp8_f32 v32, v28, v31
	;;#ASMEND
	v_dual_mul_f32 v27, v2, v27 :: v_dual_lshlrev_b32 v28, 16, v32
	s_add_u32 s0, s12, s0
	s_delay_alu instid0(VALU_DEP_2) | instskip(SKIP_1) | instid1(VALU_DEP_2)
	v_and_or_b32 v0, 0xffff, v1, v0
	s_addc_u32 s1, s13, s3
	v_and_or_b32 v1, 0xffff, v34, v28
	s_and_b32 s1, s1, 0xffff
	s_mov_b32 s3, -1
	v_mul_f32_e32 v26, v2, v26
	v_mul_f32_e32 v24, v2, v24
	;; [unrolled: 1-line block ×3, first 2 shown]
	buffer_store_b64 v[0:1], v29, s[0:3], 0 offen
	;;#ASMSTART
	s_nop 0
	;;#ASMEND
	;;#ASMSTART
	v_med3_f32 v26, v26, v17, v30
v_med3_f32 v27, v27, v17, v30
v_cvt_pk_fp8_f32 v0, v26, v27
	;;#ASMEND
	;;#ASMSTART
	v_med3_f32 v24, v24, v17, v30
v_med3_f32 v25, v25, v17, v30
v_cvt_pk_fp8_f32 v1, v24, v25
	;;#ASMEND
	v_perm_b32 v0, v1, v0, 0x5040100
	v_dual_mul_f32 v22, v2, v22 :: v_dual_and_b32 v1, 0xffffff00, v1
	v_mul_f32_e32 v23, v2, v23
	v_mul_f32_e32 v20, v2, v20
	s_delay_alu instid0(VALU_DEP_4)
	v_lshrrev_b32_e32 v24, 16, v0
	v_mul_f32_e32 v21, v2, v21
	s_movk_i32 s4, 0x100
	v_mul_f32_e32 v19, v2, v19
	v_mul_f32_e32 v18, v2, v18
	v_dual_mul_f32 v15, v2, v15 :: v_dual_and_b32 v24, 0xff, v24
	v_mul_f32_e32 v16, v2, v16
	v_mul_f32_e32 v14, v2, v14
	;; [unrolled: 1-line block ×3, first 2 shown]
	s_delay_alu instid0(VALU_DEP_4) | instskip(SKIP_3) | instid1(VALU_DEP_2)
	v_or_b32_e32 v1, v24, v1
	;;#ASMSTART
	v_med3_f32 v22, v22, v17, v30
v_med3_f32 v23, v23, v17, v30
v_cvt_pk_fp8_f32 v24, v22, v23
	;;#ASMEND
	;;#ASMSTART
	v_med3_f32 v20, v20, v17, v30
v_med3_f32 v21, v21, v17, v30
v_cvt_pk_fp8_f32 v22, v20, v21
	;;#ASMEND
	v_dual_mul_f32 v11, v2, v11 :: v_dual_lshlrev_b32 v20, 16, v22
	v_dual_mul_f32 v12, v2, v12 :: v_dual_lshlrev_b32 v21, 16, v1
	v_mul_f32_e32 v10, v2, v10
	s_delay_alu instid0(VALU_DEP_3) | instskip(SKIP_1) | instid1(VALU_DEP_4)
	v_and_or_b32 v1, 0xffff, v24, v20
	v_mul_f32_e32 v9, v2, v9
	v_and_or_b32 v0, 0xffff, v0, v21
	v_mul_f32_e32 v7, v2, v7
	v_mul_f32_e32 v8, v2, v8
	;; [unrolled: 1-line block ×4, first 2 shown]
	buffer_store_b64 v[0:1], v29, s[0:3], s4 offen
	;;#ASMSTART
	s_nop 0
	;;#ASMEND
	;;#ASMSTART
	v_med3_f32 v19, v19, v17, v30
v_med3_f32 v18, v18, v17, v30
v_cvt_pk_fp8_f32 v0, v19, v18
	;;#ASMEND
	;;#ASMSTART
	v_med3_f32 v15, v15, v17, v30
v_med3_f32 v16, v16, v17, v30
v_cvt_pk_fp8_f32 v1, v15, v16
	;;#ASMEND
	v_perm_b32 v0, v1, v0, 0x5040100
	v_and_b32_e32 v1, 0xffffff00, v1
	s_movk_i32 s4, 0x200
	v_mul_f32_e32 v3, v2, v3
	v_mul_f32_e32 v2, v2, v4
	v_lshrrev_b32_e32 v15, 16, v0
	s_delay_alu instid0(VALU_DEP_1) | instskip(NEXT) | instid1(VALU_DEP_1)
	v_and_b32_e32 v15, 0xff, v15
	v_or_b32_e32 v1, v15, v1
	;;#ASMSTART
	v_med3_f32 v14, v14, v17, v30
v_med3_f32 v13, v13, v17, v30
v_cvt_pk_fp8_f32 v15, v14, v13
	;;#ASMEND
	;;#ASMSTART
	v_med3_f32 v11, v11, v17, v30
v_med3_f32 v12, v12, v17, v30
v_cvt_pk_fp8_f32 v13, v11, v12
	;;#ASMEND
	v_lshlrev_b32_e32 v11, 16, v13
	s_delay_alu instid0(VALU_DEP_2) | instskip(NEXT) | instid1(VALU_DEP_2)
	v_lshlrev_b32_e32 v12, 16, v1
	v_and_or_b32 v1, 0xffff, v15, v11
	s_delay_alu instid0(VALU_DEP_2)
	v_and_or_b32 v0, 0xffff, v0, v12
	buffer_store_b64 v[0:1], v29, s[0:3], s4 offen
	;;#ASMSTART
	s_nop 0
	;;#ASMEND
	;;#ASMSTART
	v_med3_f32 v10, v10, v17, v30
v_med3_f32 v9, v9, v17, v30
v_cvt_pk_fp8_f32 v0, v10, v9
	;;#ASMEND
	;;#ASMSTART
	v_med3_f32 v7, v7, v17, v30
v_med3_f32 v8, v8, v17, v30
v_cvt_pk_fp8_f32 v1, v7, v8
	;;#ASMEND
	v_perm_b32 v0, v1, v0, 0x5040100
	v_and_b32_e32 v1, 0xffffff00, v1
	;;#ASMSTART
	v_med3_f32 v6, v6, v17, v30
v_med3_f32 v5, v5, v17, v30
v_cvt_pk_fp8_f32 v4, v6, v5
	;;#ASMEND
	;;#ASMSTART
	v_med3_f32 v3, v3, v17, v30
v_med3_f32 v2, v2, v17, v30
v_cvt_pk_fp8_f32 v5, v3, v2
	;;#ASMEND
	v_lshlrev_b32_e32 v2, 16, v5
	v_lshrrev_b32_e32 v7, 16, v0
	s_movk_i32 s4, 0x300
	s_delay_alu instid0(VALU_DEP_1) | instskip(NEXT) | instid1(VALU_DEP_1)
	v_and_b32_e32 v7, 0xff, v7
	v_or_b32_e32 v1, v7, v1
	s_delay_alu instid0(VALU_DEP_1) | instskip(SKIP_1) | instid1(VALU_DEP_2)
	v_lshlrev_b32_e32 v3, 16, v1
	v_and_or_b32 v1, 0xffff, v4, v2
	v_and_or_b32 v0, 0xffff, v0, v3
	buffer_store_b64 v[0:1], v29, s[0:3], s4 offen
	;;#ASMSTART
	s_nop 0
	;;#ASMEND
.LBB21_44:
	s_nop 0
	s_sendmsg sendmsg(MSG_DEALLOC_VGPRS)
	s_endpgm
.LBB21_45:
                                        ; implicit-def: $vgpr1_vgpr2
	s_branch .LBB21_32
	.section	.rodata,"a",@progbits
	.p2align	6, 0x0
	.amdhsa_kernel _ZN5aiter24add_rmsnorm_quant_kernelIDF16_DB8_Li256ELi32ELb1ELb1ELb1ELi1EEEvPT0_PT_PfS5_S5_S5_diiiiiiib
		.amdhsa_group_segment_fixed_size 64
		.amdhsa_private_segment_fixed_size 0
		.amdhsa_kernarg_size 88
		.amdhsa_user_sgpr_count 15
		.amdhsa_user_sgpr_dispatch_ptr 0
		.amdhsa_user_sgpr_queue_ptr 0
		.amdhsa_user_sgpr_kernarg_segment_ptr 1
		.amdhsa_user_sgpr_dispatch_id 0
		.amdhsa_user_sgpr_private_segment_size 0
		.amdhsa_wavefront_size32 1
		.amdhsa_uses_dynamic_stack 0
		.amdhsa_enable_private_segment 0
		.amdhsa_system_sgpr_workgroup_id_x 1
		.amdhsa_system_sgpr_workgroup_id_y 0
		.amdhsa_system_sgpr_workgroup_id_z 0
		.amdhsa_system_sgpr_workgroup_info 0
		.amdhsa_system_vgpr_workitem_id 0
		.amdhsa_next_free_vgpr 87
		.amdhsa_next_free_sgpr 40
		.amdhsa_reserve_vcc 1
		.amdhsa_float_round_mode_32 0
		.amdhsa_float_round_mode_16_64 0
		.amdhsa_float_denorm_mode_32 3
		.amdhsa_float_denorm_mode_16_64 3
		.amdhsa_dx10_clamp 1
		.amdhsa_ieee_mode 1
		.amdhsa_fp16_overflow 0
		.amdhsa_workgroup_processor_mode 1
		.amdhsa_memory_ordered 1
		.amdhsa_forward_progress 0
		.amdhsa_shared_vgpr_count 0
		.amdhsa_exception_fp_ieee_invalid_op 0
		.amdhsa_exception_fp_denorm_src 0
		.amdhsa_exception_fp_ieee_div_zero 0
		.amdhsa_exception_fp_ieee_overflow 0
		.amdhsa_exception_fp_ieee_underflow 0
		.amdhsa_exception_fp_ieee_inexact 0
		.amdhsa_exception_int_div_zero 0
	.end_amdhsa_kernel
	.section	.text._ZN5aiter24add_rmsnorm_quant_kernelIDF16_DB8_Li256ELi32ELb1ELb1ELb1ELi1EEEvPT0_PT_PfS5_S5_S5_diiiiiiib,"axG",@progbits,_ZN5aiter24add_rmsnorm_quant_kernelIDF16_DB8_Li256ELi32ELb1ELb1ELb1ELi1EEEvPT0_PT_PfS5_S5_S5_diiiiiiib,comdat
.Lfunc_end21:
	.size	_ZN5aiter24add_rmsnorm_quant_kernelIDF16_DB8_Li256ELi32ELb1ELb1ELb1ELi1EEEvPT0_PT_PfS5_S5_S5_diiiiiiib, .Lfunc_end21-_ZN5aiter24add_rmsnorm_quant_kernelIDF16_DB8_Li256ELi32ELb1ELb1ELb1ELi1EEEvPT0_PT_PfS5_S5_S5_diiiiiiib
                                        ; -- End function
	.section	.AMDGPU.csdata,"",@progbits
; Kernel info:
; codeLenInByte = 6440
; NumSgprs: 42
; NumVgprs: 87
; ScratchSize: 0
; MemoryBound: 0
; FloatMode: 240
; IeeeMode: 1
; LDSByteSize: 64 bytes/workgroup (compile time only)
; SGPRBlocks: 5
; VGPRBlocks: 10
; NumSGPRsForWavesPerEU: 42
; NumVGPRsForWavesPerEU: 87
; Occupancy: 16
; WaveLimiterHint : 0
; COMPUTE_PGM_RSRC2:SCRATCH_EN: 0
; COMPUTE_PGM_RSRC2:USER_SGPR: 15
; COMPUTE_PGM_RSRC2:TRAP_HANDLER: 0
; COMPUTE_PGM_RSRC2:TGID_X_EN: 1
; COMPUTE_PGM_RSRC2:TGID_Y_EN: 0
; COMPUTE_PGM_RSRC2:TGID_Z_EN: 0
; COMPUTE_PGM_RSRC2:TIDIG_COMP_CNT: 0
	.section	.text._ZN5aiter24add_rmsnorm_quant_kernelItDB8_Li256ELi32ELb1ELb1ELb1ELi1EEEvPT0_PT_PfS5_S5_S5_diiiiiiib,"axG",@progbits,_ZN5aiter24add_rmsnorm_quant_kernelItDB8_Li256ELi32ELb1ELb1ELb1ELi1EEEvPT0_PT_PfS5_S5_S5_diiiiiiib,comdat
	.protected	_ZN5aiter24add_rmsnorm_quant_kernelItDB8_Li256ELi32ELb1ELb1ELb1ELi1EEEvPT0_PT_PfS5_S5_S5_diiiiiiib ; -- Begin function _ZN5aiter24add_rmsnorm_quant_kernelItDB8_Li256ELi32ELb1ELb1ELb1ELi1EEEvPT0_PT_PfS5_S5_S5_diiiiiiib
	.globl	_ZN5aiter24add_rmsnorm_quant_kernelItDB8_Li256ELi32ELb1ELb1ELb1ELi1EEEvPT0_PT_PfS5_S5_S5_diiiiiiib
	.p2align	8
	.type	_ZN5aiter24add_rmsnorm_quant_kernelItDB8_Li256ELi32ELb1ELb1ELb1ELi1EEEvPT0_PT_PfS5_S5_S5_diiiiiiib,@function
_ZN5aiter24add_rmsnorm_quant_kernelItDB8_Li256ELi32ELb1ELb1ELb1ELi1EEEvPT0_PT_PfS5_S5_S5_diiiiiiib: ; @_ZN5aiter24add_rmsnorm_quant_kernelItDB8_Li256ELi32ELb1ELb1ELb1ELi1EEEvPT0_PT_PfS5_S5_S5_diiiiiiib
; %bb.0:
	s_load_b256 s[4:11], s[0:1], 0x38
	s_mov_b32 s34, s15
	s_mov_b32 s35, 0
	s_waitcnt lgkmcnt(0)
	s_ashr_i32 s3, s4, 31
	s_mov_b32 s2, s4
	s_delay_alu instid0(SALU_CYCLE_1) | instskip(NEXT) | instid1(VALU_DEP_1)
	v_cmp_ge_i64_e64 s2, s[34:35], s[2:3]
	s_and_b32 vcc_lo, exec_lo, s2
	s_cbranch_vccnz .LBB22_44
; %bb.1:
	s_load_b256 s[12:19], s[0:1], 0x0
	s_ashr_i32 s2, s6, 31
	s_mul_hi_u32 s3, s6, s34
	s_mul_i32 s20, s2, s34
	s_mul_i32 s2, s6, s34
	s_add_i32 s3, s3, s20
	s_load_b256 s[20:27], s[0:1], 0x20
	v_lshlrev_b32_e32 v22, 5, v0
	s_lshl_b64 s[2:3], s[2:3], 1
	v_lshlrev_b32_e32 v1, 3, v0
	s_mov_b32 s31, -1
	s_movk_i32 s0, 0x200
	v_and_b32_e32 v2, 0x7c00, v22
	s_movk_i32 s1, 0x400
	s_mov_b32 s39, s31
	s_delay_alu instid0(VALU_DEP_1)
	v_and_or_b32 v21, 0xf8, v1, v2
	s_waitcnt lgkmcnt(0)
	s_add_u32 s28, s18, s2
	s_addc_u32 s2, s19, s3
	s_add_i32 s3, s5, 1
	s_mul_hi_u32 s18, s7, s34
	s_lshr_b32 s6, s3, 31
	v_lshlrev_b32_e32 v23, 1, v21
	s_add_i32 s3, s3, s6
	s_mul_i32 s6, s7, s34
	s_lshl_b32 s3, s3, 1
	s_and_b32 s29, s2, 0xffff
	s_and_b32 s30, s3, -4
	s_ashr_i32 s3, s7, 31
	s_movk_i32 s2, 0x600
	s_mul_i32 s3, s3, s34
	s_and_b32 s37, s23, 0xffff
	s_add_i32 s7, s18, s3
	s_clause 0x1
	buffer_load_b128 v[24:27], v23, s[28:31], 0 offen glc slc
	buffer_load_b128 v[28:31], v23, s[28:31], s0 offen glc slc
	s_lshl_b64 s[6:7], s[6:7], 1
	s_clause 0x1
	buffer_load_b128 v[32:35], v23, s[28:31], s1 offen glc slc
	buffer_load_b128 v[36:39], v23, s[28:31], s2 offen glc slc
	s_add_u32 s28, s20, s6
	s_addc_u32 s3, s21, s7
	s_mov_b32 s36, s22
	s_and_b32 s29, s3, 0xffff
	s_clause 0x3
	buffer_load_b128 v[40:43], v23, s[28:31], 0 offen glc slc
	buffer_load_b128 v[44:47], v23, s[28:31], s0 offen glc slc
	;; [unrolled: 1-line block ×4, first 2 shown]
	s_mov_b32 s38, s30
	s_ashr_i32 s3, s8, 31
	s_mul_hi_u32 s7, s8, s34
	s_mul_i32 s3, s3, s34
	s_mul_i32 s6, s8, s34
	s_add_i32 s7, s7, s3
	s_delay_alu instid0(SALU_CYCLE_1) | instskip(NEXT) | instid1(SALU_CYCLE_1)
	s_lshl_b64 s[6:7], s[6:7], 1
	s_add_u32 s28, s14, s6
	s_addc_u32 s3, s15, s7
	s_delay_alu instid0(SALU_CYCLE_1)
	s_and_b32 s29, s3, 0xffff
	s_waitcnt vmcnt(7)
	v_lshrrev_b32_e32 v52, 16, v24
	v_lshrrev_b32_e32 v54, 16, v26
	v_and_b32_e32 v55, 0xffff, v26
	s_waitcnt vmcnt(5)
	v_lshrrev_b32_e32 v68, 16, v33
	v_and_b32_e32 v69, 0xffff, v33
	v_and_b32_e32 v24, 0xffff, v24
	v_lshrrev_b32_e32 v56, 16, v27
	s_waitcnt vmcnt(3)
	v_lshrrev_b32_e32 v26, 16, v40
	v_and_b32_e32 v33, 0xffff, v43
	v_lshrrev_b32_e32 v74, 16, v36
	v_and_b32_e32 v75, 0xffff, v36
	s_waitcnt vmcnt(2)
	v_and_b32_e32 v36, 0xffff, v45
	v_cvt_f32_u32_e32 v26, v26
	v_cvt_f32_u32_e32 v33, v33
	v_and_b32_e32 v57, 0xffff, v27
	v_cvt_f32_u32_e32 v27, v52
	v_lshrrev_b32_e32 v60, 16, v29
	v_lshrrev_b32_e32 v80, 16, v39
	v_cvt_f32_u32_e32 v36, v36
	v_and_b32_e32 v61, 0xffff, v29
	v_cvt_f32_u32_e32 v29, v24
	v_add_f32_e32 v24, v27, v26
	v_and_b32_e32 v52, 0xffff, v39
	v_and_b32_e32 v39, 0xffff, v46
	v_lshrrev_b32_e32 v58, 16, v28
	v_lshrrev_b32_e32 v53, 16, v25
	v_mul_f32_e32 v81, v24, v24
	v_and_b32_e32 v25, 0xffff, v25
	v_cvt_f32_u32_e32 v39, v39
	v_and_b32_e32 v59, 0xffff, v28
	v_and_b32_e32 v28, 0xffff, v40
	v_lshrrev_b32_e32 v27, 16, v41
	v_cvt_f32_u32_e32 v26, v25
	v_and_b32_e32 v40, 0xffff, v47
	v_lshrrev_b32_e32 v62, 16, v30
	v_cvt_f32_u32_e32 v28, v28
	v_cvt_f32_u32_e32 v27, v27
	v_lshrrev_b32_e32 v64, 16, v31
	v_cvt_f32_u32_e32 v40, v40
	v_and_b32_e32 v63, 0xffff, v30
	v_add_f32_e32 v25, v29, v28
	v_cvt_f32_u32_e32 v28, v53
	v_and_b32_e32 v65, 0xffff, v31
	v_lshrrev_b32_e32 v70, 16, v34
	v_and_b32_e32 v71, 0xffff, v34
	v_and_b32_e32 v29, 0xffff, v42
	v_dual_add_f32 v27, v28, v27 :: v_dual_and_b32 v30, 0xffff, v41
	v_lshrrev_b32_e32 v31, 16, v42
	v_lshrrev_b32_e32 v34, 16, v43
	s_waitcnt vmcnt(1)
	v_and_b32_e32 v43, 0xffff, v48
	v_lshrrev_b32_e32 v66, 16, v32
	v_cvt_f32_u32_e32 v30, v30
	v_cvt_f32_u32_e32 v29, v29
	;; [unrolled: 1-line block ×4, first 2 shown]
	s_delay_alu instid0(VALU_DEP_4)
	v_dual_add_f32 v26, v26, v30 :: v_dual_and_b32 v67, 0xffff, v32
	s_clause 0x3
	buffer_load_b128 v[13:16], v23, s[36:39], 0 offen
	buffer_load_b128 v[9:12], v23, s[36:39], s0 offen
	;; [unrolled: 1-line block ×4, first 2 shown]
	v_cvt_f32_u32_e32 v30, v55
	v_cvt_f32_u32_e32 v32, v54
	v_lshrrev_b32_e32 v72, 16, v35
	v_and_b32_e32 v73, 0xffff, v35
	v_fmac_f32_e32 v81, v25, v25
	v_add_f32_e32 v28, v30, v29
	v_cvt_f32_u32_e32 v30, v57
	v_dual_add_f32 v29, v32, v31 :: v_dual_and_b32 v32, 0xffff, v44
	v_cvt_f32_u32_e32 v31, v56
	v_cvt_f32_u32_e32 v34, v34
	v_lshrrev_b32_e32 v35, 16, v44
	v_lshrrev_b32_e32 v76, 16, v37
	v_and_b32_e32 v77, 0xffff, v37
	v_lshrrev_b32_e32 v78, 16, v38
	v_and_b32_e32 v79, 0xffff, v38
	v_fmac_f32_e32 v81, v26, v26
	v_add_f32_e32 v30, v30, v33
	v_cvt_f32_u32_e32 v33, v59
	v_cvt_f32_u32_e32 v32, v32
	v_add_f32_e32 v31, v31, v34
	v_cvt_f32_u32_e32 v34, v58
	v_cvt_f32_u32_e32 v35, v35
	;; [unrolled: 1-line block ×3, first 2 shown]
	v_lshrrev_b32_e32 v38, 16, v45
	v_dual_fmac_f32 v81, v27, v27 :: v_dual_add_f32 v32, v33, v32
	s_delay_alu instid0(VALU_DEP_4) | instskip(SKIP_1) | instid1(VALU_DEP_4)
	v_add_f32_e32 v33, v34, v35
	v_cvt_f32_u32_e32 v35, v60
	v_cvt_f32_u32_e32 v38, v38
	v_add_f32_e32 v34, v37, v36
	v_cvt_f32_u32_e32 v36, v63
	v_lshrrev_b32_e32 v37, 16, v46
	v_lshrrev_b32_e32 v41, 16, v47
	v_fmac_f32_e32 v81, v28, v28
	v_add_f32_e32 v35, v35, v38
	v_cvt_f32_u32_e32 v38, v62
	v_cvt_f32_u32_e32 v37, v37
	v_add_f32_e32 v36, v36, v39
	v_cvt_f32_u32_e32 v39, v65
	v_cvt_f32_u32_e32 v42, v64
	;; [unrolled: 1-line block ×3, first 2 shown]
	v_dual_add_f32 v37, v38, v37 :: v_dual_and_b32 v46, 0xffff, v50
	s_delay_alu instid0(VALU_DEP_4) | instskip(SKIP_1) | instid1(VALU_DEP_4)
	v_add_f32_e32 v38, v39, v40
	v_lshrrev_b32_e32 v44, 16, v48
	v_add_f32_e32 v39, v42, v41
	v_and_b32_e32 v42, 0xffff, v49
	v_fmac_f32_e32 v81, v29, v29
	v_lshrrev_b32_e32 v48, 16, v50
	s_waitcnt vmcnt(4)
	v_and_b32_e32 v50, 0xffff, v17
	v_cvt_f32_u32_e32 v40, v67
	v_cvt_f32_u32_e32 v41, v66
	v_fmac_f32_e32 v81, v30, v30
	v_cvt_f32_u32_e32 v44, v44
	v_lshrrev_b32_e32 v45, 16, v49
	v_add_f32_e32 v40, v40, v43
	v_cvt_f32_u32_e32 v43, v69
	v_fmac_f32_e32 v81, v31, v31
	v_cvt_f32_u32_e32 v42, v42
	v_add_f32_e32 v41, v41, v44
	v_cvt_f32_u32_e32 v44, v68
	v_cvt_f32_u32_e32 v45, v45
	s_delay_alu instid0(VALU_DEP_4) | instskip(SKIP_2) | instid1(VALU_DEP_4)
	v_dual_fmac_f32 v81, v32, v32 :: v_dual_add_f32 v42, v43, v42
	v_cvt_f32_u32_e32 v47, v71
	v_cvt_f32_u32_e32 v46, v46
	v_add_f32_e32 v43, v44, v45
	s_delay_alu instid0(VALU_DEP_4)
	v_fmac_f32_e32 v81, v33, v33
	v_cvt_f32_u32_e32 v45, v70
	v_and_b32_e32 v49, 0xffff, v51
	v_cvt_f32_u32_e32 v48, v48
	v_add_f32_e32 v44, v47, v46
	v_fmac_f32_e32 v81, v34, v34
	v_cvt_f32_u32_e32 v46, v73
	v_lshrrev_b32_e32 v47, 16, v51
	v_cvt_f32_u32_e32 v49, v49
	v_add_f32_e32 v45, v45, v48
	v_fmac_f32_e32 v81, v35, v35
	v_cvt_f32_u32_e32 v48, v72
	v_cvt_f32_u32_e32 v47, v47
	v_add_f32_e32 v46, v46, v49
	v_cvt_f32_u32_e32 v49, v75
	v_fmac_f32_e32 v81, v36, v36
	v_lshrrev_b32_e32 v17, 16, v17
	v_cvt_f32_u32_e32 v50, v50
	v_add_f32_e32 v47, v48, v47
	v_cvt_f32_u32_e32 v51, v74
	v_fmac_f32_e32 v81, v37, v37
	v_and_b32_e32 v53, 0xffff, v18
	v_cvt_f32_u32_e32 v17, v17
	v_add_f32_e32 v48, v49, v50
	v_cvt_f32_u32_e32 v49, v77
	v_fmac_f32_e32 v81, v38, v38
	v_lshrrev_b32_e32 v50, 16, v18
	v_cvt_f32_u32_e32 v53, v53
	v_add_f32_e32 v18, v51, v17
	v_cvt_f32_u32_e32 v17, v76
	v_fmac_f32_e32 v81, v39, v39
	v_and_b32_e32 v51, 0xffff, v19
	;; [unrolled: 10-line block ×3, first 2 shown]
	v_cvt_f32_u32_e32 v54, v54
	v_add_f32_e32 v50, v53, v51
	v_cvt_f32_u32_e32 v51, v52
	v_fmac_f32_e32 v81, v42, v42
	v_lshrrev_b32_e32 v52, 16, v20
	v_cvt_f32_u32_e32 v53, v55
	v_add_f32_e32 v20, v17, v54
	v_cvt_f32_u32_e32 v17, v80
	v_fmac_f32_e32 v81, v43, v43
	v_cvt_f32_u32_e32 v52, v52
	v_add_f32_e32 v51, v51, v53
	v_and_b32_e32 v69, 31, v0
	v_perm_b32 v56, v31, v30, 0x7060302
	v_fmac_f32_e32 v81, v44, v44
	v_add_f32_e32 v52, v17, v52
	v_perm_b32 v55, v29, v28, 0x7060302
	v_perm_b32 v54, v27, v26, 0x7060302
	v_perm_b32 v53, v24, v25, 0x7060302
	v_fmac_f32_e32 v81, v45, v45
	v_perm_b32 v60, v39, v38, 0x7060302
	v_perm_b32 v59, v37, v36, 0x7060302
	v_perm_b32 v58, v35, v34, 0x7060302
	v_perm_b32 v57, v33, v32, 0x7060302
	v_fmac_f32_e32 v81, v46, v46
	v_perm_b32 v64, v47, v46, 0x7060302
	;; [unrolled: 5-line block ×3, first 2 shown]
	v_perm_b32 v66, v19, v49, 0x7060302
	v_perm_b32 v65, v18, v48, 0x7060302
	buffer_store_b128 v[53:56], v23, s[28:31], 0 offen glc slc
	v_fmac_f32_e32 v81, v48, v48
	;;#ASMSTART
	s_nop 0
	;;#ASMEND
	buffer_store_b128 v[57:60], v23, s[28:31], s0 offen glc slc
	v_cmp_eq_u32_e64 s0, 31, v69
	;;#ASMSTART
	s_nop 0
	;;#ASMEND
	v_fmac_f32_e32 v81, v18, v18
	s_delay_alu instid0(VALU_DEP_1) | instskip(NEXT) | instid1(VALU_DEP_1)
	v_fmac_f32_e32 v81, v49, v49
	v_fmac_f32_e32 v81, v19, v19
	s_delay_alu instid0(VALU_DEP_1) | instskip(NEXT) | instid1(VALU_DEP_1)
	v_fmac_f32_e32 v81, v50, v50
	;; [unrolled: 3-line block ×3, first 2 shown]
	v_fmac_f32_e32 v81, v52, v52
	s_delay_alu instid0(VALU_DEP_1) | instskip(NEXT) | instid1(VALU_DEP_1)
	v_mov_b32_dpp v17, v81 quad_perm:[1,0,3,2] row_mask:0xf bank_mask:0xf
	v_add_f32_e32 v17, v81, v17
	s_delay_alu instid0(VALU_DEP_1) | instskip(NEXT) | instid1(VALU_DEP_1)
	v_mov_b32_dpp v61, v17 quad_perm:[2,3,0,1] row_mask:0xf bank_mask:0xf
	v_add_f32_e32 v17, v17, v61
	v_perm_b32 v61, v41, v40, 0x7060302
	s_delay_alu instid0(VALU_DEP_2)
	v_mov_b32_dpp v70, v17 row_xmask:7 row_mask:0xf bank_mask:0xf
	buffer_store_b128 v[61:64], v23, s[28:31], s1 offen glc slc
	;;#ASMSTART
	s_nop 0
	;;#ASMEND
	buffer_store_b128 v[65:68], v23, s[28:31], s2 offen glc slc
	;;#ASMSTART
	s_nop 0
	;;#ASMEND
	v_add_f32_e32 v17, v17, v70
	s_delay_alu instid0(VALU_DEP_1)
	v_mov_b32_dpp v53, v17 row_xmask:15 row_mask:0xf bank_mask:0xf
	s_and_saveexec_b32 s1, s0
	s_cbranch_execz .LBB22_3
; %bb.2:
	s_delay_alu instid0(VALU_DEP_1) | instskip(SKIP_2) | instid1(VALU_DEP_2)
	v_add_f32_e32 v17, v17, v53
	s_mov_b32 s2, 0x76543210
	v_lshrrev_b32_e32 v23, 3, v0
	v_permlanex16_b32 v53, v17, s2, 0xfedcba98 op_sel:[1,1]
	s_delay_alu instid0(VALU_DEP_2) | instskip(NEXT) | instid1(VALU_DEP_2)
	v_and_b32_e32 v23, 0x7c, v23
	v_add_f32_e32 v17, v17, v53
	ds_store_b32 v23, v17 offset:32
.LBB22_3:
	s_or_b32 exec_lo, exec_lo, s1
	v_and_b32_e32 v17, 7, v0
	s_waitcnt vmcnt(0) lgkmcnt(0)
	s_waitcnt_vscnt null, 0x0
	s_barrier
	buffer_gl0_inv
	v_cvt_f32_i32_e32 v54, s5
	v_lshlrev_b32_e32 v17, 2, v17
	s_cmp_lg_u32 s10, 0
	v_and_b32_e32 v60, 0xffff, v12
	v_lshrrev_b32_e32 v12, 16, v12
	ds_load_b32 v23, v17 offset:32
	v_cvt_f32_u32_e32 v60, v60
	v_cvt_f32_u32_e32 v12, v12
	s_waitcnt lgkmcnt(0)
	v_mov_b32_dpp v53, v23 quad_perm:[1,0,3,2] row_mask:0xf bank_mask:0xf
	s_delay_alu instid0(VALU_DEP_1) | instskip(NEXT) | instid1(VALU_DEP_1)
	v_add_f32_e32 v23, v23, v53
	v_mov_b32_dpp v53, v23 quad_perm:[2,3,0,1] row_mask:0xf bank_mask:0xf
	s_delay_alu instid0(VALU_DEP_1) | instskip(NEXT) | instid1(VALU_DEP_1)
	v_add_f32_e32 v23, v23, v53
	v_mov_b32_dpp v53, v23 row_xmask:7 row_mask:0xf bank_mask:0xf
	s_delay_alu instid0(VALU_DEP_1) | instskip(NEXT) | instid1(VALU_DEP_1)
	v_add_f32_e32 v23, v23, v53
	v_div_scale_f32 v53, null, v54, v54, v23
	v_div_scale_f32 v57, vcc_lo, v23, v54, v23
	s_delay_alu instid0(VALU_DEP_2) | instskip(SKIP_2) | instid1(VALU_DEP_1)
	v_rcp_f32_e32 v55, v53
	s_waitcnt_depctr 0xfff
	v_fma_f32 v56, -v53, v55, 1.0
	v_fmac_f32_e32 v55, v56, v55
	s_delay_alu instid0(VALU_DEP_1) | instskip(NEXT) | instid1(VALU_DEP_1)
	v_mul_f32_e32 v56, v57, v55
	v_fma_f32 v58, -v53, v56, v57
	s_delay_alu instid0(VALU_DEP_1) | instskip(SKIP_2) | instid1(VALU_DEP_3)
	v_fmac_f32_e32 v56, v58, v55
	v_and_b32_e32 v58, 0xffff, v10
	v_lshrrev_b32_e32 v10, 16, v10
	v_fma_f32 v53, -v53, v56, v57
	s_delay_alu instid0(VALU_DEP_3) | instskip(NEXT) | instid1(VALU_DEP_3)
	v_cvt_f32_u32_e32 v58, v58
	v_cvt_f32_u32_e32 v10, v10
	s_delay_alu instid0(VALU_DEP_3) | instskip(SKIP_2) | instid1(VALU_DEP_3)
	v_div_fmas_f32 v53, v53, v55, v56
	v_and_b32_e32 v56, 0xffff, v16
	v_lshrrev_b32_e32 v16, 16, v16
	v_div_fixup_f32 v23, v53, v54, v23
	s_delay_alu instid0(VALU_DEP_3) | instskip(NEXT) | instid1(VALU_DEP_3)
	v_cvt_f32_u32_e32 v56, v56
	v_cvt_f32_u32_e32 v16, v16
	s_delay_alu instid0(VALU_DEP_3) | instskip(NEXT) | instid1(VALU_DEP_1)
	v_cvt_f64_f32_e32 v[53:54], v23
	v_add_f64 v[53:54], v[53:54], s[24:25]
	s_delay_alu instid0(VALU_DEP_1) | instskip(SKIP_2) | instid1(VALU_DEP_2)
	v_cvt_f32_f64_e32 v53, v[53:54]
	v_and_b32_e32 v54, 0xffff, v15
	v_lshrrev_b32_e32 v15, 16, v15
	v_cvt_f32_u32_e32 v54, v54
	s_delay_alu instid0(VALU_DEP_2) | instskip(SKIP_4) | instid1(VALU_DEP_4)
	v_cvt_f32_u32_e32 v15, v15
	v_mul_f32_e32 v70, 0x4b800000, v53
	v_cmp_gt_f32_e32 vcc_lo, 0x800000, v53
	v_and_b32_e32 v64, 0xffff, v8
	v_lshrrev_b32_e32 v8, 16, v8
	v_cndmask_b32_e32 v53, v53, v70, vcc_lo
	s_delay_alu instid0(VALU_DEP_3) | instskip(NEXT) | instid1(VALU_DEP_3)
	v_cvt_f32_u32_e32 v64, v64
	v_cvt_f32_u32_e32 v8, v8
	s_delay_alu instid0(VALU_DEP_3) | instskip(SKIP_4) | instid1(VALU_DEP_3)
	v_rsq_f32_e32 v53, v53
	s_waitcnt_depctr 0xfff
	v_mul_f32_e32 v70, 0x45800000, v53
	v_and_b32_e32 v68, 0xffff, v4
	v_lshrrev_b32_e32 v4, 16, v4
	v_cndmask_b32_e32 v53, v53, v70, vcc_lo
	v_and_b32_e32 v23, 0xffff, v13
	v_lshrrev_b32_e32 v13, 16, v13
	v_and_b32_e32 v55, 0xffff, v14
	v_lshrrev_b32_e32 v14, 16, v14
	v_mul_f32_e32 v24, v24, v53
	v_dual_mul_f32 v70, v53, v32 :: v_dual_and_b32 v57, 0xffff, v9
	v_lshrrev_b32_e32 v9, 16, v9
	v_dual_mul_f32 v25, v25, v53 :: v_dual_and_b32 v62, 0xffff, v6
	v_dual_mul_f32 v28, v28, v53 :: v_dual_and_b32 v63, 0xffff, v7
	;; [unrolled: 1-line block ×3, first 2 shown]
	v_lshrrev_b32_e32 v1, 16, v1
	v_mul_f32_e32 v30, v53, v30
	v_cvt_f32_u32_e32 v23, v23
	v_dual_mul_f32 v26, v26, v53 :: v_dual_and_b32 v59, 0xffff, v11
	v_dual_mul_f32 v72, v53, v34 :: v_dual_and_b32 v61, 0xffff, v5
	v_lshrrev_b32_e32 v7, 16, v7
	v_dual_mul_f32 v27, v27, v53 :: v_dual_and_b32 v66, 0xffff, v2
	v_lshrrev_b32_e32 v2, 16, v2
	v_dual_mul_f32 v38, v53, v38 :: v_dual_and_b32 v67, 0xffff, v3
	v_cvt_f32_u32_e32 v13, v13
	v_lshrrev_b32_e32 v11, 16, v11
	v_lshrrev_b32_e32 v5, 16, v5
	;; [unrolled: 1-line block ×3, first 2 shown]
	v_cvt_f32_u32_e32 v55, v55
	v_cvt_f32_u32_e32 v14, v14
	v_mul_f32_e32 v29, v29, v53
	v_lshrrev_b32_e32 v6, 16, v6
	v_dual_mul_f32 v31, v31, v53 :: v_dual_mul_f32 v42, v53, v42
	v_cvt_f32_u32_e32 v57, v57
	v_cvt_f32_u32_e32 v9, v9
	;; [unrolled: 1-line block ×3, first 2 shown]
	v_dual_mul_f32 v71, v53, v33 :: v_dual_mul_f32 v32, v28, v54
	v_mul_f32_e32 v39, v53, v39
	v_mul_f32_e32 v76, v53, v18
	v_dual_mul_f32 v36, v25, v23 :: v_dual_mov_b32 v69, 0x2edbe6ff
	v_mul_f32_e32 v40, v53, v40
	v_cvt_f32_u32_e32 v59, v59
	v_cvt_f32_u32_e32 v61, v61
	;; [unrolled: 1-line block ×4, first 2 shown]
	v_mul_f32_e32 v73, v53, v35
	v_dual_mul_f32 v75, v53, v37 :: v_dual_mul_f32 v30, v30, v56
	v_dual_mul_f32 v44, v53, v44 :: v_dual_mul_f32 v37, v24, v13
	;; [unrolled: 1-line block ×3, first 2 shown]
	v_mul_f32_e32 v47, v53, v47
	v_mul_f32_e32 v78, v53, v20
	v_dual_mul_f32 v20, v38, v60 :: v_dual_mul_f32 v77, v53, v19
	v_cvt_f32_u32_e32 v11, v11
	v_cvt_f32_u32_e32 v5, v5
	;; [unrolled: 1-line block ×3, first 2 shown]
	v_mul_f32_e32 v41, v53, v41
	v_dual_mul_f32 v48, v53, v48 :: v_dual_mul_f32 v35, v27, v14
	v_mul_f32_e32 v34, v26, v55
	v_cvt_f32_u32_e32 v62, v62
	v_cvt_f32_u32_e32 v4, v4
	v_mul_f32_e32 v52, v53, v52
	v_mul_f32_e32 v33, v29, v15
	v_cvt_f32_u32_e32 v6, v6
	v_cvt_f32_u32_e32 v65, v65
	;; [unrolled: 1-line block ×3, first 2 shown]
	v_dual_mul_f32 v43, v53, v43 :: v_dual_mul_f32 v28, v70, v57
	v_dual_mul_f32 v46, v53, v46 :: v_dual_mul_f32 v31, v31, v16
	v_mul_f32_e32 v51, v53, v51
	v_cvt_f32_u32_e32 v63, v63
	v_mul_f32_e32 v29, v71, v9
	v_mul_f32_e32 v23, v39, v12
	;; [unrolled: 1-line block ×3, first 2 shown]
	v_dual_mul_f32 v26, v72, v58 :: v_dual_and_b32 v1, 0x7fffffff, v36
	v_dual_mul_f32 v27, v73, v10 :: v_dual_mul_f32 v14, v44, v63
	v_dual_mul_f32 v13, v45, v7 :: v_dual_mul_f32 v12, v47, v8
	v_mul_f32_e32 v8, v77, v2
	v_and_b32_e32 v2, 0x7fffffff, v37
	;;#ASMSTART
	v_max3_f32 v1, v69, v1, v2

	;;#ASMEND
	v_cvt_f32_u32_e32 v66, v66
	v_dual_mul_f32 v49, v53, v49 :: v_dual_mul_f32 v16, v43, v6
	v_dual_mul_f32 v50, v53, v50 :: v_dual_mul_f32 v25, v75, v11
	v_mul_f32_e32 v19, v40, v61
	v_dual_mul_f32 v18, v41, v5 :: v_dual_mul_f32 v11, v46, v64
	v_dual_mul_f32 v5, v78, v3 :: v_dual_and_b32 v38, 0x7fffffff, v34
	v_and_b32_e32 v39, 0x7fffffff, v35
	;;#ASMSTART
	v_max3_f32 v1, v1, v38, v39

	;;#ASMEND
	v_cvt_f32_u32_e32 v67, v67
	v_dual_mul_f32 v15, v42, v62 :: v_dual_mul_f32 v4, v52, v4
	v_and_b32_e32 v40, 0x7fffffff, v32
	v_and_b32_e32 v41, 0x7fffffff, v33
	;;#ASMSTART
	v_max3_f32 v1, v1, v40, v41

	;;#ASMEND
	v_dual_mul_f32 v10, v48, v65 :: v_dual_mul_f32 v3, v51, v68
	v_and_b32_e32 v42, 0x7fffffff, v30
	v_and_b32_e32 v43, 0x7fffffff, v31
	;;#ASMSTART
	v_max3_f32 v1, v1, v42, v43

	;;#ASMEND
	v_and_b32_e32 v44, 0x7fffffff, v28
	v_and_b32_e32 v45, 0x7fffffff, v29
	;;#ASMSTART
	v_max3_f32 v1, v1, v44, v45

	;;#ASMEND
	;; [unrolled: 6-line block ×3, first 2 shown]
	v_dual_mul_f32 v7, v49, v66 :: v_dual_mul_f32 v6, v50, v67
	v_and_b32_e32 v48, 0x7fffffff, v24
	v_and_b32_e32 v49, 0x7fffffff, v25
	;;#ASMSTART
	v_max3_f32 v1, v1, v48, v49

	;;#ASMEND
	v_and_b32_e32 v50, 0x7fffffff, v20
	v_and_b32_e32 v51, 0x7fffffff, v23
	;;#ASMSTART
	v_max3_f32 v1, v1, v50, v51

	;;#ASMEND
	;; [unrolled: 6-line block ×8, first 2 shown]
	v_and_b32_e32 v64, 0x7fffffff, v6
	v_and_b32_e32 v65, 0x7fffffff, v5
	v_and_b32_e32 v66, 0x7fffffff, v3
	v_and_b32_e32 v67, 0x7fffffff, v4
	;;#ASMSTART
	v_max3_f32 v1, v1, v64, v65

	;;#ASMEND
	;;#ASMSTART
	v_max3_f32 v38, v1, v66, v67

	;;#ASMEND
	s_cbranch_scc0 .LBB22_10
; %bb.4:
	s_ashr_i32 s7, s10, 31
	s_delay_alu instid0(SALU_CYCLE_1) | instskip(NEXT) | instid1(SALU_CYCLE_1)
	s_lshr_b32 s1, s7, 27
	s_add_i32 s1, s10, s1
	s_delay_alu instid0(SALU_CYCLE_1) | instskip(NEXT) | instid1(SALU_CYCLE_1)
	s_ashr_i32 s1, s1, 5
	s_cmp_lt_i32 s1, 8
	s_cbranch_scc1 .LBB22_11
; %bb.5:
	s_cmp_lt_i32 s1, 16
	s_cbranch_scc1 .LBB22_12
; %bb.6:
	s_cmp_lt_i32 s1, 32
	s_cbranch_scc1 .LBB22_13
; %bb.7:
	v_mov_b32_e32 v1, v38
	s_cmp_eq_u32 s1, 32
	s_cbranch_scc0 .LBB22_9
; %bb.8:
	s_delay_alu instid0(VALU_DEP_1) | instskip(SKIP_1) | instid1(VALU_DEP_1)
	v_mov_b32_dpp v1, v38 quad_perm:[1,0,3,2] row_mask:0xf bank_mask:0xf
	s_mov_b32 s2, 0x76543210
	v_cmp_gt_f32_e32 vcc_lo, v38, v1
	v_cndmask_b32_e32 v1, v1, v38, vcc_lo
	s_delay_alu instid0(VALU_DEP_1) | instskip(NEXT) | instid1(VALU_DEP_1)
	v_mov_b32_dpp v2, v1 quad_perm:[2,3,0,1] row_mask:0xf bank_mask:0xf
	v_cmp_gt_f32_e32 vcc_lo, v1, v2
	v_cndmask_b32_e32 v1, v2, v1, vcc_lo
	s_delay_alu instid0(VALU_DEP_1) | instskip(NEXT) | instid1(VALU_DEP_1)
	v_mov_b32_dpp v2, v1 row_xmask:7 row_mask:0xf bank_mask:0xf
	v_cmp_gt_f32_e32 vcc_lo, v1, v2
	v_cndmask_b32_e32 v1, v2, v1, vcc_lo
	s_delay_alu instid0(VALU_DEP_1) | instskip(NEXT) | instid1(VALU_DEP_1)
	v_mov_b32_dpp v2, v1 row_xmask:15 row_mask:0xf bank_mask:0xf
	v_cmp_gt_f32_e32 vcc_lo, v1, v2
	v_cndmask_b32_e32 v1, v2, v1, vcc_lo
	s_delay_alu instid0(VALU_DEP_1) | instskip(NEXT) | instid1(VALU_DEP_1)
	v_permlanex16_b32 v2, v1, s2, 0xfedcba98 op_sel:[1,1]
	v_cmp_gt_f32_e32 vcc_lo, v1, v2
	v_cndmask_b32_e32 v1, v2, v1, vcc_lo
.LBB22_9:
	s_mov_b32 s2, 0
	s_branch .LBB22_14
.LBB22_10:
	s_mov_b32 s1, 0
                                        ; implicit-def: $vgpr22
                                        ; implicit-def: $vgpr1_vgpr2
	s_and_b32 vcc_lo, exec_lo, s31
	s_cbranch_vccnz .LBB22_38
	s_branch .LBB22_41
.LBB22_11:
                                        ; implicit-def: $vgpr1
	s_branch .LBB22_21
.LBB22_12:
                                        ; implicit-def: $vgpr1
	s_branch .LBB22_18
.LBB22_13:
	s_mov_b32 s2, -1
                                        ; implicit-def: $vgpr1
.LBB22_14:
	s_delay_alu instid0(SALU_CYCLE_1)
	s_and_not1_b32 vcc_lo, exec_lo, s2
	s_cbranch_vccnz .LBB22_17
; %bb.15:
	v_mov_b32_e32 v1, v38
	s_cmp_eq_u32 s1, 16
	s_cbranch_scc0 .LBB22_17
; %bb.16:
	s_delay_alu instid0(VALU_DEP_1) | instskip(NEXT) | instid1(VALU_DEP_1)
	v_mov_b32_dpp v1, v38 quad_perm:[1,0,3,2] row_mask:0xf bank_mask:0xf
	v_cmp_gt_f32_e32 vcc_lo, v38, v1
	v_cndmask_b32_e32 v1, v1, v38, vcc_lo
	s_delay_alu instid0(VALU_DEP_1) | instskip(NEXT) | instid1(VALU_DEP_1)
	v_mov_b32_dpp v2, v1 quad_perm:[2,3,0,1] row_mask:0xf bank_mask:0xf
	v_cmp_gt_f32_e32 vcc_lo, v1, v2
	v_cndmask_b32_e32 v1, v2, v1, vcc_lo
	s_delay_alu instid0(VALU_DEP_1) | instskip(NEXT) | instid1(VALU_DEP_1)
	v_mov_b32_dpp v2, v1 row_half_mirror row_mask:0xf bank_mask:0xf
	v_cmp_gt_f32_e32 vcc_lo, v1, v2
	v_cndmask_b32_e32 v1, v2, v1, vcc_lo
	s_delay_alu instid0(VALU_DEP_1) | instskip(NEXT) | instid1(VALU_DEP_1)
	v_mov_b32_dpp v2, v1 row_mirror row_mask:0xf bank_mask:0xf
	v_cmp_gt_f32_e32 vcc_lo, v1, v2
	v_cndmask_b32_e32 v1, v2, v1, vcc_lo
.LBB22_17:
	s_cbranch_execnz .LBB22_20
.LBB22_18:
	v_mov_b32_e32 v1, v38
	s_cmp_eq_u32 s1, 8
	s_cbranch_scc0 .LBB22_20
; %bb.19:
	s_delay_alu instid0(VALU_DEP_1) | instskip(NEXT) | instid1(VALU_DEP_1)
	v_mov_b32_dpp v1, v38 quad_perm:[1,0,3,2] row_mask:0xf bank_mask:0xf
	v_cmp_gt_f32_e32 vcc_lo, v38, v1
	v_cndmask_b32_e32 v1, v1, v38, vcc_lo
	s_delay_alu instid0(VALU_DEP_1) | instskip(NEXT) | instid1(VALU_DEP_1)
	v_mov_b32_dpp v2, v1 quad_perm:[2,3,0,1] row_mask:0xf bank_mask:0xf
	v_cmp_gt_f32_e32 vcc_lo, v1, v2
	v_cndmask_b32_e32 v1, v2, v1, vcc_lo
	s_delay_alu instid0(VALU_DEP_1) | instskip(NEXT) | instid1(VALU_DEP_1)
	v_mov_b32_dpp v2, v1 row_half_mirror row_mask:0xf bank_mask:0xf
	v_cmp_gt_f32_e32 vcc_lo, v1, v2
	v_cndmask_b32_e32 v1, v2, v1, vcc_lo
.LBB22_20:
	s_cbranch_execnz .LBB22_28
.LBB22_21:
	s_cmp_lt_i32 s1, 4
	s_cbranch_scc1 .LBB22_24
; %bb.22:
	v_mov_b32_e32 v1, v38
	s_cmp_eq_u32 s1, 4
	s_cbranch_scc0 .LBB22_25
; %bb.23:
	s_delay_alu instid0(VALU_DEP_1) | instskip(NEXT) | instid1(VALU_DEP_1)
	v_mov_b32_dpp v1, v38 quad_perm:[1,0,3,2] row_mask:0xf bank_mask:0xf
	v_cmp_gt_f32_e32 vcc_lo, v38, v1
	v_cndmask_b32_e32 v1, v1, v38, vcc_lo
	s_delay_alu instid0(VALU_DEP_1) | instskip(NEXT) | instid1(VALU_DEP_1)
	v_mov_b32_dpp v2, v1 quad_perm:[2,3,0,1] row_mask:0xf bank_mask:0xf
	v_cmp_gt_f32_e32 vcc_lo, v1, v2
	v_cndmask_b32_e32 v1, v2, v1, vcc_lo
	s_cbranch_execz .LBB22_26
	s_branch .LBB22_28
.LBB22_24:
                                        ; implicit-def: $vgpr1
	s_branch .LBB22_26
.LBB22_25:
	s_cbranch_execnz .LBB22_28
.LBB22_26:
	v_mov_b32_e32 v1, v38
	s_cmp_lg_u32 s1, 2
	s_cbranch_scc1 .LBB22_28
; %bb.27:
	s_delay_alu instid0(VALU_DEP_1) | instskip(NEXT) | instid1(VALU_DEP_1)
	v_mov_b32_dpp v1, v38 quad_perm:[1,0,3,2] row_mask:0xf bank_mask:0xf
	v_cmp_gt_f32_e32 vcc_lo, v38, v1
	v_cndmask_b32_e32 v1, v1, v38, vcc_lo
.LBB22_28:
	v_cvt_f32_u32_e32 v2, s1
	s_sub_i32 s2, 0, s1
	s_mov_b32 s31, 0
	s_delay_alu instid0(VALU_DEP_1) | instskip(SKIP_2) | instid1(VALU_DEP_1)
	v_rcp_iflag_f32_e32 v2, v2
	s_waitcnt_depctr 0xfff
	v_mul_f32_e32 v2, 0x4f7ffffe, v2
	v_cvt_u32_f32_e32 v2, v2
	s_delay_alu instid0(VALU_DEP_1) | instskip(NEXT) | instid1(VALU_DEP_1)
	v_mul_lo_u32 v39, s2, v2
	v_mul_hi_u32 v39, v2, v39
	s_delay_alu instid0(VALU_DEP_1) | instskip(NEXT) | instid1(VALU_DEP_1)
	v_add_nc_u32_e32 v2, v2, v39
	v_mul_hi_u32 v2, v0, v2
	s_delay_alu instid0(VALU_DEP_1) | instskip(SKIP_1) | instid1(VALU_DEP_2)
	v_mul_lo_u32 v39, v2, s1
	v_add_nc_u32_e32 v40, 1, v2
	v_sub_nc_u32_e32 v39, v0, v39
	s_delay_alu instid0(VALU_DEP_1) | instskip(SKIP_1) | instid1(VALU_DEP_2)
	v_subrev_nc_u32_e32 v41, s1, v39
	v_cmp_le_u32_e32 vcc_lo, s1, v39
	v_dual_cndmask_b32 v39, v39, v41 :: v_dual_cndmask_b32 v2, v2, v40
	s_delay_alu instid0(VALU_DEP_1) | instskip(NEXT) | instid1(VALU_DEP_2)
	v_cmp_le_u32_e32 vcc_lo, s1, v39
	v_add_nc_u32_e32 v40, 1, v2
	s_delay_alu instid0(VALU_DEP_1) | instskip(SKIP_2) | instid1(VALU_DEP_3)
	v_cndmask_b32_e32 v39, v2, v40, vcc_lo
	v_cmp_gt_u32_e32 vcc_lo, s5, v22
	v_mul_f32_e32 v22, 0x3b124925, v1
	v_mul_lo_u32 v2, v39, s1
	s_delay_alu instid0(VALU_DEP_1) | instskip(NEXT) | instid1(VALU_DEP_1)
	v_sub_nc_u32_e32 v2, v0, v2
	v_cmp_eq_u32_e64 s1, 0, v2
                                        ; implicit-def: $vgpr1_vgpr2
	s_delay_alu instid0(VALU_DEP_1) | instskip(SKIP_2) | instid1(SALU_CYCLE_1)
	s_and_b32 s2, s1, vcc_lo
	s_mov_b32 s1, 0
	s_and_saveexec_b32 s3, s2
	s_xor_b32 s8, exec_lo, s3
	s_cbranch_execz .LBB22_37
; %bb.29:
	s_bitcmp0_b32 s11, 0
	s_mov_b32 s6, 0
	s_cbranch_scc0 .LBB22_34
; %bb.30:
	s_ashr_i32 s1, s5, 31
	s_mul_hi_u32 s3, s5, s34
	s_mul_i32 s1, s1, s34
	s_mul_i32 s2, s5, s34
	s_add_i32 s3, s3, s1
	s_mov_b32 s11, s7
	s_delay_alu instid0(SALU_CYCLE_1) | instskip(NEXT) | instid1(SALU_CYCLE_1)
	s_or_b64 s[14:15], s[2:3], s[10:11]
	s_mov_b32 s7, s15
	s_delay_alu instid0(SALU_CYCLE_1)
	s_cmp_lg_u64 s[6:7], 0
	s_cbranch_scc0 .LBB22_45
; %bb.31:
	s_add_u32 s14, s10, s11
	s_mov_b32 s6, s11
	s_mov_b32 s7, s11
	s_addc_u32 s15, s11, s11
	s_delay_alu instid0(SALU_CYCLE_1) | instskip(NEXT) | instid1(SALU_CYCLE_1)
	s_xor_b64 s[14:15], s[14:15], s[6:7]
	v_cvt_f32_u32_e32 v1, s14
	v_cvt_f32_u32_e32 v2, s15
	s_sub_u32 s18, 0, s14
	s_subb_u32 s19, 0, s15
	s_delay_alu instid0(VALU_DEP_1) | instskip(NEXT) | instid1(VALU_DEP_1)
	v_fmamk_f32 v1, v2, 0x4f800000, v1
	v_rcp_f32_e32 v1, v1
	s_waitcnt_depctr 0xfff
	v_mul_f32_e32 v1, 0x5f7ffffc, v1
	s_delay_alu instid0(VALU_DEP_1) | instskip(NEXT) | instid1(VALU_DEP_1)
	v_mul_f32_e32 v2, 0x2f800000, v1
	v_trunc_f32_e32 v2, v2
	s_delay_alu instid0(VALU_DEP_1) | instskip(SKIP_1) | instid1(VALU_DEP_2)
	v_fmamk_f32 v1, v2, 0xcf800000, v1
	v_cvt_u32_f32_e32 v2, v2
	v_cvt_u32_f32_e32 v1, v1
	s_delay_alu instid0(VALU_DEP_2) | instskip(NEXT) | instid1(VALU_DEP_2)
	v_readfirstlane_b32 s1, v2
	v_readfirstlane_b32 s11, v1
	s_delay_alu instid0(VALU_DEP_2) | instskip(NEXT) | instid1(VALU_DEP_1)
	s_mul_i32 s20, s18, s1
	s_mul_hi_u32 s22, s18, s11
	s_mul_i32 s21, s19, s11
	s_add_i32 s20, s22, s20
	s_mul_i32 s23, s18, s11
	s_add_i32 s20, s20, s21
	s_mul_hi_u32 s22, s11, s23
	s_mul_hi_u32 s24, s1, s23
	s_mul_i32 s21, s1, s23
	s_mul_hi_u32 s23, s11, s20
	s_mul_i32 s11, s11, s20
	s_mul_hi_u32 s25, s1, s20
	s_add_u32 s11, s22, s11
	s_addc_u32 s22, 0, s23
	s_add_u32 s11, s11, s21
	s_mul_i32 s20, s1, s20
	s_addc_u32 s11, s22, s24
	s_addc_u32 s21, s25, 0
	s_add_u32 s11, s11, s20
	s_addc_u32 s20, 0, s21
	v_add_co_u32 v1, s11, v1, s11
	s_delay_alu instid0(VALU_DEP_1) | instskip(SKIP_1) | instid1(VALU_DEP_1)
	s_cmp_lg_u32 s11, 0
	s_addc_u32 s1, s1, s20
	v_readfirstlane_b32 s11, v1
	s_mul_i32 s20, s18, s1
	s_delay_alu instid0(VALU_DEP_1)
	s_mul_hi_u32 s21, s18, s11
	s_mul_i32 s19, s19, s11
	s_add_i32 s20, s21, s20
	s_mul_i32 s18, s18, s11
	s_add_i32 s20, s20, s19
	s_mul_hi_u32 s21, s1, s18
	s_mul_i32 s22, s1, s18
	s_mul_hi_u32 s18, s11, s18
	s_mul_hi_u32 s23, s11, s20
	s_mul_i32 s11, s11, s20
	s_mul_hi_u32 s19, s1, s20
	s_add_u32 s11, s18, s11
	s_addc_u32 s18, 0, s23
	s_add_u32 s11, s11, s22
	s_mul_i32 s20, s1, s20
	s_addc_u32 s11, s18, s21
	s_addc_u32 s18, s19, 0
	s_add_u32 s11, s11, s20
	s_addc_u32 s18, 0, s18
	v_add_co_u32 v1, s11, v1, s11
	s_delay_alu instid0(VALU_DEP_1) | instskip(SKIP_2) | instid1(SALU_CYCLE_1)
	s_cmp_lg_u32 s11, 0
	s_addc_u32 s1, s1, s18
	s_ashr_i32 s18, s3, 31
	s_add_u32 s20, s2, s18
	s_addc_u32 s21, s3, s18
	v_readfirstlane_b32 s3, v1
	s_mov_b32 s19, s18
	s_delay_alu instid0(SALU_CYCLE_1) | instskip(NEXT) | instid1(SALU_CYCLE_1)
	s_xor_b64 s[20:21], s[20:21], s[18:19]
	s_mul_i32 s22, s20, s1
	s_delay_alu instid0(VALU_DEP_1)
	s_mul_hi_u32 s23, s20, s3
	s_mul_hi_u32 s11, s20, s1
	;; [unrolled: 1-line block ×3, first 2 shown]
	s_mul_i32 s3, s21, s3
	s_add_u32 s22, s23, s22
	s_addc_u32 s11, 0, s11
	s_mul_hi_u32 s24, s21, s1
	s_add_u32 s3, s22, s3
	s_mul_i32 s1, s21, s1
	s_addc_u32 s3, s11, s25
	s_addc_u32 s11, s24, 0
	s_add_u32 s3, s3, s1
	s_addc_u32 s11, 0, s11
	s_mul_i32 s24, s14, s3
	s_mul_hi_u32 s1, s14, s3
	s_mul_i32 s23, s14, s11
	v_sub_co_u32 v1, s20, s20, s24
	s_mul_i32 s22, s15, s3
	s_add_i32 s1, s1, s23
	s_delay_alu instid0(SALU_CYCLE_1) | instskip(NEXT) | instid1(VALU_DEP_1)
	s_add_i32 s1, s1, s22
	v_sub_co_u32 v2, s23, v1, s14
	s_sub_i32 s22, s21, s1
	s_cmp_lg_u32 s20, 0
	s_subb_u32 s22, s22, s15
	s_cmp_lg_u32 s23, 0
	v_cmp_le_u32_e32 vcc_lo, s14, v2
	s_subb_u32 s22, s22, 0
	s_delay_alu instid0(SALU_CYCLE_1)
	s_cmp_ge_u32 s22, s15
	v_cndmask_b32_e64 v2, 0, -1, vcc_lo
	s_cselect_b32 s23, -1, 0
	s_cmp_eq_u32 s22, s15
	s_cselect_b32 vcc_lo, -1, 0
	s_add_u32 s22, s3, 1
	v_cndmask_b32_e32 v2, s23, v2, vcc_lo
	s_addc_u32 s23, s11, 0
	s_add_u32 s24, s3, 2
	s_addc_u32 s25, s11, 0
	s_cmp_lg_u32 s20, 0
	v_cmp_le_u32_e32 vcc_lo, s14, v1
	s_subb_u32 s1, s21, s1
	v_mov_b32_e32 v40, s24
	s_cmp_ge_u32 s1, s15
	v_cndmask_b32_e64 v1, 0, -1, vcc_lo
	s_cselect_b32 s14, -1, 0
	s_cmp_eq_u32 s1, s15
	v_cmp_ne_u32_e32 vcc_lo, 0, v2
	v_mov_b32_e32 v2, s25
	s_cselect_b32 s1, -1, 0
	s_xor_b64 s[6:7], s[18:19], s[6:7]
	v_cndmask_b32_e64 v1, s14, v1, s1
	v_cndmask_b32_e32 v40, s22, v40, vcc_lo
	v_cndmask_b32_e32 v2, s23, v2, vcc_lo
	s_delay_alu instid0(VALU_DEP_3) | instskip(NEXT) | instid1(VALU_DEP_2)
	v_cmp_ne_u32_e32 vcc_lo, 0, v1
	v_cndmask_b32_e32 v1, s11, v2, vcc_lo
	s_delay_alu instid0(VALU_DEP_4) | instskip(NEXT) | instid1(VALU_DEP_2)
	v_cndmask_b32_e32 v2, s3, v40, vcc_lo
	v_xor_b32_e32 v40, s7, v1
	s_delay_alu instid0(VALU_DEP_2) | instskip(NEXT) | instid1(VALU_DEP_1)
	v_xor_b32_e32 v2, s6, v2
	v_sub_co_u32 v1, vcc_lo, v2, s6
	s_delay_alu instid0(VALU_DEP_3)
	v_subrev_co_ci_u32_e32 v2, vcc_lo, s7, v40, vcc_lo
	s_cbranch_execnz .LBB22_33
.LBB22_32:
	v_cvt_f32_u32_e32 v1, s10
	s_sub_i32 s3, 0, s10
	s_delay_alu instid0(VALU_DEP_1) | instskip(SKIP_2) | instid1(VALU_DEP_1)
	v_rcp_iflag_f32_e32 v1, v1
	s_waitcnt_depctr 0xfff
	v_mul_f32_e32 v1, 0x4f7ffffe, v1
	v_cvt_u32_f32_e32 v1, v1
	s_delay_alu instid0(VALU_DEP_1) | instskip(NEXT) | instid1(VALU_DEP_1)
	v_readfirstlane_b32 s1, v1
	s_mul_i32 s3, s3, s1
	s_delay_alu instid0(SALU_CYCLE_1) | instskip(NEXT) | instid1(SALU_CYCLE_1)
	s_mul_hi_u32 s3, s1, s3
	s_add_i32 s1, s1, s3
	s_delay_alu instid0(SALU_CYCLE_1) | instskip(NEXT) | instid1(SALU_CYCLE_1)
	s_mul_hi_u32 s1, s2, s1
	s_mul_i32 s3, s1, s10
	s_delay_alu instid0(SALU_CYCLE_1)
	s_sub_i32 s2, s2, s3
	s_add_i32 s3, s1, 1
	s_sub_i32 s6, s2, s10
	s_cmp_ge_u32 s2, s10
	s_cselect_b32 s1, s3, s1
	s_cselect_b32 s2, s6, s2
	s_add_i32 s6, s1, 1
	s_cmp_ge_u32 s2, s10
	s_mov_b32 s3, 0
	s_cselect_b32 s2, s6, s1
	s_delay_alu instid0(SALU_CYCLE_1)
	v_dual_mov_b32 v1, s2 :: v_dual_mov_b32 v2, s3
.LBB22_33:
	s_delay_alu instid0(VALU_DEP_1) | instskip(NEXT) | instid1(VALU_DEP_2)
	v_add_co_u32 v1, vcc_lo, v1, v39
	v_add_co_ci_u32_e32 v2, vcc_lo, 0, v2, vcc_lo
	s_branch .LBB22_36
.LBB22_34:
                                        ; implicit-def: $vgpr1_vgpr2
	s_cbranch_execz .LBB22_36
; %bb.35:
	v_mul_lo_u32 v1, v39, s4
	s_delay_alu instid0(VALU_DEP_1) | instskip(SKIP_1) | instid1(VALU_DEP_2)
	v_ashrrev_i32_e32 v2, 31, v1
	v_add_co_u32 v1, vcc_lo, v1, s34
	v_add_co_ci_u32_e32 v2, vcc_lo, 0, v2, vcc_lo
.LBB22_36:
	s_mov_b32 s1, exec_lo
.LBB22_37:
	s_or_b32 exec_lo, exec_lo, s8
	s_delay_alu instid0(SALU_CYCLE_1)
	s_and_b32 vcc_lo, exec_lo, s31
	s_cbranch_vccz .LBB22_41
.LBB22_38:
	v_mov_b32_dpp v1, v38 quad_perm:[1,0,3,2] row_mask:0xf bank_mask:0xf
	s_delay_alu instid0(VALU_DEP_1) | instskip(SKIP_1) | instid1(VALU_DEP_1)
	v_cmp_gt_f32_e32 vcc_lo, v38, v1
	v_cndmask_b32_e32 v1, v1, v38, vcc_lo
	v_mov_b32_dpp v2, v1 quad_perm:[2,3,0,1] row_mask:0xf bank_mask:0xf
	s_delay_alu instid0(VALU_DEP_1) | instskip(SKIP_1) | instid1(VALU_DEP_1)
	v_cmp_gt_f32_e32 vcc_lo, v1, v2
	v_cndmask_b32_e32 v1, v2, v1, vcc_lo
	v_mov_b32_dpp v2, v1 row_xmask:7 row_mask:0xf bank_mask:0xf
	s_delay_alu instid0(VALU_DEP_1) | instskip(SKIP_1) | instid1(VALU_DEP_1)
	v_cmp_gt_f32_e32 vcc_lo, v1, v2
	v_cndmask_b32_e32 v1, v2, v1, vcc_lo
	v_mov_b32_dpp v2, v1 row_xmask:15 row_mask:0xf bank_mask:0xf
	s_delay_alu instid0(VALU_DEP_1)
	v_cmp_gt_f32_e32 vcc_lo, v1, v2
	s_and_saveexec_b32 s1, s0
	s_cbranch_execz .LBB22_40
; %bb.39:
	v_cndmask_b32_e32 v1, v2, v1, vcc_lo
	v_lshrrev_b32_e32 v2, 3, v0
	s_mov_b32 s0, 0x76543210
	s_delay_alu instid0(VALU_DEP_1) | instskip(NEXT) | instid1(VALU_DEP_3)
	v_and_b32_e32 v2, 0x7c, v2
	v_permlanex16_b32 v22, v1, s0, 0xfedcba98 op_sel:[1,1]
	s_delay_alu instid0(VALU_DEP_1)
	v_cmp_gt_f32_e32 vcc_lo, v1, v22
	v_cndmask_b32_e32 v1, v22, v1, vcc_lo
	ds_store_b32 v2, v1
.LBB22_40:
	s_or_b32 exec_lo, exec_lo, s1
	s_waitcnt lgkmcnt(0)
	s_barrier
	buffer_gl0_inv
	ds_load_b32 v1, v17
	v_cmp_eq_u32_e64 s1, 0, v0
	s_waitcnt lgkmcnt(0)
	v_mov_b32_dpp v2, v1 quad_perm:[1,0,3,2] row_mask:0xf bank_mask:0xf
	s_delay_alu instid0(VALU_DEP_1) | instskip(SKIP_1) | instid1(VALU_DEP_1)
	v_cmp_gt_f32_e32 vcc_lo, v1, v2
	v_cndmask_b32_e32 v1, v2, v1, vcc_lo
	v_mov_b32_dpp v2, v1 quad_perm:[2,3,0,1] row_mask:0xf bank_mask:0xf
	s_delay_alu instid0(VALU_DEP_1) | instskip(SKIP_1) | instid1(VALU_DEP_1)
	v_cmp_gt_f32_e32 vcc_lo, v1, v2
	v_cndmask_b32_e32 v1, v2, v1, vcc_lo
	v_mov_b32_dpp v2, v1 row_xmask:7 row_mask:0xf bank_mask:0xf
	s_delay_alu instid0(VALU_DEP_1) | instskip(SKIP_1) | instid1(VALU_DEP_1)
	v_cmp_gt_f32_e32 vcc_lo, v1, v2
	v_cndmask_b32_e32 v1, v2, v1, vcc_lo
	v_dual_mul_f32 v22, 0x3b124925, v1 :: v_dual_mov_b32 v1, s34
	v_mov_b32_e32 v2, s35
.LBB22_41:
	s_and_saveexec_b32 s0, s1
	s_cbranch_execz .LBB22_43
; %bb.42:
	s_delay_alu instid0(VALU_DEP_1) | instskip(NEXT) | instid1(VALU_DEP_1)
	v_lshlrev_b64 v[0:1], 2, v[1:2]
	v_add_co_u32 v0, vcc_lo, s16, v0
	s_delay_alu instid0(VALU_DEP_2)
	v_add_co_ci_u32_e32 v1, vcc_lo, s17, v1, vcc_lo
	global_store_b32 v[0:1], v22, off
.LBB22_43:
	s_or_b32 exec_lo, exec_lo, s0
	;;#ASMSTART
	v_rcp_f32 v2, v22
	;;#ASMEND
	v_dual_mul_f32 v0, v2, v36 :: v_dual_mov_b32 v17, 0xc3e00000
	v_dual_mul_f32 v1, v2, v37 :: v_dual_mov_b32 v22, 0x43e00000
	v_mul_f32_e32 v34, v2, v34
	v_mul_f32_e32 v35, v2, v35
	;;#ASMSTART
	v_med3_f32 v0, v0, v17, v22
v_med3_f32 v1, v1, v17, v22
v_cvt_pk_fp8_f32 v36, v0, v1
	;;#ASMEND
	;;#ASMSTART
	v_med3_f32 v34, v34, v17, v22
v_med3_f32 v35, v35, v17, v22
v_cvt_pk_fp8_f32 v0, v34, v35
	;;#ASMEND
	v_perm_b32 v1, v0, v36, 0x5040100
	v_and_b32_e32 v0, 0xffffff00, v0
	s_add_i32 s0, s5, 3
	v_mul_f32_e32 v33, v2, v33
	s_ashr_i32 s1, s0, 31
	v_lshrrev_b32_e32 v34, 16, v1
	v_mul_f32_e32 v32, v2, v32
	s_lshr_b32 s1, s1, 30
	v_mul_f32_e32 v30, v2, v30
	s_add_i32 s0, s0, s1
	v_and_b32_e32 v34, 0xff, v34
	s_ashr_i32 s1, s9, 31
	s_mul_hi_u32 s3, s9, s34
	s_mul_i32 s1, s1, s34
	s_and_b32 s2, s0, -4
	v_or_b32_e32 v0, v34, v0
	v_mul_f32_e32 v31, v2, v31
	;;#ASMSTART
	v_med3_f32 v32, v32, v17, v22
v_med3_f32 v33, v33, v17, v22
v_cvt_pk_fp8_f32 v34, v32, v33
	;;#ASMEND
	s_mul_i32 s0, s9, s34
	s_add_i32 s3, s3, s1
	v_lshlrev_b32_e32 v0, 16, v0
	;;#ASMSTART
	v_med3_f32 v30, v30, v17, v22
v_med3_f32 v31, v31, v17, v22
v_cvt_pk_fp8_f32 v32, v30, v31
	;;#ASMEND
	v_dual_mul_f32 v29, v2, v29 :: v_dual_lshlrev_b32 v30, 16, v32
	s_add_u32 s0, s12, s0
	s_delay_alu instid0(VALU_DEP_2) | instskip(SKIP_1) | instid1(VALU_DEP_2)
	v_and_or_b32 v0, 0xffff, v1, v0
	s_addc_u32 s1, s13, s3
	v_and_or_b32 v1, 0xffff, v34, v30
	s_and_b32 s1, s1, 0xffff
	s_mov_b32 s3, -1
	v_mul_f32_e32 v28, v2, v28
	v_mul_f32_e32 v26, v2, v26
	;; [unrolled: 1-line block ×3, first 2 shown]
	buffer_store_b64 v[0:1], v21, s[0:3], 0 offen
	;;#ASMSTART
	s_nop 0
	;;#ASMEND
	;;#ASMSTART
	v_med3_f32 v28, v28, v17, v22
v_med3_f32 v29, v29, v17, v22
v_cvt_pk_fp8_f32 v0, v28, v29
	;;#ASMEND
	;;#ASMSTART
	v_med3_f32 v26, v26, v17, v22
v_med3_f32 v27, v27, v17, v22
v_cvt_pk_fp8_f32 v1, v26, v27
	;;#ASMEND
	v_perm_b32 v0, v1, v0, 0x5040100
	v_dual_mul_f32 v24, v2, v24 :: v_dual_and_b32 v1, 0xffffff00, v1
	v_mul_f32_e32 v25, v2, v25
	v_mul_f32_e32 v20, v2, v20
	s_delay_alu instid0(VALU_DEP_4)
	v_lshrrev_b32_e32 v26, 16, v0
	v_mul_f32_e32 v23, v2, v23
	s_movk_i32 s4, 0x100
	v_mul_f32_e32 v19, v2, v19
	v_mul_f32_e32 v18, v2, v18
	v_dual_mul_f32 v15, v2, v15 :: v_dual_and_b32 v26, 0xff, v26
	v_mul_f32_e32 v16, v2, v16
	v_mul_f32_e32 v14, v2, v14
	;; [unrolled: 1-line block ×3, first 2 shown]
	s_delay_alu instid0(VALU_DEP_4) | instskip(SKIP_3) | instid1(VALU_DEP_2)
	v_or_b32_e32 v1, v26, v1
	;;#ASMSTART
	v_med3_f32 v24, v24, v17, v22
v_med3_f32 v25, v25, v17, v22
v_cvt_pk_fp8_f32 v26, v24, v25
	;;#ASMEND
	;;#ASMSTART
	v_med3_f32 v20, v20, v17, v22
v_med3_f32 v23, v23, v17, v22
v_cvt_pk_fp8_f32 v24, v20, v23
	;;#ASMEND
	v_dual_mul_f32 v11, v2, v11 :: v_dual_lshlrev_b32 v20, 16, v24
	v_dual_mul_f32 v12, v2, v12 :: v_dual_lshlrev_b32 v23, 16, v1
	v_mul_f32_e32 v10, v2, v10
	s_delay_alu instid0(VALU_DEP_3) | instskip(SKIP_1) | instid1(VALU_DEP_4)
	v_and_or_b32 v1, 0xffff, v26, v20
	v_mul_f32_e32 v9, v2, v9
	v_and_or_b32 v0, 0xffff, v0, v23
	v_mul_f32_e32 v7, v2, v7
	v_mul_f32_e32 v8, v2, v8
	;; [unrolled: 1-line block ×4, first 2 shown]
	buffer_store_b64 v[0:1], v21, s[0:3], s4 offen
	;;#ASMSTART
	s_nop 0
	;;#ASMEND
	;;#ASMSTART
	v_med3_f32 v19, v19, v17, v22
v_med3_f32 v18, v18, v17, v22
v_cvt_pk_fp8_f32 v0, v19, v18
	;;#ASMEND
	;;#ASMSTART
	v_med3_f32 v15, v15, v17, v22
v_med3_f32 v16, v16, v17, v22
v_cvt_pk_fp8_f32 v1, v15, v16
	;;#ASMEND
	v_perm_b32 v0, v1, v0, 0x5040100
	v_and_b32_e32 v1, 0xffffff00, v1
	s_movk_i32 s4, 0x200
	v_mul_f32_e32 v3, v2, v3
	v_mul_f32_e32 v2, v2, v4
	v_lshrrev_b32_e32 v15, 16, v0
	s_delay_alu instid0(VALU_DEP_1) | instskip(NEXT) | instid1(VALU_DEP_1)
	v_and_b32_e32 v15, 0xff, v15
	v_or_b32_e32 v1, v15, v1
	;;#ASMSTART
	v_med3_f32 v14, v14, v17, v22
v_med3_f32 v13, v13, v17, v22
v_cvt_pk_fp8_f32 v15, v14, v13
	;;#ASMEND
	;;#ASMSTART
	v_med3_f32 v11, v11, v17, v22
v_med3_f32 v12, v12, v17, v22
v_cvt_pk_fp8_f32 v13, v11, v12
	;;#ASMEND
	v_lshlrev_b32_e32 v11, 16, v13
	s_delay_alu instid0(VALU_DEP_2) | instskip(NEXT) | instid1(VALU_DEP_2)
	v_lshlrev_b32_e32 v12, 16, v1
	v_and_or_b32 v1, 0xffff, v15, v11
	s_delay_alu instid0(VALU_DEP_2)
	v_and_or_b32 v0, 0xffff, v0, v12
	buffer_store_b64 v[0:1], v21, s[0:3], s4 offen
	;;#ASMSTART
	s_nop 0
	;;#ASMEND
	;;#ASMSTART
	v_med3_f32 v10, v10, v17, v22
v_med3_f32 v9, v9, v17, v22
v_cvt_pk_fp8_f32 v0, v10, v9
	;;#ASMEND
	;;#ASMSTART
	v_med3_f32 v7, v7, v17, v22
v_med3_f32 v8, v8, v17, v22
v_cvt_pk_fp8_f32 v1, v7, v8
	;;#ASMEND
	v_perm_b32 v0, v1, v0, 0x5040100
	v_and_b32_e32 v1, 0xffffff00, v1
	;;#ASMSTART
	v_med3_f32 v6, v6, v17, v22
v_med3_f32 v5, v5, v17, v22
v_cvt_pk_fp8_f32 v4, v6, v5
	;;#ASMEND
	;;#ASMSTART
	v_med3_f32 v3, v3, v17, v22
v_med3_f32 v2, v2, v17, v22
v_cvt_pk_fp8_f32 v5, v3, v2
	;;#ASMEND
	v_lshlrev_b32_e32 v2, 16, v5
	v_lshrrev_b32_e32 v7, 16, v0
	s_movk_i32 s4, 0x300
	s_delay_alu instid0(VALU_DEP_1) | instskip(NEXT) | instid1(VALU_DEP_1)
	v_and_b32_e32 v7, 0xff, v7
	v_or_b32_e32 v1, v7, v1
	s_delay_alu instid0(VALU_DEP_1) | instskip(SKIP_1) | instid1(VALU_DEP_2)
	v_lshlrev_b32_e32 v3, 16, v1
	v_and_or_b32 v1, 0xffff, v4, v2
	v_and_or_b32 v0, 0xffff, v0, v3
	buffer_store_b64 v[0:1], v21, s[0:3], s4 offen
	;;#ASMSTART
	s_nop 0
	;;#ASMEND
.LBB22_44:
	s_nop 0
	s_sendmsg sendmsg(MSG_DEALLOC_VGPRS)
	s_endpgm
.LBB22_45:
                                        ; implicit-def: $vgpr1_vgpr2
	s_branch .LBB22_32
	.section	.rodata,"a",@progbits
	.p2align	6, 0x0
	.amdhsa_kernel _ZN5aiter24add_rmsnorm_quant_kernelItDB8_Li256ELi32ELb1ELb1ELb1ELi1EEEvPT0_PT_PfS5_S5_S5_diiiiiiib
		.amdhsa_group_segment_fixed_size 64
		.amdhsa_private_segment_fixed_size 0
		.amdhsa_kernarg_size 88
		.amdhsa_user_sgpr_count 15
		.amdhsa_user_sgpr_dispatch_ptr 0
		.amdhsa_user_sgpr_queue_ptr 0
		.amdhsa_user_sgpr_kernarg_segment_ptr 1
		.amdhsa_user_sgpr_dispatch_id 0
		.amdhsa_user_sgpr_private_segment_size 0
		.amdhsa_wavefront_size32 1
		.amdhsa_uses_dynamic_stack 0
		.amdhsa_enable_private_segment 0
		.amdhsa_system_sgpr_workgroup_id_x 1
		.amdhsa_system_sgpr_workgroup_id_y 0
		.amdhsa_system_sgpr_workgroup_id_z 0
		.amdhsa_system_sgpr_workgroup_info 0
		.amdhsa_system_vgpr_workitem_id 0
		.amdhsa_next_free_vgpr 82
		.amdhsa_next_free_sgpr 40
		.amdhsa_reserve_vcc 1
		.amdhsa_float_round_mode_32 0
		.amdhsa_float_round_mode_16_64 0
		.amdhsa_float_denorm_mode_32 3
		.amdhsa_float_denorm_mode_16_64 3
		.amdhsa_dx10_clamp 1
		.amdhsa_ieee_mode 1
		.amdhsa_fp16_overflow 0
		.amdhsa_workgroup_processor_mode 1
		.amdhsa_memory_ordered 1
		.amdhsa_forward_progress 0
		.amdhsa_shared_vgpr_count 0
		.amdhsa_exception_fp_ieee_invalid_op 0
		.amdhsa_exception_fp_denorm_src 0
		.amdhsa_exception_fp_ieee_div_zero 0
		.amdhsa_exception_fp_ieee_overflow 0
		.amdhsa_exception_fp_ieee_underflow 0
		.amdhsa_exception_fp_ieee_inexact 0
		.amdhsa_exception_int_div_zero 0
	.end_amdhsa_kernel
	.section	.text._ZN5aiter24add_rmsnorm_quant_kernelItDB8_Li256ELi32ELb1ELb1ELb1ELi1EEEvPT0_PT_PfS5_S5_S5_diiiiiiib,"axG",@progbits,_ZN5aiter24add_rmsnorm_quant_kernelItDB8_Li256ELi32ELb1ELb1ELb1ELi1EEEvPT0_PT_PfS5_S5_S5_diiiiiiib,comdat
.Lfunc_end22:
	.size	_ZN5aiter24add_rmsnorm_quant_kernelItDB8_Li256ELi32ELb1ELb1ELb1ELi1EEEvPT0_PT_PfS5_S5_S5_diiiiiiib, .Lfunc_end22-_ZN5aiter24add_rmsnorm_quant_kernelItDB8_Li256ELi32ELb1ELb1ELb1ELi1EEEvPT0_PT_PfS5_S5_S5_diiiiiiib
                                        ; -- End function
	.section	.AMDGPU.csdata,"",@progbits
; Kernel info:
; codeLenInByte = 6772
; NumSgprs: 42
; NumVgprs: 82
; ScratchSize: 0
; MemoryBound: 0
; FloatMode: 240
; IeeeMode: 1
; LDSByteSize: 64 bytes/workgroup (compile time only)
; SGPRBlocks: 5
; VGPRBlocks: 10
; NumSGPRsForWavesPerEU: 42
; NumVGPRsForWavesPerEU: 82
; Occupancy: 16
; WaveLimiterHint : 0
; COMPUTE_PGM_RSRC2:SCRATCH_EN: 0
; COMPUTE_PGM_RSRC2:USER_SGPR: 15
; COMPUTE_PGM_RSRC2:TRAP_HANDLER: 0
; COMPUTE_PGM_RSRC2:TGID_X_EN: 1
; COMPUTE_PGM_RSRC2:TGID_Y_EN: 0
; COMPUTE_PGM_RSRC2:TGID_Z_EN: 0
; COMPUTE_PGM_RSRC2:TIDIG_COMP_CNT: 0
	.section	.text._ZN5aiter24add_rmsnorm_quant_kernelIDF16_DB8_Li256ELi32ELb1ELb1ELb0ELi1EEEvPT0_PT_PfS5_S5_S5_diiiiiiib,"axG",@progbits,_ZN5aiter24add_rmsnorm_quant_kernelIDF16_DB8_Li256ELi32ELb1ELb1ELb0ELi1EEEvPT0_PT_PfS5_S5_S5_diiiiiiib,comdat
	.protected	_ZN5aiter24add_rmsnorm_quant_kernelIDF16_DB8_Li256ELi32ELb1ELb1ELb0ELi1EEEvPT0_PT_PfS5_S5_S5_diiiiiiib ; -- Begin function _ZN5aiter24add_rmsnorm_quant_kernelIDF16_DB8_Li256ELi32ELb1ELb1ELb0ELi1EEEvPT0_PT_PfS5_S5_S5_diiiiiiib
	.globl	_ZN5aiter24add_rmsnorm_quant_kernelIDF16_DB8_Li256ELi32ELb1ELb1ELb0ELi1EEEvPT0_PT_PfS5_S5_S5_diiiiiiib
	.p2align	8
	.type	_ZN5aiter24add_rmsnorm_quant_kernelIDF16_DB8_Li256ELi32ELb1ELb1ELb0ELi1EEEvPT0_PT_PfS5_S5_S5_diiiiiiib,@function
_ZN5aiter24add_rmsnorm_quant_kernelIDF16_DB8_Li256ELi32ELb1ELb1ELb0ELi1EEEvPT0_PT_PfS5_S5_S5_diiiiiiib: ; @_ZN5aiter24add_rmsnorm_quant_kernelIDF16_DB8_Li256ELi32ELb1ELb1ELb0ELi1EEEvPT0_PT_PfS5_S5_S5_diiiiiiib
; %bb.0:
	s_mov_b32 s2, s15
	s_load_b256 s[12:19], s[0:1], 0x38
	s_mov_b32 s3, 0
	s_waitcnt lgkmcnt(0)
	s_ashr_i32 s5, s12, 31
	s_mov_b32 s4, s12
	s_delay_alu instid0(SALU_CYCLE_1) | instskip(NEXT) | instid1(VALU_DEP_1)
	v_cmp_ge_i64_e64 s4, s[2:3], s[4:5]
	s_and_b32 vcc_lo, exec_lo, s4
	s_cbranch_vccnz .LBB23_44
; %bb.1:
	s_clause 0x1
	s_load_b256 s[4:11], s[0:1], 0x0
	s_load_b256 s[20:27], s[0:1], 0x20
	s_ashr_i32 s0, s14, 31
	s_mul_hi_u32 s1, s14, s2
	s_waitcnt lgkmcnt(0)
	s_mul_i32 s26, s0, s2
	s_mul_i32 s0, s14, s2
	s_add_i32 s1, s1, s26
	v_lshlrev_b32_e32 v29, 6, v0
	s_lshl_b64 s[0:1], s[0:1], 1
	s_mov_b32 s31, -1
	s_delay_alu instid0(SALU_CYCLE_1)
	s_mov_b32 s39, s31
	s_add_u32 s28, s10, s0
	s_addc_u32 s0, s11, s1
	s_add_i32 s1, s13, 1
	s_mul_hi_u32 s11, s15, s2
	s_lshr_b32 s10, s1, 31
	s_and_b32 s29, s0, 0xffff
	s_add_i32 s1, s1, s10
	s_ashr_i32 s10, s15, 31
	s_lshl_b32 s1, s1, 1
	s_mul_i32 s10, s10, s2
	s_and_b32 s30, s1, -4
	s_mul_i32 s0, s15, s2
	s_add_i32 s1, s11, s10
	s_and_b32 s37, s23, 0xffff
	s_lshl_b64 s[0:1], s[0:1], 1
	s_clause 0x3
	buffer_load_b128 v[30:33], v29, s[28:31], 0 offen
	buffer_load_b128 v[34:37], v29, s[28:31], 16 offen
	;; [unrolled: 1-line block ×4, first 2 shown]
	s_add_u32 s28, s20, s0
	s_addc_u32 s0, s21, s1
	s_mov_b32 s36, s22
	s_and_b32 s29, s0, 0xffff
	s_clause 0x3
	buffer_load_b128 v[42:45], v29, s[28:31], 0 offen
	buffer_load_b128 v[46:49], v29, s[28:31], 16 offen
	;; [unrolled: 1-line block ×4, first 2 shown]
	s_mov_b32 s38, s30
	s_ashr_i32 s0, s16, 31
	s_mul_hi_u32 s1, s16, s2
	s_mul_i32 s10, s0, s2
	s_mul_i32 s0, s16, s2
	s_add_i32 s1, s1, s10
	s_delay_alu instid0(SALU_CYCLE_1) | instskip(NEXT) | instid1(SALU_CYCLE_1)
	s_lshl_b64 s[0:1], s[0:1], 1
	s_add_u32 s28, s6, s0
	s_addc_u32 s0, s7, s1
	s_delay_alu instid0(SALU_CYCLE_1)
	s_and_b32 s29, s0, 0xffff
	s_waitcnt vmcnt(6)
	v_cvt_f32_f16_e32 v57, v34
	v_cvt_f32_f16_e32 v50, v30
	v_lshrrev_b32_e32 v30, 16, v30
	v_cvt_f32_f16_e32 v51, v31
	v_lshrrev_b32_e32 v52, 16, v31
	s_waitcnt vmcnt(3)
	v_lshrrev_b32_e32 v31, 16, v42
	v_cvt_f32_f16_e32 v53, v32
	v_cvt_f32_f16_e32 v30, v30
	v_lshrrev_b32_e32 v54, 16, v32
	v_lshrrev_b32_e32 v58, 16, v34
	v_cvt_f32_f16_e32 v31, v31
	v_cvt_f32_f16_e32 v32, v42
	v_lshrrev_b32_e32 v34, 16, v43
	v_cvt_f32_f16_e32 v55, v33
	v_lshrrev_b32_e32 v56, 16, v33
	v_add_f32_e32 v30, v30, v31
	s_clause 0x3
	buffer_load_b128 v[13:16], v29, s[36:39], 0 offen
	buffer_load_b128 v[9:12], v29, s[36:39], 16 offen
	buffer_load_b128 v[5:8], v29, s[36:39], 32 offen
	buffer_load_b128 v[1:4], v29, s[36:39], 48 offen
	v_cvt_f32_f16_e32 v59, v35
	v_lshrrev_b32_e32 v60, 16, v35
	v_cvt_f32_f16_e32 v63, v37
	v_lshrrev_b32_e32 v64, 16, v37
	v_cvt_f32_f16_e32 v33, v43
	v_add_f32_e32 v31, v50, v32
	v_cvt_f32_f16_e32 v43, v40
	v_cvt_f32_f16_e32 v35, v52
	;; [unrolled: 1-line block ×3, first 2 shown]
	v_add_f32_e32 v32, v51, v33
	v_lshrrev_b32_e32 v50, 16, v40
	v_lshrrev_b32_e32 v37, 16, v44
	s_waitcnt vmcnt(6)
	v_lshrrev_b32_e32 v40, 16, v46
	v_cvt_f32_f16_e32 v65, v38
	v_lshrrev_b32_e32 v66, 16, v38
	v_lshrrev_b32_e32 v38, 16, v45
	v_cvt_f32_f16_e32 v37, v37
	v_cvt_f32_f16_e32 v40, v40
	v_add_f32_e32 v33, v35, v34
	v_cvt_f32_f16_e32 v35, v54
	v_dual_mul_f32 v69, v30, v30 :: v_dual_and_b32 v68, 31, v0
	v_cvt_f32_f16_e32 v61, v36
	v_lshrrev_b32_e32 v62, 16, v36
	v_cvt_f32_f16_e32 v67, v39
	v_lshrrev_b32_e32 v42, 16, v39
	v_cvt_f32_f16_e32 v36, v44
	v_add_f32_e32 v35, v35, v37
	v_cvt_f32_f16_e32 v37, v56
	v_cvt_f32_f16_e32 v38, v38
	;; [unrolled: 1-line block ×3, first 2 shown]
	v_dual_fmac_f32 v69, v31, v31 :: v_dual_add_f32 v34, v53, v36
	v_cvt_f32_f16_e32 v36, v45
	v_cvt_f32_f16_e32 v45, v25
	v_lshrrev_b32_e32 v51, 16, v25
	v_cvt_f32_f16_e32 v42, v42
	v_add_f32_e32 v25, v37, v38
	v_cvt_f32_f16_e32 v38, v58
	v_add_f32_e32 v37, v57, v39
	v_cvt_f32_f16_e32 v39, v47
	v_lshrrev_b32_e32 v47, 16, v47
	v_fmac_f32_e32 v69, v32, v32
	v_cvt_f32_f16_e32 v46, v26
	v_lshrrev_b32_e32 v52, 16, v26
	v_add_f32_e32 v26, v38, v40
	v_add_f32_e32 v38, v59, v39
	v_cvt_f32_f16_e32 v40, v60
	v_cvt_f32_f16_e32 v47, v47
	;; [unrolled: 1-line block ×3, first 2 shown]
	v_lshrrev_b32_e32 v48, 16, v48
	v_cvt_f32_f16_e32 v53, v27
	v_lshrrev_b32_e32 v54, 16, v27
	v_cvt_f32_f16_e32 v56, v49
	;; [unrolled: 2-line block ×3, first 2 shown]
	s_waitcnt vmcnt(4)
	v_cvt_f32_f16_e32 v60, v17
	v_add_f32_e32 v27, v40, v47
	v_cvt_f32_f16_e32 v40, v62
	v_dual_fmac_f32 v69, v33, v33 :: v_dual_add_f32 v36, v55, v36
	v_cvt_f32_f16_e32 v47, v28
	v_lshrrev_b32_e32 v55, 16, v28
	s_delay_alu instid0(VALU_DEP_4)
	v_add_f32_e32 v28, v40, v48
	v_cvt_f32_f16_e32 v48, v64
	v_cvt_f32_f16_e32 v49, v49
	v_dual_fmac_f32 v69, v34, v34 :: v_dual_add_f32 v40, v63, v56
	v_cvt_f32_f16_e32 v56, v21
	v_lshrrev_b32_e32 v58, 16, v21
	s_delay_alu instid0(VALU_DEP_4)
	v_add_f32_e32 v21, v48, v49
	v_lshrrev_b32_e32 v49, 16, v22
	v_cvt_f32_f16_e32 v44, v41
	v_lshrrev_b32_e32 v41, 16, v41
	v_cvt_f32_f16_e32 v57, v66
	v_cvt_f32_f16_e32 v48, v22
	v_cvt_f32_f16_e32 v58, v58
	v_lshrrev_b32_e32 v59, 16, v23
	v_cvt_f32_f16_e32 v49, v49
	v_dual_fmac_f32 v69, v35, v35 :: v_dual_add_f32 v22, v65, v56
	v_cvt_f32_f16_e32 v50, v50
	v_cvt_f32_f16_e32 v56, v23
	v_add_f32_e32 v23, v57, v58
	v_cvt_f32_f16_e32 v57, v41
	v_cvt_f32_f16_e32 v58, v24
	v_add_f32_e32 v41, v67, v48
	v_lshrrev_b32_e32 v48, 16, v24
	v_add_f32_e32 v24, v42, v49
	v_cvt_f32_f16_e32 v49, v52
	v_cvt_f32_f16_e32 v52, v59
	v_add_f32_e32 v42, v43, v56
	v_cvt_f32_f16_e32 v56, v18
	v_cvt_f32_f16_e32 v54, v54
	v_lshrrev_b32_e32 v17, 16, v17
	v_add_f32_e32 v43, v50, v52
	v_cvt_f32_f16_e32 v50, v19
	v_fmac_f32_e32 v69, v36, v36
	v_lshrrev_b32_e32 v52, 16, v19
	v_dual_add_f32 v19, v44, v58 :: v_dual_add_f32 v44, v45, v60
	s_delay_alu instid0(VALU_DEP_4) | instskip(NEXT) | instid1(VALU_DEP_3)
	v_dual_add_f32 v45, v46, v56 :: v_dual_add_f32 v46, v53, v50
	v_cvt_f32_f16_e32 v52, v52
	v_fmac_f32_e32 v69, v25, v25
	v_cvt_f32_f16_e32 v48, v48
	v_cvt_f32_f16_e32 v51, v51
	;; [unrolled: 1-line block ×3, first 2 shown]
	s_delay_alu instid0(VALU_DEP_4)
	v_dual_add_f32 v50, v54, v52 :: v_dual_fmac_f32 v69, v37, v37
	v_lshrrev_b32_e32 v59, 16, v20
	v_add_f32_e32 v20, v57, v48
	v_cvt_f32_f16_e32 v17, v17
	v_add_f32_e32 v39, v61, v39
	v_fmac_f32_e32 v69, v26, v26
	v_lshrrev_b32_e32 v18, 16, v18
	v_cvt_f32_f16_e32 v55, v55
	v_add_f32_e32 v48, v51, v17
	v_cvt_f32_f16_e32 v53, v59
	v_fmac_f32_e32 v69, v38, v38
	v_cvt_f32_f16_e32 v18, v18
	v_add_f32_e32 v47, v47, v58
	v_cvt_f16_f32_e32 v17, v31
	v_add_f32_e32 v51, v55, v53
	v_fmac_f32_e32 v69, v27, v27
	v_add_f32_e32 v49, v49, v18
	v_cvt_f16_f32_e32 v52, v30
	v_cvt_f16_f32_e32 v58, v36
	v_cvt_f16_f32_e32 v18, v39
	v_fmac_f32_e32 v69, v39, v39
	v_cvt_f16_f32_e32 v55, v25
	v_pack_b32_f16 v52, v17, v52
	v_cvt_f16_f32_e32 v74, v28
	v_cvt_f16_f32_e32 v56, v32
	v_fmac_f32_e32 v69, v28, v28
	v_pack_b32_f16 v55, v58, v55
	v_cvt_f16_f32_e32 v57, v34
	v_pack_b32_f16 v58, v18, v74
	v_cvt_f16_f32_e32 v60, v37
	v_fmac_f32_e32 v69, v40, v40
	v_cvt_f16_f32_e32 v61, v38
	v_cvt_f16_f32_e32 v59, v40
	v_cvt_f16_f32_e32 v64, v22
	v_cvt_f16_f32_e32 v65, v41
	v_fmac_f32_e32 v69, v21, v21
	v_cvt_f16_f32_e32 v62, v42
	v_cvt_f16_f32_e32 v63, v19
	v_cvt_f16_f32_e32 v70, v44
	;; [unrolled: 5-line block ×6, first 2 shown]
	v_pack_b32_f16 v54, v57, v54
	v_fmac_f32_e32 v69, v42, v42
	v_pack_b32_f16 v53, v56, v53
	v_pack_b32_f16 v59, v59, v75
	v_pack_b32_f16 v57, v61, v73
	v_pack_b32_f16 v56, v60, v72
	v_fmac_f32_e32 v69, v43, v43
	v_pack_b32_f16 v63, v63, v79
	v_pack_b32_f16 v62, v62, v78
	v_pack_b32_f16 v61, v65, v77
	;; [unrolled: 5-line block ×3, first 2 shown]
	v_pack_b32_f16 v64, v70, v81
	v_fmac_f32_e32 v69, v20, v20
	v_cmp_eq_u32_e64 s0, 31, v68
	buffer_store_b128 v[52:55], v29, s[28:31], 0 offen
	;;#ASMSTART
	s_nop 0
	;;#ASMEND
	buffer_store_b128 v[56:59], v29, s[28:31], 16 offen
	v_fmac_f32_e32 v69, v44, v44
	;;#ASMSTART
	s_nop 0
	;;#ASMEND
	buffer_store_b128 v[60:63], v29, s[28:31], 32 offen
	;;#ASMSTART
	s_nop 0
	;;#ASMEND
	buffer_store_b128 v[64:67], v29, s[28:31], 48 offen
	v_fmac_f32_e32 v69, v48, v48
	;;#ASMSTART
	s_nop 0
	;;#ASMEND
	s_delay_alu instid0(VALU_DEP_1) | instskip(NEXT) | instid1(VALU_DEP_1)
	v_fmac_f32_e32 v69, v45, v45
	v_fmac_f32_e32 v69, v49, v49
	s_delay_alu instid0(VALU_DEP_1) | instskip(NEXT) | instid1(VALU_DEP_1)
	v_fmac_f32_e32 v69, v46, v46
	v_fmac_f32_e32 v69, v50, v50
	;; [unrolled: 3-line block ×3, first 2 shown]
	s_delay_alu instid0(VALU_DEP_1) | instskip(NEXT) | instid1(VALU_DEP_1)
	v_mov_b32_dpp v80, v69 quad_perm:[1,0,3,2] row_mask:0xf bank_mask:0xf
	v_add_f32_e32 v69, v69, v80
	s_delay_alu instid0(VALU_DEP_1) | instskip(NEXT) | instid1(VALU_DEP_1)
	v_mov_b32_dpp v17, v69 quad_perm:[2,3,0,1] row_mask:0xf bank_mask:0xf
	v_add_f32_e32 v17, v69, v17
	s_delay_alu instid0(VALU_DEP_1) | instskip(NEXT) | instid1(VALU_DEP_1)
	v_mov_b32_dpp v18, v17 row_xmask:7 row_mask:0xf bank_mask:0xf
	v_add_f32_e32 v17, v17, v18
	s_delay_alu instid0(VALU_DEP_1)
	v_mov_b32_dpp v18, v17 row_xmask:15 row_mask:0xf bank_mask:0xf
	s_and_saveexec_b32 s1, s0
	s_cbranch_execz .LBB23_3
; %bb.2:
	s_delay_alu instid0(VALU_DEP_1) | instskip(SKIP_2) | instid1(VALU_DEP_2)
	v_add_f32_e32 v17, v17, v18
	s_mov_b32 s6, 0x76543210
	v_lshrrev_b32_e32 v18, 3, v0
	v_permlanex16_b32 v29, v17, s6, 0xfedcba98 op_sel:[1,1]
	s_delay_alu instid0(VALU_DEP_1)
	v_dual_add_f32 v17, v17, v29 :: v_dual_and_b32 v18, 0x7c, v18
	ds_store_b32 v18, v17 offset:32
.LBB23_3:
	s_or_b32 exec_lo, exec_lo, s1
	v_and_b32_e32 v17, 7, v0
	s_waitcnt vmcnt(0) lgkmcnt(0)
	s_waitcnt_vscnt null, 0x0
	s_barrier
	buffer_gl0_inv
	v_cvt_f32_f16_e32 v58, v11
	v_lshlrev_b32_e32 v18, 2, v17
	v_lshrrev_b32_e32 v11, 16, v11
	v_cvt_f32_i32_e32 v52, s13
	v_cvt_f32_f16_e32 v59, v12
	v_lshrrev_b32_e32 v12, 16, v12
	ds_load_b32 v17, v18 offset:32
	v_cvt_f32_f16_e32 v11, v11
	v_cvt_f32_f16_e32 v61, v6
	v_lshrrev_b32_e32 v6, 16, v6
	v_cvt_f32_f16_e32 v12, v12
	v_cvt_f32_f16_e32 v63, v8
	v_lshrrev_b32_e32 v8, 16, v8
	;; [unrolled: 3-line block ×3, first 2 shown]
	v_cvt_f32_f16_e32 v60, v5
	v_cvt_f32_f16_e32 v8, v8
	;; [unrolled: 1-line block ×3, first 2 shown]
	v_lshrrev_b32_e32 v10, 16, v10
	v_cvt_f32_f16_e32 v64, v1
	v_lshrrev_b32_e32 v1, 16, v1
	v_cvt_f32_f16_e32 v66, v2
	;; [unrolled: 2-line block ×3, first 2 shown]
	v_lshrrev_b32_e32 v4, 16, v4
	s_waitcnt lgkmcnt(0)
	v_mov_b32_dpp v29, v17 quad_perm:[1,0,3,2] row_mask:0xf bank_mask:0xf
	v_cvt_f32_f16_e32 v7, v7
	v_lshrrev_b32_e32 v5, 16, v5
	v_cvt_f32_f16_e32 v10, v10
	v_cvt_f32_f16_e32 v1, v1
	v_dual_add_f32 v17, v17, v29 :: v_dual_mov_b32 v68, 0x2edbe6ff
	v_cvt_f32_f16_e32 v2, v2
	v_cvt_f32_f16_e32 v4, v4
	;; [unrolled: 1-line block ×3, first 2 shown]
	s_delay_alu instid0(VALU_DEP_4) | instskip(SKIP_1) | instid1(VALU_DEP_1)
	v_mov_b32_dpp v29, v17 quad_perm:[2,3,0,1] row_mask:0xf bank_mask:0xf
	s_cmp_lg_u32 s18, 0
	v_add_f32_e32 v17, v17, v29
	s_delay_alu instid0(VALU_DEP_1) | instskip(NEXT) | instid1(VALU_DEP_1)
	v_mov_b32_dpp v29, v17 row_xmask:7 row_mask:0xf bank_mask:0xf
	v_add_f32_e32 v17, v17, v29
	s_delay_alu instid0(VALU_DEP_1) | instskip(SKIP_1) | instid1(VALU_DEP_2)
	v_div_scale_f32 v29, null, v52, v52, v17
	v_div_scale_f32 v55, vcc_lo, v17, v52, v17
	v_rcp_f32_e32 v53, v29
	s_waitcnt_depctr 0xfff
	v_fma_f32 v54, -v29, v53, 1.0
	s_delay_alu instid0(VALU_DEP_1) | instskip(NEXT) | instid1(VALU_DEP_1)
	v_fmac_f32_e32 v53, v54, v53
	v_mul_f32_e32 v54, v55, v53
	s_delay_alu instid0(VALU_DEP_1) | instskip(NEXT) | instid1(VALU_DEP_1)
	v_fma_f32 v56, -v29, v54, v55
	v_fmac_f32_e32 v54, v56, v53
	v_cvt_f32_f16_e32 v56, v9
	v_lshrrev_b32_e32 v9, 16, v9
	s_delay_alu instid0(VALU_DEP_3) | instskip(SKIP_2) | instid1(VALU_DEP_4)
	v_fma_f32 v29, -v29, v54, v55
	v_cvt_f32_f16_e32 v55, v16
	v_lshrrev_b32_e32 v16, 16, v16
	v_cvt_f32_f16_e32 v9, v9
	s_delay_alu instid0(VALU_DEP_4) | instskip(SKIP_1) | instid1(VALU_DEP_4)
	v_div_fmas_f32 v29, v29, v53, v54
	v_cvt_f32_f16_e32 v54, v15
	v_cvt_f32_f16_e32 v16, v16
	v_lshrrev_b32_e32 v15, 16, v15
	s_delay_alu instid0(VALU_DEP_4) | instskip(NEXT) | instid1(VALU_DEP_2)
	v_div_fixup_f32 v17, v29, v52, v17
	v_cvt_f32_f16_e32 v15, v15
	s_delay_alu instid0(VALU_DEP_2) | instskip(SKIP_1) | instid1(VALU_DEP_2)
	v_cvt_f64_f32_e32 v[52:53], v17
	v_lshlrev_b32_e32 v17, 5, v0
	v_add_f64 v[52:53], v[52:53], s[24:25]
	s_delay_alu instid0(VALU_DEP_1) | instskip(SKIP_4) | instid1(VALU_DEP_3)
	v_cvt_f32_f64_e32 v29, v[52:53]
	v_cvt_f32_f16_e32 v52, v13
	v_lshrrev_b32_e32 v13, 16, v13
	v_cvt_f32_f16_e32 v53, v14
	v_lshrrev_b32_e32 v14, 16, v14
	v_cvt_f32_f16_e32 v13, v13
	s_delay_alu instid0(VALU_DEP_2) | instskip(SKIP_2) | instid1(VALU_DEP_2)
	v_cvt_f32_f16_e32 v14, v14
	v_mul_f32_e32 v65, 0x4b800000, v29
	v_cmp_gt_f32_e32 vcc_lo, 0x800000, v29
	v_cndmask_b32_e32 v29, v29, v65, vcc_lo
	v_cvt_f32_f16_e32 v65, v3
	v_lshrrev_b32_e32 v3, 16, v3
	s_delay_alu instid0(VALU_DEP_3) | instskip(NEXT) | instid1(VALU_DEP_1)
	v_rsq_f32_e32 v29, v29
	v_cvt_f32_f16_e32 v3, v3
	s_waitcnt_depctr 0xfff
	v_mul_f32_e32 v69, 0x45800000, v29
	s_delay_alu instid0(VALU_DEP_1) | instskip(NEXT) | instid1(VALU_DEP_1)
	v_cndmask_b32_e32 v29, v29, v69, vcc_lo
	v_mul_f32_e32 v30, v30, v29
	v_mul_f32_e32 v25, v25, v29
	;; [unrolled: 1-line block ×4, first 2 shown]
	s_delay_alu instid0(VALU_DEP_4) | instskip(NEXT) | instid1(VALU_DEP_4)
	v_mul_f32_e32 v36, v30, v13
	v_mul_f32_e32 v30, v25, v16
	s_delay_alu instid0(VALU_DEP_4)
	v_dual_mul_f32 v16, v78, v6 :: v_dual_mul_f32 v31, v31, v29
	v_mul_f32_e32 v74, v29, v28
	v_mul_f32_e32 v76, v29, v22
	v_dual_mul_f32 v32, v32, v29 :: v_dual_mul_f32 v77, v29, v23
	v_dual_mul_f32 v71, v35, v29 :: v_dual_mul_f32 v40, v29, v40
	;; [unrolled: 1-line block ×3, first 2 shown]
	v_mul_f32_e32 v69, v33, v29
	v_mul_f32_e32 v26, v29, v26
	v_mul_f32_e32 v39, v29, v39
	v_mul_f32_e32 v79, v29, v19
	v_dual_mul_f32 v35, v31, v52 :: v_dual_mul_f32 v50, v29, v50
	v_mul_f32_e32 v19, v76, v60
	v_mul_f32_e32 v37, v29, v37
	v_mul_f32_e32 v38, v29, v38
	v_mul_f32_e32 v73, v29, v27
	v_mul_f32_e32 v6, v50, v3
	v_dual_mul_f32 v48, v29, v48 :: v_dual_mul_f32 v23, v39, v58
	v_mul_f32_e32 v42, v29, v42
	v_dual_mul_f32 v80, v29, v20 :: v_dual_mul_f32 v31, v70, v54
	v_mul_f32_e32 v51, v29, v51
	v_mul_f32_e32 v75, v29, v21
	v_dual_mul_f32 v33, v32, v53 :: v_dual_mul_f32 v32, v71, v15
	v_mul_f32_e32 v49, v29, v49
	v_mul_f32_e32 v28, v26, v9
	;; [unrolled: 1-line block ×3, first 2 shown]
	v_dual_mul_f32 v44, v29, v44 :: v_dual_mul_f32 v25, v38, v57
	v_dual_mul_f32 v46, v29, v46 :: v_dual_mul_f32 v21, v40, v59
	v_mul_f32_e32 v47, v29, v47
	v_mul_f32_e32 v27, v37, v56
	v_dual_mul_f32 v41, v29, v41 :: v_dual_mul_f32 v24, v74, v11
	v_mul_f32_e32 v11, v79, v63
	v_dual_mul_f32 v45, v29, v45 :: v_dual_and_b32 v38, 0x7fffffff, v34
	v_dual_mul_f32 v29, v72, v55 :: v_dual_mul_f32 v26, v73, v10
	v_mul_f32_e32 v9, v44, v64
	v_dual_mul_f32 v10, v48, v1 :: v_dual_and_b32 v1, 0x7fffffff, v35
	v_dual_mul_f32 v13, v42, v62 :: v_dual_and_b32 v40, 0x7fffffff, v32
	v_and_b32_e32 v42, 0x7fffffff, v30
	v_mul_f32_e32 v4, v51, v4
	v_mul_f32_e32 v22, v75, v12
	;; [unrolled: 1-line block ×4, first 2 shown]
	v_and_b32_e32 v2, 0x7fffffff, v36
	;;#ASMSTART
	v_max3_f32 v1, v68, v1, v2

	;;#ASMEND
	v_and_b32_e32 v37, 0x7fffffff, v33
	;;#ASMSTART
	v_max3_f32 v1, v1, v37, v38

	;;#ASMEND
	;; [unrolled: 5-line block ×3, first 2 shown]
	v_dual_mul_f32 v20, v77, v5 :: v_dual_mul_f32 v3, v47, v67
	v_dual_mul_f32 v15, v41, v61 :: v_dual_and_b32 v44, 0x7fffffff, v28
	v_and_b32_e32 v41, 0x7fffffff, v29
	;;#ASMSTART
	v_max3_f32 v1, v1, v41, v42

	;;#ASMEND
	v_mul_f32_e32 v14, v43, v7
	v_and_b32_e32 v43, 0x7fffffff, v27
	;;#ASMSTART
	v_max3_f32 v1, v1, v43, v44

	;;#ASMEND
	v_dual_mul_f32 v7, v45, v66 :: v_dual_and_b32 v48, 0x7fffffff, v24
	v_mul_f32_e32 v5, v46, v65
	v_and_b32_e32 v45, 0x7fffffff, v25
	v_and_b32_e32 v46, 0x7fffffff, v26
	;;#ASMSTART
	v_max3_f32 v1, v1, v45, v46

	;;#ASMEND
	v_and_b32_e32 v47, 0x7fffffff, v23
	;;#ASMSTART
	v_max3_f32 v1, v1, v47, v48

	;;#ASMEND
	v_and_b32_e32 v49, 0x7fffffff, v21
	v_and_b32_e32 v50, 0x7fffffff, v22
	;;#ASMSTART
	v_max3_f32 v1, v1, v49, v50

	;;#ASMEND
	v_and_b32_e32 v51, 0x7fffffff, v19
	;; [unrolled: 6-line block ×8, first 2 shown]
	v_and_b32_e32 v64, 0x7fffffff, v6
	v_and_b32_e32 v65, 0x7fffffff, v3
	;; [unrolled: 1-line block ×3, first 2 shown]
	;;#ASMSTART
	v_max3_f32 v1, v1, v63, v64

	;;#ASMEND
	;;#ASMSTART
	v_max3_f32 v37, v1, v65, v66

	;;#ASMEND
	s_cbranch_scc0 .LBB23_10
; %bb.4:
	s_ashr_i32 s11, s18, 31
	s_delay_alu instid0(SALU_CYCLE_1) | instskip(NEXT) | instid1(SALU_CYCLE_1)
	s_lshr_b32 s1, s11, 27
	s_add_i32 s1, s18, s1
	s_delay_alu instid0(SALU_CYCLE_1) | instskip(NEXT) | instid1(SALU_CYCLE_1)
	s_ashr_i32 s1, s1, 5
	s_cmp_lt_i32 s1, 8
	s_cbranch_scc1 .LBB23_11
; %bb.5:
	s_cmp_lt_i32 s1, 16
	s_cbranch_scc1 .LBB23_12
; %bb.6:
	;; [unrolled: 3-line block ×3, first 2 shown]
	v_mov_b32_e32 v1, v37
	s_cmp_eq_u32 s1, 32
	s_cbranch_scc0 .LBB23_9
; %bb.8:
	s_delay_alu instid0(VALU_DEP_1) | instskip(SKIP_1) | instid1(VALU_DEP_1)
	v_mov_b32_dpp v1, v37 quad_perm:[1,0,3,2] row_mask:0xf bank_mask:0xf
	s_mov_b32 s6, 0x76543210
	v_cmp_gt_f32_e32 vcc_lo, v37, v1
	v_cndmask_b32_e32 v1, v1, v37, vcc_lo
	s_delay_alu instid0(VALU_DEP_1) | instskip(NEXT) | instid1(VALU_DEP_1)
	v_mov_b32_dpp v2, v1 quad_perm:[2,3,0,1] row_mask:0xf bank_mask:0xf
	v_cmp_gt_f32_e32 vcc_lo, v1, v2
	v_cndmask_b32_e32 v1, v2, v1, vcc_lo
	s_delay_alu instid0(VALU_DEP_1) | instskip(NEXT) | instid1(VALU_DEP_1)
	v_mov_b32_dpp v2, v1 row_xmask:7 row_mask:0xf bank_mask:0xf
	v_cmp_gt_f32_e32 vcc_lo, v1, v2
	v_cndmask_b32_e32 v1, v2, v1, vcc_lo
	s_delay_alu instid0(VALU_DEP_1) | instskip(NEXT) | instid1(VALU_DEP_1)
	v_mov_b32_dpp v2, v1 row_xmask:15 row_mask:0xf bank_mask:0xf
	v_cmp_gt_f32_e32 vcc_lo, v1, v2
	v_cndmask_b32_e32 v1, v2, v1, vcc_lo
	s_delay_alu instid0(VALU_DEP_1) | instskip(NEXT) | instid1(VALU_DEP_1)
	v_permlanex16_b32 v2, v1, s6, 0xfedcba98 op_sel:[1,1]
	v_cmp_gt_f32_e32 vcc_lo, v1, v2
	v_cndmask_b32_e32 v1, v2, v1, vcc_lo
.LBB23_9:
	s_mov_b32 s6, 0
	s_branch .LBB23_14
.LBB23_10:
	s_mov_b32 s1, 0
                                        ; implicit-def: $vgpr38
                                        ; implicit-def: $vgpr1_vgpr2
	s_and_b32 vcc_lo, exec_lo, s31
	s_cbranch_vccnz .LBB23_38
	s_branch .LBB23_41
.LBB23_11:
                                        ; implicit-def: $vgpr1
	s_branch .LBB23_21
.LBB23_12:
                                        ; implicit-def: $vgpr1
	s_branch .LBB23_18
.LBB23_13:
	s_mov_b32 s6, -1
                                        ; implicit-def: $vgpr1
.LBB23_14:
	s_delay_alu instid0(SALU_CYCLE_1)
	s_and_not1_b32 vcc_lo, exec_lo, s6
	s_cbranch_vccnz .LBB23_17
; %bb.15:
	v_mov_b32_e32 v1, v37
	s_cmp_eq_u32 s1, 16
	s_cbranch_scc0 .LBB23_17
; %bb.16:
	s_delay_alu instid0(VALU_DEP_1) | instskip(NEXT) | instid1(VALU_DEP_1)
	v_mov_b32_dpp v1, v37 quad_perm:[1,0,3,2] row_mask:0xf bank_mask:0xf
	v_cmp_gt_f32_e32 vcc_lo, v37, v1
	v_cndmask_b32_e32 v1, v1, v37, vcc_lo
	s_delay_alu instid0(VALU_DEP_1) | instskip(NEXT) | instid1(VALU_DEP_1)
	v_mov_b32_dpp v2, v1 quad_perm:[2,3,0,1] row_mask:0xf bank_mask:0xf
	v_cmp_gt_f32_e32 vcc_lo, v1, v2
	v_cndmask_b32_e32 v1, v2, v1, vcc_lo
	s_delay_alu instid0(VALU_DEP_1) | instskip(NEXT) | instid1(VALU_DEP_1)
	v_mov_b32_dpp v2, v1 row_half_mirror row_mask:0xf bank_mask:0xf
	v_cmp_gt_f32_e32 vcc_lo, v1, v2
	v_cndmask_b32_e32 v1, v2, v1, vcc_lo
	s_delay_alu instid0(VALU_DEP_1) | instskip(NEXT) | instid1(VALU_DEP_1)
	v_mov_b32_dpp v2, v1 row_mirror row_mask:0xf bank_mask:0xf
	v_cmp_gt_f32_e32 vcc_lo, v1, v2
	v_cndmask_b32_e32 v1, v2, v1, vcc_lo
.LBB23_17:
	s_cbranch_execnz .LBB23_20
.LBB23_18:
	v_mov_b32_e32 v1, v37
	s_cmp_eq_u32 s1, 8
	s_cbranch_scc0 .LBB23_20
; %bb.19:
	s_delay_alu instid0(VALU_DEP_1) | instskip(NEXT) | instid1(VALU_DEP_1)
	v_mov_b32_dpp v1, v37 quad_perm:[1,0,3,2] row_mask:0xf bank_mask:0xf
	v_cmp_gt_f32_e32 vcc_lo, v37, v1
	v_cndmask_b32_e32 v1, v1, v37, vcc_lo
	s_delay_alu instid0(VALU_DEP_1) | instskip(NEXT) | instid1(VALU_DEP_1)
	v_mov_b32_dpp v2, v1 quad_perm:[2,3,0,1] row_mask:0xf bank_mask:0xf
	v_cmp_gt_f32_e32 vcc_lo, v1, v2
	v_cndmask_b32_e32 v1, v2, v1, vcc_lo
	s_delay_alu instid0(VALU_DEP_1) | instskip(NEXT) | instid1(VALU_DEP_1)
	v_mov_b32_dpp v2, v1 row_half_mirror row_mask:0xf bank_mask:0xf
	v_cmp_gt_f32_e32 vcc_lo, v1, v2
	v_cndmask_b32_e32 v1, v2, v1, vcc_lo
.LBB23_20:
	s_cbranch_execnz .LBB23_28
.LBB23_21:
	s_cmp_lt_i32 s1, 4
	s_cbranch_scc1 .LBB23_24
; %bb.22:
	v_mov_b32_e32 v1, v37
	s_cmp_eq_u32 s1, 4
	s_cbranch_scc0 .LBB23_25
; %bb.23:
	s_delay_alu instid0(VALU_DEP_1) | instskip(NEXT) | instid1(VALU_DEP_1)
	v_mov_b32_dpp v1, v37 quad_perm:[1,0,3,2] row_mask:0xf bank_mask:0xf
	v_cmp_gt_f32_e32 vcc_lo, v37, v1
	v_cndmask_b32_e32 v1, v1, v37, vcc_lo
	s_delay_alu instid0(VALU_DEP_1) | instskip(NEXT) | instid1(VALU_DEP_1)
	v_mov_b32_dpp v2, v1 quad_perm:[2,3,0,1] row_mask:0xf bank_mask:0xf
	v_cmp_gt_f32_e32 vcc_lo, v1, v2
	v_cndmask_b32_e32 v1, v2, v1, vcc_lo
	s_cbranch_execz .LBB23_26
	s_branch .LBB23_28
.LBB23_24:
                                        ; implicit-def: $vgpr1
	s_branch .LBB23_26
.LBB23_25:
	s_cbranch_execnz .LBB23_28
.LBB23_26:
	v_mov_b32_e32 v1, v37
	s_cmp_lg_u32 s1, 2
	s_cbranch_scc1 .LBB23_28
; %bb.27:
	s_delay_alu instid0(VALU_DEP_1) | instskip(NEXT) | instid1(VALU_DEP_1)
	v_mov_b32_dpp v1, v37 quad_perm:[1,0,3,2] row_mask:0xf bank_mask:0xf
	v_cmp_gt_f32_e32 vcc_lo, v37, v1
	v_cndmask_b32_e32 v1, v1, v37, vcc_lo
.LBB23_28:
	v_cvt_f32_u32_e32 v2, s1
	s_sub_i32 s6, 0, s1
	s_mov_b32 s31, 0
	s_delay_alu instid0(VALU_DEP_1) | instskip(SKIP_2) | instid1(VALU_DEP_1)
	v_rcp_iflag_f32_e32 v2, v2
	s_waitcnt_depctr 0xfff
	v_mul_f32_e32 v2, 0x4f7ffffe, v2
	v_cvt_u32_f32_e32 v2, v2
	s_delay_alu instid0(VALU_DEP_1) | instskip(NEXT) | instid1(VALU_DEP_1)
	v_mul_lo_u32 v38, s6, v2
	v_mul_hi_u32 v38, v2, v38
	s_delay_alu instid0(VALU_DEP_1) | instskip(NEXT) | instid1(VALU_DEP_1)
	v_add_nc_u32_e32 v2, v2, v38
	v_mul_hi_u32 v2, v0, v2
	s_delay_alu instid0(VALU_DEP_1) | instskip(NEXT) | instid1(VALU_DEP_1)
	v_mul_lo_u32 v38, v2, s1
	v_sub_nc_u32_e32 v38, v0, v38
	s_delay_alu instid0(VALU_DEP_1) | instskip(SKIP_1) | instid1(VALU_DEP_2)
	v_subrev_nc_u32_e32 v40, s1, v38
	v_cmp_le_u32_e32 vcc_lo, s1, v38
	v_dual_cndmask_b32 v38, v38, v40 :: v_dual_add_nc_u32 v39, 1, v2
	s_delay_alu instid0(VALU_DEP_1) | instskip(NEXT) | instid1(VALU_DEP_2)
	v_cndmask_b32_e32 v2, v2, v39, vcc_lo
	v_cmp_le_u32_e32 vcc_lo, s1, v38
	s_delay_alu instid0(VALU_DEP_2) | instskip(NEXT) | instid1(VALU_DEP_1)
	v_dual_mul_f32 v38, 0x3b124925, v1 :: v_dual_add_nc_u32 v39, 1, v2
	v_cndmask_b32_e32 v39, v2, v39, vcc_lo
	v_cmp_gt_u32_e32 vcc_lo, s13, v17
	s_delay_alu instid0(VALU_DEP_2) | instskip(NEXT) | instid1(VALU_DEP_1)
	v_mul_lo_u32 v2, v39, s1
	v_sub_nc_u32_e32 v2, v0, v2
	s_delay_alu instid0(VALU_DEP_1) | instskip(NEXT) | instid1(VALU_DEP_1)
	v_cmp_eq_u32_e64 s1, 0, v2
                                        ; implicit-def: $vgpr1_vgpr2
	s_and_b32 s6, s1, vcc_lo
	s_mov_b32 s1, 0
	s_and_saveexec_b32 s7, s6
	s_delay_alu instid0(SALU_CYCLE_1)
	s_xor_b32 s16, exec_lo, s7
	s_cbranch_execz .LBB23_37
; %bb.29:
	s_bitcmp0_b32 s19, 0
	s_mov_b32 s10, 0
	s_cbranch_scc0 .LBB23_34
; %bb.30:
	s_ashr_i32 s1, s13, 31
	s_mul_hi_u32 s7, s13, s2
	s_mul_i32 s1, s1, s2
	s_mul_i32 s6, s13, s2
	s_add_i32 s7, s7, s1
	s_mov_b32 s19, s11
	s_delay_alu instid0(SALU_CYCLE_1) | instskip(NEXT) | instid1(SALU_CYCLE_1)
	s_or_b64 s[14:15], s[6:7], s[18:19]
	s_mov_b32 s11, s15
	s_delay_alu instid0(SALU_CYCLE_1)
	s_cmp_lg_u64 s[10:11], 0
	s_cbranch_scc0 .LBB23_45
; %bb.31:
	s_add_u32 s14, s18, s19
	s_mov_b32 s10, s19
	s_mov_b32 s11, s19
	s_addc_u32 s15, s19, s19
	s_delay_alu instid0(SALU_CYCLE_1) | instskip(NEXT) | instid1(SALU_CYCLE_1)
	s_xor_b64 s[14:15], s[14:15], s[10:11]
	v_cvt_f32_u32_e32 v1, s14
	v_cvt_f32_u32_e32 v2, s15
	s_sub_u32 s20, 0, s14
	s_subb_u32 s21, 0, s15
	s_delay_alu instid0(VALU_DEP_1) | instskip(NEXT) | instid1(VALU_DEP_1)
	v_fmamk_f32 v1, v2, 0x4f800000, v1
	v_rcp_f32_e32 v1, v1
	s_waitcnt_depctr 0xfff
	v_mul_f32_e32 v1, 0x5f7ffffc, v1
	s_delay_alu instid0(VALU_DEP_1) | instskip(NEXT) | instid1(VALU_DEP_1)
	v_mul_f32_e32 v2, 0x2f800000, v1
	v_trunc_f32_e32 v2, v2
	s_delay_alu instid0(VALU_DEP_1) | instskip(SKIP_1) | instid1(VALU_DEP_2)
	v_fmamk_f32 v1, v2, 0xcf800000, v1
	v_cvt_u32_f32_e32 v2, v2
	v_cvt_u32_f32_e32 v1, v1
	s_delay_alu instid0(VALU_DEP_2) | instskip(NEXT) | instid1(VALU_DEP_2)
	v_readfirstlane_b32 s1, v2
	v_readfirstlane_b32 s19, v1
	s_delay_alu instid0(VALU_DEP_2) | instskip(NEXT) | instid1(VALU_DEP_1)
	s_mul_i32 s22, s20, s1
	s_mul_hi_u32 s24, s20, s19
	s_mul_i32 s23, s21, s19
	s_add_i32 s22, s24, s22
	s_mul_i32 s25, s20, s19
	s_add_i32 s22, s22, s23
	s_mul_hi_u32 s24, s19, s25
	s_mul_hi_u32 s26, s1, s25
	s_mul_i32 s23, s1, s25
	s_mul_hi_u32 s25, s19, s22
	s_mul_i32 s19, s19, s22
	s_mul_hi_u32 s27, s1, s22
	s_add_u32 s19, s24, s19
	s_addc_u32 s24, 0, s25
	s_add_u32 s19, s19, s23
	s_mul_i32 s22, s1, s22
	s_addc_u32 s19, s24, s26
	s_addc_u32 s23, s27, 0
	s_add_u32 s19, s19, s22
	s_addc_u32 s22, 0, s23
	v_add_co_u32 v1, s19, v1, s19
	s_delay_alu instid0(VALU_DEP_1) | instskip(SKIP_1) | instid1(VALU_DEP_1)
	s_cmp_lg_u32 s19, 0
	s_addc_u32 s1, s1, s22
	v_readfirstlane_b32 s19, v1
	s_mul_i32 s22, s20, s1
	s_delay_alu instid0(VALU_DEP_1)
	s_mul_hi_u32 s23, s20, s19
	s_mul_i32 s21, s21, s19
	s_add_i32 s22, s23, s22
	s_mul_i32 s20, s20, s19
	s_add_i32 s22, s22, s21
	s_mul_hi_u32 s23, s1, s20
	s_mul_i32 s24, s1, s20
	s_mul_hi_u32 s20, s19, s20
	s_mul_hi_u32 s25, s19, s22
	s_mul_i32 s19, s19, s22
	s_mul_hi_u32 s21, s1, s22
	s_add_u32 s19, s20, s19
	s_addc_u32 s20, 0, s25
	s_add_u32 s19, s19, s24
	s_mul_i32 s22, s1, s22
	s_addc_u32 s19, s20, s23
	s_addc_u32 s20, s21, 0
	s_add_u32 s19, s19, s22
	s_addc_u32 s20, 0, s20
	v_add_co_u32 v1, s19, v1, s19
	s_delay_alu instid0(VALU_DEP_1) | instskip(SKIP_2) | instid1(SALU_CYCLE_1)
	s_cmp_lg_u32 s19, 0
	s_addc_u32 s1, s1, s20
	s_ashr_i32 s20, s7, 31
	s_add_u32 s22, s6, s20
	s_addc_u32 s23, s7, s20
	v_readfirstlane_b32 s7, v1
	s_mov_b32 s21, s20
	s_delay_alu instid0(SALU_CYCLE_1) | instskip(NEXT) | instid1(SALU_CYCLE_1)
	s_xor_b64 s[22:23], s[22:23], s[20:21]
	s_mul_i32 s24, s22, s1
	s_delay_alu instid0(VALU_DEP_1)
	s_mul_hi_u32 s25, s22, s7
	s_mul_hi_u32 s19, s22, s1
	;; [unrolled: 1-line block ×3, first 2 shown]
	s_mul_i32 s7, s23, s7
	s_add_u32 s24, s25, s24
	s_addc_u32 s19, 0, s19
	s_mul_hi_u32 s26, s23, s1
	s_add_u32 s7, s24, s7
	s_mul_i32 s1, s23, s1
	s_addc_u32 s7, s19, s27
	s_addc_u32 s19, s26, 0
	s_add_u32 s7, s7, s1
	s_addc_u32 s19, 0, s19
	s_mul_i32 s26, s14, s7
	s_mul_hi_u32 s1, s14, s7
	s_mul_i32 s25, s14, s19
	v_sub_co_u32 v1, s22, s22, s26
	s_mul_i32 s24, s15, s7
	s_add_i32 s1, s1, s25
	s_delay_alu instid0(SALU_CYCLE_1) | instskip(NEXT) | instid1(VALU_DEP_1)
	s_add_i32 s1, s1, s24
	v_sub_co_u32 v2, s25, v1, s14
	s_sub_i32 s24, s23, s1
	s_cmp_lg_u32 s22, 0
	s_subb_u32 s24, s24, s15
	s_cmp_lg_u32 s25, 0
	v_cmp_le_u32_e32 vcc_lo, s14, v2
	s_subb_u32 s24, s24, 0
	s_delay_alu instid0(SALU_CYCLE_1)
	s_cmp_ge_u32 s24, s15
	v_cndmask_b32_e64 v2, 0, -1, vcc_lo
	s_cselect_b32 s25, -1, 0
	s_cmp_eq_u32 s24, s15
	s_cselect_b32 vcc_lo, -1, 0
	s_add_u32 s24, s7, 1
	v_cndmask_b32_e32 v2, s25, v2, vcc_lo
	s_addc_u32 s25, s19, 0
	s_add_u32 s26, s7, 2
	s_addc_u32 s27, s19, 0
	s_cmp_lg_u32 s22, 0
	v_cmp_le_u32_e32 vcc_lo, s14, v1
	s_subb_u32 s1, s23, s1
	v_mov_b32_e32 v40, s26
	s_cmp_ge_u32 s1, s15
	v_cndmask_b32_e64 v1, 0, -1, vcc_lo
	s_cselect_b32 s14, -1, 0
	s_cmp_eq_u32 s1, s15
	v_cmp_ne_u32_e32 vcc_lo, 0, v2
	v_mov_b32_e32 v2, s27
	s_cselect_b32 s1, -1, 0
	s_xor_b64 s[10:11], s[20:21], s[10:11]
	v_cndmask_b32_e64 v1, s14, v1, s1
	v_cndmask_b32_e32 v40, s24, v40, vcc_lo
	v_cndmask_b32_e32 v2, s25, v2, vcc_lo
	s_delay_alu instid0(VALU_DEP_3) | instskip(NEXT) | instid1(VALU_DEP_2)
	v_cmp_ne_u32_e32 vcc_lo, 0, v1
	v_cndmask_b32_e32 v1, s19, v2, vcc_lo
	s_delay_alu instid0(VALU_DEP_4) | instskip(NEXT) | instid1(VALU_DEP_2)
	v_cndmask_b32_e32 v2, s7, v40, vcc_lo
	v_xor_b32_e32 v40, s11, v1
	s_delay_alu instid0(VALU_DEP_2) | instskip(NEXT) | instid1(VALU_DEP_1)
	v_xor_b32_e32 v2, s10, v2
	v_sub_co_u32 v1, vcc_lo, v2, s10
	s_delay_alu instid0(VALU_DEP_3)
	v_subrev_co_ci_u32_e32 v2, vcc_lo, s11, v40, vcc_lo
	s_cbranch_execnz .LBB23_33
.LBB23_32:
	v_cvt_f32_u32_e32 v1, s18
	s_sub_i32 s7, 0, s18
	s_delay_alu instid0(VALU_DEP_1) | instskip(SKIP_2) | instid1(VALU_DEP_1)
	v_rcp_iflag_f32_e32 v1, v1
	s_waitcnt_depctr 0xfff
	v_mul_f32_e32 v1, 0x4f7ffffe, v1
	v_cvt_u32_f32_e32 v1, v1
	s_delay_alu instid0(VALU_DEP_1) | instskip(NEXT) | instid1(VALU_DEP_1)
	v_readfirstlane_b32 s1, v1
	s_mul_i32 s7, s7, s1
	s_delay_alu instid0(SALU_CYCLE_1) | instskip(NEXT) | instid1(SALU_CYCLE_1)
	s_mul_hi_u32 s7, s1, s7
	s_add_i32 s1, s1, s7
	s_delay_alu instid0(SALU_CYCLE_1) | instskip(NEXT) | instid1(SALU_CYCLE_1)
	s_mul_hi_u32 s1, s6, s1
	s_mul_i32 s7, s1, s18
	s_delay_alu instid0(SALU_CYCLE_1)
	s_sub_i32 s6, s6, s7
	s_add_i32 s7, s1, 1
	s_sub_i32 s10, s6, s18
	s_cmp_ge_u32 s6, s18
	s_cselect_b32 s1, s7, s1
	s_cselect_b32 s6, s10, s6
	s_add_i32 s10, s1, 1
	s_cmp_ge_u32 s6, s18
	s_mov_b32 s7, 0
	s_cselect_b32 s6, s10, s1
	s_delay_alu instid0(SALU_CYCLE_1)
	v_dual_mov_b32 v1, s6 :: v_dual_mov_b32 v2, s7
.LBB23_33:
	s_delay_alu instid0(VALU_DEP_1) | instskip(NEXT) | instid1(VALU_DEP_2)
	v_add_co_u32 v1, vcc_lo, v1, v39
	v_add_co_ci_u32_e32 v2, vcc_lo, 0, v2, vcc_lo
	s_branch .LBB23_36
.LBB23_34:
                                        ; implicit-def: $vgpr1_vgpr2
	s_cbranch_execz .LBB23_36
; %bb.35:
	v_mul_lo_u32 v1, v39, s12
	s_delay_alu instid0(VALU_DEP_1) | instskip(SKIP_1) | instid1(VALU_DEP_2)
	v_ashrrev_i32_e32 v2, 31, v1
	v_add_co_u32 v1, vcc_lo, v1, s2
	v_add_co_ci_u32_e32 v2, vcc_lo, 0, v2, vcc_lo
.LBB23_36:
	s_mov_b32 s1, exec_lo
.LBB23_37:
	s_or_b32 exec_lo, exec_lo, s16
	s_delay_alu instid0(SALU_CYCLE_1)
	s_and_b32 vcc_lo, exec_lo, s31
	s_cbranch_vccz .LBB23_41
.LBB23_38:
	v_mov_b32_dpp v1, v37 quad_perm:[1,0,3,2] row_mask:0xf bank_mask:0xf
	s_delay_alu instid0(VALU_DEP_1) | instskip(SKIP_1) | instid1(VALU_DEP_1)
	v_cmp_gt_f32_e32 vcc_lo, v37, v1
	v_cndmask_b32_e32 v1, v1, v37, vcc_lo
	v_mov_b32_dpp v2, v1 quad_perm:[2,3,0,1] row_mask:0xf bank_mask:0xf
	s_delay_alu instid0(VALU_DEP_1) | instskip(SKIP_1) | instid1(VALU_DEP_1)
	v_cmp_gt_f32_e32 vcc_lo, v1, v2
	v_cndmask_b32_e32 v1, v2, v1, vcc_lo
	v_mov_b32_dpp v2, v1 row_xmask:7 row_mask:0xf bank_mask:0xf
	s_delay_alu instid0(VALU_DEP_1) | instskip(SKIP_1) | instid1(VALU_DEP_1)
	v_cmp_gt_f32_e32 vcc_lo, v1, v2
	v_cndmask_b32_e32 v1, v2, v1, vcc_lo
	v_mov_b32_dpp v2, v1 row_xmask:15 row_mask:0xf bank_mask:0xf
	s_delay_alu instid0(VALU_DEP_1)
	v_cmp_gt_f32_e32 vcc_lo, v1, v2
	s_and_saveexec_b32 s1, s0
	s_cbranch_execz .LBB23_40
; %bb.39:
	v_cndmask_b32_e32 v1, v2, v1, vcc_lo
	v_lshrrev_b32_e32 v2, 3, v0
	s_mov_b32 s0, 0x76543210
	s_delay_alu instid0(VALU_DEP_1) | instskip(NEXT) | instid1(VALU_DEP_3)
	v_and_b32_e32 v2, 0x7c, v2
	v_permlanex16_b32 v37, v1, s0, 0xfedcba98 op_sel:[1,1]
	s_delay_alu instid0(VALU_DEP_1)
	v_cmp_gt_f32_e32 vcc_lo, v1, v37
	v_cndmask_b32_e32 v1, v37, v1, vcc_lo
	ds_store_b32 v2, v1
.LBB23_40:
	s_or_b32 exec_lo, exec_lo, s1
	s_waitcnt lgkmcnt(0)
	s_barrier
	buffer_gl0_inv
	ds_load_b32 v1, v18
	v_cmp_eq_u32_e64 s1, 0, v0
	s_waitcnt lgkmcnt(0)
	v_mov_b32_dpp v2, v1 quad_perm:[1,0,3,2] row_mask:0xf bank_mask:0xf
	s_delay_alu instid0(VALU_DEP_1) | instskip(SKIP_1) | instid1(VALU_DEP_1)
	v_cmp_gt_f32_e32 vcc_lo, v1, v2
	v_cndmask_b32_e32 v1, v2, v1, vcc_lo
	v_mov_b32_dpp v2, v1 quad_perm:[2,3,0,1] row_mask:0xf bank_mask:0xf
	s_delay_alu instid0(VALU_DEP_1) | instskip(SKIP_1) | instid1(VALU_DEP_1)
	v_cmp_gt_f32_e32 vcc_lo, v1, v2
	v_cndmask_b32_e32 v1, v2, v1, vcc_lo
	v_mov_b32_dpp v2, v1 row_xmask:7 row_mask:0xf bank_mask:0xf
	s_delay_alu instid0(VALU_DEP_1) | instskip(SKIP_1) | instid1(VALU_DEP_1)
	v_cmp_gt_f32_e32 vcc_lo, v1, v2
	v_cndmask_b32_e32 v1, v2, v1, vcc_lo
	v_dual_mul_f32 v38, 0x3b124925, v1 :: v_dual_mov_b32 v1, s2
	v_mov_b32_e32 v2, s3
.LBB23_41:
	s_and_saveexec_b32 s0, s1
	s_cbranch_execz .LBB23_43
; %bb.42:
	s_delay_alu instid0(VALU_DEP_1) | instskip(NEXT) | instid1(VALU_DEP_1)
	v_lshlrev_b64 v[0:1], 2, v[1:2]
	v_add_co_u32 v0, vcc_lo, s8, v0
	s_delay_alu instid0(VALU_DEP_2)
	v_add_co_ci_u32_e32 v1, vcc_lo, s9, v1, vcc_lo
	global_store_b32 v[0:1], v38, off
.LBB23_43:
	s_or_b32 exec_lo, exec_lo, s0
	;;#ASMSTART
	v_rcp_f32 v2, v38
	;;#ASMEND
	v_dual_mul_f32 v0, v2, v35 :: v_dual_mov_b32 v35, 0x43e00000
	v_dual_mul_f32 v1, v2, v36 :: v_dual_mov_b32 v18, 0xc3e00000
	v_mul_f32_e32 v33, v2, v33
	v_mul_f32_e32 v34, v2, v34
	;;#ASMSTART
	v_med3_f32 v0, v0, v18, v35
v_med3_f32 v1, v1, v18, v35
v_cvt_pk_fp8_f32 v36, v0, v1
	;;#ASMEND
	s_add_i32 s0, s13, 3
	;;#ASMSTART
	v_med3_f32 v33, v33, v18, v35
v_med3_f32 v34, v34, v18, v35
v_cvt_pk_fp8_f32 v0, v33, v34
	;;#ASMEND
	v_perm_b32 v1, v0, v36, 0x5040100
	s_ashr_i32 s3, s0, 31
	s_ashr_i32 s1, s17, 31
	s_lshr_b32 s3, s3, 30
	v_mul_f32_e32 v31, v2, v31
	v_mul_f32_e32 v32, v2, v32
	;; [unrolled: 1-line block ×4, first 2 shown]
	v_perm_b32 v29, v1, v0, 0x1060504
	;;#ASMSTART
	v_med3_f32 v31, v31, v18, v35
v_med3_f32 v32, v32, v18, v35
v_cvt_pk_fp8_f32 v0, v31, v32
	;;#ASMEND
	;;#ASMSTART
	v_med3_f32 v33, v33, v18, v35
v_med3_f32 v30, v30, v18, v35
v_cvt_pk_fp8_f32 v1, v33, v30
	;;#ASMEND
	s_mul_hi_u32 s6, s17, s2
	s_add_i32 s0, s0, s3
	s_mul_i32 s1, s1, s2
	v_perm_b32 v30, v0, v1, 0x1000504
	v_mul_f32_e32 v0, v2, v27
	v_mul_f32_e32 v1, v2, v28
	s_mul_i32 s7, s17, s2
	v_mul_f32_e32 v25, v2, v25
	v_mul_f32_e32 v26, v2, v26
	;;#ASMSTART
	v_med3_f32 v0, v0, v18, v35
v_med3_f32 v1, v1, v18, v35
v_cvt_pk_fp8_f32 v27, v0, v1
	;;#ASMEND
	s_and_b32 s2, s0, -4
	s_add_i32 s6, s6, s1
	v_mul_f32_e32 v23, v2, v23
	v_mul_f32_e32 v24, v2, v24
	;; [unrolled: 1-line block ×4, first 2 shown]
	;;#ASMSTART
	v_med3_f32 v25, v25, v18, v35
v_med3_f32 v26, v26, v18, v35
v_cvt_pk_fp8_f32 v0, v25, v26
	;;#ASMEND
	s_add_u32 s0, s4, s7
	v_perm_b32 v31, v27, v0, 0x1000504
	;;#ASMSTART
	v_med3_f32 v23, v23, v18, v35
v_med3_f32 v24, v24, v18, v35
v_cvt_pk_fp8_f32 v0, v23, v24
	;;#ASMEND
	;;#ASMSTART
	v_med3_f32 v21, v21, v18, v35
v_med3_f32 v22, v22, v18, v35
v_cvt_pk_fp8_f32 v1, v21, v22
	;;#ASMEND
	v_perm_b32 v32, v0, v1, 0x1000504
	s_addc_u32 s1, s5, s6
	s_mov_b32 s3, -1
	s_and_b32 s1, s1, 0xffff
	v_mul_f32_e32 v0, v2, v19
	v_mul_f32_e32 v1, v2, v20
	;; [unrolled: 1-line block ×4, first 2 shown]
	buffer_store_b128 v[29:32], v17, s[0:3], 0 offen
	;;#ASMSTART
	s_nop 0
	;;#ASMEND
	;;#ASMSTART
	v_med3_f32 v0, v0, v18, v35
v_med3_f32 v1, v1, v18, v35
v_cvt_pk_fp8_f32 v19, v0, v1
	;;#ASMEND
	;;#ASMSTART
	v_med3_f32 v15, v15, v18, v35
v_med3_f32 v16, v16, v18, v35
v_cvt_pk_fp8_f32 v0, v15, v16
	;;#ASMEND
	v_perm_b32 v1, v0, v19, 0x5040100
	v_mul_f32_e32 v13, v2, v13
	v_mul_f32_e32 v14, v2, v14
	;; [unrolled: 1-line block ×4, first 2 shown]
	v_perm_b32 v0, v1, v0, 0x1060504
	;;#ASMSTART
	v_med3_f32 v13, v13, v18, v35
v_med3_f32 v14, v14, v18, v35
v_cvt_pk_fp8_f32 v1, v13, v14
	;;#ASMEND
	v_mul_f32_e32 v9, v2, v9
	v_mul_f32_e32 v10, v2, v10
	;;#ASMSTART
	v_med3_f32 v11, v11, v18, v35
v_med3_f32 v12, v12, v18, v35
v_cvt_pk_fp8_f32 v13, v11, v12
	;;#ASMEND
	v_mul_f32_e32 v7, v2, v7
	v_mul_f32_e32 v8, v2, v8
	;; [unrolled: 1-line block ×6, first 2 shown]
	;;#ASMSTART
	v_med3_f32 v9, v9, v18, v35
v_med3_f32 v10, v10, v18, v35
v_cvt_pk_fp8_f32 v2, v9, v10
	;;#ASMEND
	;;#ASMSTART
	v_med3_f32 v7, v7, v18, v35
v_med3_f32 v8, v8, v18, v35
v_cvt_pk_fp8_f32 v9, v7, v8
	;;#ASMEND
	;; [unrolled: 5-line block ×4, first 2 shown]
	v_perm_b32 v1, v1, v13, 0x1000504
	v_perm_b32 v2, v2, v9, 0x1000504
	;; [unrolled: 1-line block ×3, first 2 shown]
	buffer_store_b128 v[0:3], v17, s[0:3], 16 offen
	;;#ASMSTART
	s_nop 0
	;;#ASMEND
.LBB23_44:
	s_nop 0
	s_sendmsg sendmsg(MSG_DEALLOC_VGPRS)
	s_endpgm
.LBB23_45:
                                        ; implicit-def: $vgpr1_vgpr2
	s_branch .LBB23_32
	.section	.rodata,"a",@progbits
	.p2align	6, 0x0
	.amdhsa_kernel _ZN5aiter24add_rmsnorm_quant_kernelIDF16_DB8_Li256ELi32ELb1ELb1ELb0ELi1EEEvPT0_PT_PfS5_S5_S5_diiiiiiib
		.amdhsa_group_segment_fixed_size 64
		.amdhsa_private_segment_fixed_size 0
		.amdhsa_kernarg_size 88
		.amdhsa_user_sgpr_count 15
		.amdhsa_user_sgpr_dispatch_ptr 0
		.amdhsa_user_sgpr_queue_ptr 0
		.amdhsa_user_sgpr_kernarg_segment_ptr 1
		.amdhsa_user_sgpr_dispatch_id 0
		.amdhsa_user_sgpr_private_segment_size 0
		.amdhsa_wavefront_size32 1
		.amdhsa_uses_dynamic_stack 0
		.amdhsa_enable_private_segment 0
		.amdhsa_system_sgpr_workgroup_id_x 1
		.amdhsa_system_sgpr_workgroup_id_y 0
		.amdhsa_system_sgpr_workgroup_id_z 0
		.amdhsa_system_sgpr_workgroup_info 0
		.amdhsa_system_vgpr_workitem_id 0
		.amdhsa_next_free_vgpr 85
		.amdhsa_next_free_sgpr 40
		.amdhsa_reserve_vcc 1
		.amdhsa_float_round_mode_32 0
		.amdhsa_float_round_mode_16_64 0
		.amdhsa_float_denorm_mode_32 3
		.amdhsa_float_denorm_mode_16_64 3
		.amdhsa_dx10_clamp 1
		.amdhsa_ieee_mode 1
		.amdhsa_fp16_overflow 0
		.amdhsa_workgroup_processor_mode 1
		.amdhsa_memory_ordered 1
		.amdhsa_forward_progress 0
		.amdhsa_shared_vgpr_count 0
		.amdhsa_exception_fp_ieee_invalid_op 0
		.amdhsa_exception_fp_denorm_src 0
		.amdhsa_exception_fp_ieee_div_zero 0
		.amdhsa_exception_fp_ieee_overflow 0
		.amdhsa_exception_fp_ieee_underflow 0
		.amdhsa_exception_fp_ieee_inexact 0
		.amdhsa_exception_int_div_zero 0
	.end_amdhsa_kernel
	.section	.text._ZN5aiter24add_rmsnorm_quant_kernelIDF16_DB8_Li256ELi32ELb1ELb1ELb0ELi1EEEvPT0_PT_PfS5_S5_S5_diiiiiiib,"axG",@progbits,_ZN5aiter24add_rmsnorm_quant_kernelIDF16_DB8_Li256ELi32ELb1ELb1ELb0ELi1EEEvPT0_PT_PfS5_S5_S5_diiiiiiib,comdat
.Lfunc_end23:
	.size	_ZN5aiter24add_rmsnorm_quant_kernelIDF16_DB8_Li256ELi32ELb1ELb1ELb0ELi1EEEvPT0_PT_PfS5_S5_S5_diiiiiiib, .Lfunc_end23-_ZN5aiter24add_rmsnorm_quant_kernelIDF16_DB8_Li256ELi32ELb1ELb1ELb0ELi1EEEvPT0_PT_PfS5_S5_S5_diiiiiiib
                                        ; -- End function
	.section	.AMDGPU.csdata,"",@progbits
; Kernel info:
; codeLenInByte = 6156
; NumSgprs: 42
; NumVgprs: 85
; ScratchSize: 0
; MemoryBound: 0
; FloatMode: 240
; IeeeMode: 1
; LDSByteSize: 64 bytes/workgroup (compile time only)
; SGPRBlocks: 5
; VGPRBlocks: 10
; NumSGPRsForWavesPerEU: 42
; NumVGPRsForWavesPerEU: 85
; Occupancy: 16
; WaveLimiterHint : 0
; COMPUTE_PGM_RSRC2:SCRATCH_EN: 0
; COMPUTE_PGM_RSRC2:USER_SGPR: 15
; COMPUTE_PGM_RSRC2:TRAP_HANDLER: 0
; COMPUTE_PGM_RSRC2:TGID_X_EN: 1
; COMPUTE_PGM_RSRC2:TGID_Y_EN: 0
; COMPUTE_PGM_RSRC2:TGID_Z_EN: 0
; COMPUTE_PGM_RSRC2:TIDIG_COMP_CNT: 0
	.section	.text._ZN5aiter24add_rmsnorm_quant_kernelItDB8_Li256ELi32ELb1ELb1ELb0ELi1EEEvPT0_PT_PfS5_S5_S5_diiiiiiib,"axG",@progbits,_ZN5aiter24add_rmsnorm_quant_kernelItDB8_Li256ELi32ELb1ELb1ELb0ELi1EEEvPT0_PT_PfS5_S5_S5_diiiiiiib,comdat
	.protected	_ZN5aiter24add_rmsnorm_quant_kernelItDB8_Li256ELi32ELb1ELb1ELb0ELi1EEEvPT0_PT_PfS5_S5_S5_diiiiiiib ; -- Begin function _ZN5aiter24add_rmsnorm_quant_kernelItDB8_Li256ELi32ELb1ELb1ELb0ELi1EEEvPT0_PT_PfS5_S5_S5_diiiiiiib
	.globl	_ZN5aiter24add_rmsnorm_quant_kernelItDB8_Li256ELi32ELb1ELb1ELb0ELi1EEEvPT0_PT_PfS5_S5_S5_diiiiiiib
	.p2align	8
	.type	_ZN5aiter24add_rmsnorm_quant_kernelItDB8_Li256ELi32ELb1ELb1ELb0ELi1EEEvPT0_PT_PfS5_S5_S5_diiiiiiib,@function
_ZN5aiter24add_rmsnorm_quant_kernelItDB8_Li256ELi32ELb1ELb1ELb0ELi1EEEvPT0_PT_PfS5_S5_S5_diiiiiiib: ; @_ZN5aiter24add_rmsnorm_quant_kernelItDB8_Li256ELi32ELb1ELb1ELb0ELi1EEEvPT0_PT_PfS5_S5_S5_diiiiiiib
; %bb.0:
	s_mov_b32 s2, s15
	s_load_b256 s[12:19], s[0:1], 0x38
	s_mov_b32 s3, 0
	s_waitcnt lgkmcnt(0)
	s_ashr_i32 s5, s12, 31
	s_mov_b32 s4, s12
	s_delay_alu instid0(SALU_CYCLE_1) | instskip(NEXT) | instid1(VALU_DEP_1)
	v_cmp_ge_i64_e64 s4, s[2:3], s[4:5]
	s_and_b32 vcc_lo, exec_lo, s4
	s_cbranch_vccnz .LBB24_44
; %bb.1:
	s_load_b256 s[4:11], s[0:1], 0x0
	s_ashr_i32 s20, s14, 31
	s_mul_hi_u32 s21, s14, s2
	s_mul_i32 s22, s20, s2
	s_mul_i32 s20, s14, s2
	s_add_i32 s21, s21, s22
	v_lshlrev_b32_e32 v21, 6, v0
	s_lshl_b64 s[20:21], s[20:21], 1
	s_mov_b32 s31, -1
	s_delay_alu instid0(SALU_CYCLE_1)
	s_mov_b32 s39, s31
	s_waitcnt lgkmcnt(0)
	s_add_u32 s28, s10, s20
	s_addc_u32 s10, s11, s21
	s_load_b256 s[20:27], s[0:1], 0x20
	s_add_i32 s11, s13, 1
	s_ashr_i32 s0, s15, 31
	s_lshr_b32 s14, s11, 31
	s_and_b32 s29, s10, 0xffff
	s_add_i32 s11, s11, s14
	s_mul_hi_u32 s1, s15, s2
	s_mul_i32 s10, s0, s2
	s_lshl_b32 s11, s11, 1
	s_mul_i32 s0, s15, s2
	s_add_i32 s1, s1, s10
	s_and_b32 s30, s11, -4
	s_lshl_b64 s[0:1], s[0:1], 1
	s_clause 0x3
	buffer_load_b128 v[22:25], v21, s[28:31], 0 offen
	buffer_load_b128 v[26:29], v21, s[28:31], 16 offen
	;; [unrolled: 1-line block ×4, first 2 shown]
	s_mov_b32 s38, s30
	s_waitcnt lgkmcnt(0)
	s_and_b32 s37, s23, 0xffff
	s_add_u32 s28, s20, s0
	s_addc_u32 s0, s21, s1
	s_mov_b32 s36, s22
	s_and_b32 s29, s0, 0xffff
	s_clause 0x3
	buffer_load_b128 v[38:41], v21, s[28:31], 0 offen
	buffer_load_b128 v[42:45], v21, s[28:31], 16 offen
	;; [unrolled: 1-line block ×4, first 2 shown]
	s_ashr_i32 s0, s16, 31
	s_mul_hi_u32 s1, s16, s2
	s_mul_i32 s10, s0, s2
	s_mul_i32 s0, s16, s2
	s_add_i32 s1, s1, s10
	s_delay_alu instid0(SALU_CYCLE_1) | instskip(NEXT) | instid1(SALU_CYCLE_1)
	s_lshl_b64 s[0:1], s[0:1], 1
	s_add_u32 s28, s6, s0
	s_addc_u32 s0, s7, s1
	s_delay_alu instid0(SALU_CYCLE_1)
	s_and_b32 s29, s0, 0xffff
	s_waitcnt vmcnt(7)
	v_lshrrev_b32_e32 v50, 16, v22
	v_lshrrev_b32_e32 v52, 16, v24
	s_waitcnt vmcnt(5)
	v_lshrrev_b32_e32 v66, 16, v31
	v_and_b32_e32 v67, 0xffff, v31
	s_waitcnt vmcnt(4)
	v_lshrrev_b32_e32 v72, 16, v34
	v_and_b32_e32 v73, 0xffff, v34
	v_lshrrev_b32_e32 v60, 16, v28
	v_and_b32_e32 v22, 0xffff, v22
	v_lshrrev_b32_e32 v51, 16, v23
	v_lshrrev_b32_e32 v54, 16, v25
	s_waitcnt vmcnt(3)
	v_and_b32_e32 v31, 0xffff, v41
	s_waitcnt vmcnt(2)
	v_and_b32_e32 v34, 0xffff, v43
	v_lshrrev_b32_e32 v58, 16, v27
	v_and_b32_e32 v59, 0xffff, v27
	v_lshrrev_b32_e32 v78, 16, v37
	v_cvt_f32_u32_e32 v31, v31
	v_and_b32_e32 v53, 0xffff, v24
	v_lshrrev_b32_e32 v24, 16, v38
	v_cvt_f32_u32_e32 v34, v34
	v_and_b32_e32 v61, 0xffff, v28
	v_and_b32_e32 v28, 0xffff, v39
	v_cvt_f32_u32_e32 v27, v22
	v_cvt_f32_u32_e32 v24, v24
	v_lshrrev_b32_e32 v56, 16, v26
	v_lshrrev_b32_e32 v62, 16, v29
	v_cvt_f32_u32_e32 v28, v28
	v_and_b32_e32 v55, 0xffff, v25
	v_cvt_f32_u32_e32 v25, v50
	v_and_b32_e32 v23, 0xffff, v23
	v_and_b32_e32 v50, 0xffff, v37
	;; [unrolled: 1-line block ×3, first 2 shown]
	v_lshrrev_b32_e32 v68, 16, v32
	v_add_f32_e32 v22, v25, v24
	v_cvt_f32_u32_e32 v24, v23
	v_lshrrev_b32_e32 v25, 16, v39
	v_cvt_f32_u32_e32 v37, v37
	v_and_b32_e32 v57, 0xffff, v26
	v_and_b32_e32 v69, 0xffff, v32
	v_add_f32_e32 v24, v24, v28
	v_and_b32_e32 v26, 0xffff, v38
	v_cvt_f32_u32_e32 v25, v25
	v_cvt_f32_u32_e32 v28, v53
	v_and_b32_e32 v38, 0xffff, v45
	v_lshrrev_b32_e32 v32, 16, v41
	v_cvt_f32_u32_e32 v26, v26
	s_waitcnt vmcnt(1)
	v_and_b32_e32 v41, 0xffff, v46
	v_lshrrev_b32_e32 v64, 16, v30
	v_cvt_f32_u32_e32 v38, v38
	v_and_b32_e32 v63, 0xffff, v29
	v_add_f32_e32 v23, v27, v26
	v_cvt_f32_u32_e32 v50, v50
	v_and_b32_e32 v27, 0xffff, v40
	v_cvt_f32_u32_e32 v26, v51
	v_lshrrev_b32_e32 v29, 16, v40
	v_cvt_f32_u32_e32 v41, v41
	v_and_b32_e32 v65, 0xffff, v30
	v_cvt_f32_u32_e32 v27, v27
	v_add_f32_e32 v25, v26, v25
	v_cvt_f32_u32_e32 v30, v52
	v_cvt_f32_u32_e32 v29, v29
	v_lshrrev_b32_e32 v70, 16, v33
	v_add_f32_e32 v26, v28, v27
	s_clause 0x3
	buffer_load_b128 v[13:16], v21, s[36:39], 0 offen
	buffer_load_b128 v[9:12], v21, s[36:39], 16 offen
	;; [unrolled: 1-line block ×4, first 2 shown]
	v_cvt_f32_u32_e32 v28, v55
	v_dual_add_f32 v27, v30, v29 :: v_dual_and_b32 v30, 0xffff, v42
	v_cvt_f32_u32_e32 v29, v54
	v_cvt_f32_u32_e32 v32, v32
	s_delay_alu instid0(VALU_DEP_4)
	v_add_f32_e32 v28, v28, v31
	v_cvt_f32_u32_e32 v31, v57
	v_cvt_f32_u32_e32 v30, v30
	v_lshrrev_b32_e32 v39, 16, v45
	v_cvt_f32_u32_e32 v45, v69
	v_and_b32_e32 v71, 0xffff, v33
	v_lshrrev_b32_e32 v33, 16, v42
	s_waitcnt vmcnt(4)
	v_and_b32_e32 v51, 0xffff, v18
	v_lshrrev_b32_e32 v52, 16, v19
	v_lshrrev_b32_e32 v74, 16, v35
	;; [unrolled: 1-line block ×3, first 2 shown]
	v_mul_f32_e32 v79, v22, v22
	v_add_f32_e32 v29, v29, v32
	v_cvt_f32_u32_e32 v32, v56
	v_cvt_f32_u32_e32 v33, v33
	v_add_f32_e32 v30, v31, v30
	v_cvt_f32_u32_e32 v51, v51
	v_and_b32_e32 v77, 0xffff, v36
	v_lshrrev_b32_e32 v36, 16, v43
	v_cvt_f32_u32_e32 v52, v52
	v_and_b32_e32 v75, 0xffff, v35
	v_cvt_f32_u32_e32 v35, v59
	v_fmac_f32_e32 v79, v23, v23
	v_add_f32_e32 v31, v32, v33
	v_cvt_f32_u32_e32 v33, v58
	v_cvt_f32_u32_e32 v36, v36
	v_add_f32_e32 v32, v35, v34
	v_cvt_f32_u32_e32 v34, v61
	v_lshrrev_b32_e32 v35, 16, v44
	v_fmac_f32_e32 v79, v24, v24
	v_add_f32_e32 v33, v33, v36
	v_cvt_f32_u32_e32 v36, v60
	v_add_f32_e32 v34, v34, v37
	v_cvt_f32_u32_e32 v35, v35
	v_cvt_f32_u32_e32 v37, v63
	;; [unrolled: 1-line block ×4, first 2 shown]
	v_lshrrev_b32_e32 v42, 16, v46
	v_fmac_f32_e32 v79, v25, v25
	v_dual_add_f32 v35, v36, v35 :: v_dual_add_f32 v36, v37, v38
	v_cvt_f32_u32_e32 v38, v65
	v_add_f32_e32 v37, v40, v39
	v_and_b32_e32 v40, 0xffff, v47
	v_cvt_f32_u32_e32 v39, v64
	v_cvt_f32_u32_e32 v42, v42
	v_lshrrev_b32_e32 v43, 16, v47
	v_and_b32_e32 v44, 0xffff, v48
	v_add_f32_e32 v38, v38, v41
	v_cvt_f32_u32_e32 v41, v67
	v_cvt_f32_u32_e32 v40, v40
	v_add_f32_e32 v39, v39, v42
	v_cvt_f32_u32_e32 v42, v66
	v_cvt_f32_u32_e32 v43, v43
	v_lshrrev_b32_e32 v46, 16, v48
	v_cvt_f32_u32_e32 v44, v44
	v_and_b32_e32 v47, 0xffff, v49
	v_dual_fmac_f32 v79, v26, v26 :: v_dual_and_b32 v48, 0xffff, v17
	v_dual_add_f32 v40, v41, v40 :: v_dual_add_f32 v41, v42, v43
	v_cvt_f32_u32_e32 v43, v68
	v_cvt_f32_u32_e32 v46, v46
	v_add_f32_e32 v42, v45, v44
	v_cvt_f32_u32_e32 v44, v71
	v_lshrrev_b32_e32 v45, 16, v49
	v_cvt_f32_u32_e32 v47, v47
	v_lshrrev_b32_e32 v17, 16, v17
	v_add_f32_e32 v43, v43, v46
	v_cvt_f32_u32_e32 v46, v70
	v_cvt_f32_u32_e32 v45, v45
	v_add_f32_e32 v44, v44, v47
	v_cvt_f32_u32_e32 v47, v73
	v_cvt_f32_u32_e32 v48, v48
	v_cvt_f32_u32_e32 v49, v72
	v_cvt_f32_u32_e32 v17, v17
	v_lshrrev_b32_e32 v18, 16, v18
	v_fmac_f32_e32 v79, v27, v27
	v_dual_add_f32 v45, v46, v45 :: v_dual_add_f32 v46, v47, v48
	s_delay_alu instid0(VALU_DEP_4)
	v_add_f32_e32 v47, v49, v17
	v_cvt_f32_u32_e32 v17, v74
	v_cvt_f32_u32_e32 v18, v18
	v_and_b32_e32 v49, 0xffff, v19
	v_and_b32_e32 v68, 31, v0
	v_cvt_f32_u32_e32 v48, v75
	v_perm_b32 v55, v29, v28, 0x7060302
	v_dual_add_f32 v19, v17, v18 :: v_dual_and_b32 v18, 0xffff, v20
	v_fmac_f32_e32 v79, v28, v28
	s_delay_alu instid0(VALU_DEP_4)
	v_add_f32_e32 v48, v48, v51
	v_cvt_f32_u32_e32 v51, v77
	v_cvt_f32_u32_e32 v49, v49
	;; [unrolled: 1-line block ×3, first 2 shown]
	v_fmac_f32_e32 v79, v29, v29
	v_cvt_f32_u32_e32 v18, v18
	v_perm_b32 v54, v27, v26, 0x7060302
	v_add_f32_e32 v49, v51, v49
	v_lshrrev_b32_e32 v51, 16, v20
	v_dual_fmac_f32 v79, v30, v30 :: v_dual_add_f32 v20, v17, v52
	v_cvt_f32_u32_e32 v17, v78
	v_add_f32_e32 v50, v50, v18
	s_delay_alu instid0(VALU_DEP_4) | instskip(NEXT) | instid1(VALU_DEP_4)
	v_cvt_f32_u32_e32 v51, v51
	v_fmac_f32_e32 v79, v31, v31
	v_perm_b32 v53, v25, v24, 0x7060302
	v_perm_b32 v52, v22, v23, 0x7060302
	;; [unrolled: 1-line block ×3, first 2 shown]
	v_add_f32_e32 v51, v17, v51
	v_fmac_f32_e32 v79, v32, v32
	v_perm_b32 v58, v35, v34, 0x7060302
	v_perm_b32 v57, v33, v32, 0x7060302
	;; [unrolled: 1-line block ×4, first 2 shown]
	v_fmac_f32_e32 v79, v33, v33
	v_perm_b32 v62, v43, v42, 0x7060302
	v_perm_b32 v61, v41, v40, 0x7060302
	;; [unrolled: 1-line block ×4, first 2 shown]
	v_fmac_f32_e32 v79, v34, v34
	v_perm_b32 v66, v20, v49, 0x7060302
	v_perm_b32 v65, v19, v48, 0x7060302
	;; [unrolled: 1-line block ×3, first 2 shown]
	v_cmp_eq_u32_e64 s0, 31, v68
	v_fmac_f32_e32 v79, v35, v35
	buffer_store_b128 v[52:55], v21, s[28:31], 0 offen
	;;#ASMSTART
	s_nop 0
	;;#ASMEND
	buffer_store_b128 v[56:59], v21, s[28:31], 16 offen
	;;#ASMSTART
	s_nop 0
	;;#ASMEND
	v_fmac_f32_e32 v79, v36, v36
	buffer_store_b128 v[60:63], v21, s[28:31], 32 offen
	;;#ASMSTART
	s_nop 0
	;;#ASMEND
	buffer_store_b128 v[64:67], v21, s[28:31], 48 offen
	;;#ASMSTART
	s_nop 0
	;;#ASMEND
	v_fmac_f32_e32 v79, v37, v37
	s_delay_alu instid0(VALU_DEP_1) | instskip(NEXT) | instid1(VALU_DEP_1)
	v_fmac_f32_e32 v79, v38, v38
	v_fmac_f32_e32 v79, v39, v39
	s_delay_alu instid0(VALU_DEP_1) | instskip(NEXT) | instid1(VALU_DEP_1)
	v_fmac_f32_e32 v79, v40, v40
	;; [unrolled: 3-line block ×8, first 2 shown]
	v_fmac_f32_e32 v79, v51, v51
	s_delay_alu instid0(VALU_DEP_1) | instskip(NEXT) | instid1(VALU_DEP_1)
	v_mov_b32_dpp v17, v79 quad_perm:[1,0,3,2] row_mask:0xf bank_mask:0xf
	v_add_f32_e32 v17, v79, v17
	s_delay_alu instid0(VALU_DEP_1) | instskip(NEXT) | instid1(VALU_DEP_1)
	v_mov_b32_dpp v18, v17 quad_perm:[2,3,0,1] row_mask:0xf bank_mask:0xf
	v_add_f32_e32 v17, v17, v18
	s_delay_alu instid0(VALU_DEP_1) | instskip(NEXT) | instid1(VALU_DEP_1)
	v_mov_b32_dpp v18, v17 row_xmask:7 row_mask:0xf bank_mask:0xf
	v_add_f32_e32 v17, v17, v18
	s_delay_alu instid0(VALU_DEP_1)
	v_mov_b32_dpp v18, v17 row_xmask:15 row_mask:0xf bank_mask:0xf
	s_and_saveexec_b32 s1, s0
	s_cbranch_execz .LBB24_3
; %bb.2:
	s_delay_alu instid0(VALU_DEP_1) | instskip(SKIP_2) | instid1(VALU_DEP_2)
	v_add_f32_e32 v17, v17, v18
	s_mov_b32 s6, 0x76543210
	v_lshrrev_b32_e32 v18, 3, v0
	v_permlanex16_b32 v21, v17, s6, 0xfedcba98 op_sel:[1,1]
	s_delay_alu instid0(VALU_DEP_1)
	v_dual_add_f32 v17, v17, v21 :: v_dual_and_b32 v18, 0x7c, v18
	ds_store_b32 v18, v17 offset:32
.LBB24_3:
	s_or_b32 exec_lo, exec_lo, s1
	v_and_b32_e32 v17, 7, v0
	s_waitcnt vmcnt(0) lgkmcnt(0)
	s_waitcnt_vscnt null, 0x0
	s_barrier
	buffer_gl0_inv
	v_cvt_f32_i32_e32 v52, s13
	v_lshlrev_b32_e32 v18, 2, v17
	s_cmp_lg_u32 s18, 0
	v_and_b32_e32 v58, 0xffff, v11
	v_lshrrev_b32_e32 v11, 16, v11
	v_and_b32_e32 v62, 0xffff, v7
	ds_load_b32 v17, v18 offset:32
	v_lshrrev_b32_e32 v7, 16, v7
	v_cvt_f32_u32_e32 v58, v58
	v_cvt_f32_u32_e32 v11, v11
	;; [unrolled: 1-line block ×3, first 2 shown]
	v_and_b32_e32 v66, 0xffff, v3
	v_cvt_f32_u32_e32 v7, v7
	v_lshrrev_b32_e32 v3, 16, v3
	s_delay_alu instid0(VALU_DEP_3) | instskip(NEXT) | instid1(VALU_DEP_2)
	v_cvt_f32_u32_e32 v66, v66
	v_cvt_f32_u32_e32 v3, v3
	s_waitcnt lgkmcnt(0)
	v_mov_b32_dpp v21, v17 quad_perm:[1,0,3,2] row_mask:0xf bank_mask:0xf
	s_delay_alu instid0(VALU_DEP_1) | instskip(NEXT) | instid1(VALU_DEP_1)
	v_add_f32_e32 v17, v17, v21
	v_mov_b32_dpp v21, v17 quad_perm:[2,3,0,1] row_mask:0xf bank_mask:0xf
	s_delay_alu instid0(VALU_DEP_1) | instskip(NEXT) | instid1(VALU_DEP_1)
	v_add_f32_e32 v17, v17, v21
	v_mov_b32_dpp v21, v17 row_xmask:7 row_mask:0xf bank_mask:0xf
	s_delay_alu instid0(VALU_DEP_1) | instskip(NEXT) | instid1(VALU_DEP_1)
	v_add_f32_e32 v17, v17, v21
	v_div_scale_f32 v21, null, v52, v52, v17
	v_div_scale_f32 v55, vcc_lo, v17, v52, v17
	s_delay_alu instid0(VALU_DEP_2) | instskip(SKIP_2) | instid1(VALU_DEP_1)
	v_rcp_f32_e32 v53, v21
	s_waitcnt_depctr 0xfff
	v_fma_f32 v54, -v21, v53, 1.0
	v_fmac_f32_e32 v53, v54, v53
	s_delay_alu instid0(VALU_DEP_1) | instskip(NEXT) | instid1(VALU_DEP_1)
	v_mul_f32_e32 v54, v55, v53
	v_fma_f32 v56, -v21, v54, v55
	s_delay_alu instid0(VALU_DEP_1) | instskip(NEXT) | instid1(VALU_DEP_1)
	v_fmac_f32_e32 v54, v56, v53
	v_fma_f32 v21, -v21, v54, v55
	s_delay_alu instid0(VALU_DEP_1) | instskip(SKIP_2) | instid1(VALU_DEP_3)
	v_div_fmas_f32 v21, v21, v53, v54
	v_and_b32_e32 v54, 0xffff, v14
	v_lshrrev_b32_e32 v14, 16, v14
	v_div_fixup_f32 v17, v21, v52, v17
	s_delay_alu instid0(VALU_DEP_3) | instskip(NEXT) | instid1(VALU_DEP_3)
	v_cvt_f32_u32_e32 v54, v54
	v_cvt_f32_u32_e32 v14, v14
	s_delay_alu instid0(VALU_DEP_3) | instskip(SKIP_1) | instid1(VALU_DEP_2)
	v_cvt_f64_f32_e32 v[52:53], v17
	v_lshlrev_b32_e32 v17, 5, v0
	v_add_f64 v[52:53], v[52:53], s[24:25]
	s_delay_alu instid0(VALU_DEP_1) | instskip(NEXT) | instid1(VALU_DEP_1)
	v_cvt_f32_f64_e32 v52, v[52:53]
	v_mul_f32_e32 v69, 0x4b800000, v52
	v_cmp_gt_f32_e32 vcc_lo, 0x800000, v52
	v_and_b32_e32 v53, 0xffff, v15
	v_lshrrev_b32_e32 v15, 16, v15
	s_delay_alu instid0(VALU_DEP_4) | instskip(NEXT) | instid1(VALU_DEP_3)
	v_cndmask_b32_e32 v52, v52, v69, vcc_lo
	v_cvt_f32_u32_e32 v53, v53
	s_delay_alu instid0(VALU_DEP_3) | instskip(NEXT) | instid1(VALU_DEP_3)
	v_cvt_f32_u32_e32 v15, v15
	v_rsq_f32_e32 v52, v52
	s_waitcnt_depctr 0xfff
	v_mul_f32_e32 v69, 0x45800000, v52
	v_and_b32_e32 v55, 0xffff, v16
	v_lshrrev_b32_e32 v16, 16, v16
	s_delay_alu instid0(VALU_DEP_3)
	v_cndmask_b32_e32 v52, v52, v69, vcc_lo
	v_and_b32_e32 v21, 0xffff, v13
	v_lshrrev_b32_e32 v13, 16, v13
	v_and_b32_e32 v56, 0xffff, v9
	v_lshrrev_b32_e32 v9, 16, v9
	v_mul_f32_e32 v23, v23, v52
	v_dual_mul_f32 v24, v24, v52 :: v_dual_and_b32 v57, 0xffff, v10
	v_lshrrev_b32_e32 v10, 16, v10
	v_dual_mul_f32 v25, v25, v52 :: v_dual_and_b32 v60, 0xffff, v5
	v_dual_mul_f32 v26, v26, v52 :: v_dual_and_b32 v61, 0xffff, v6
	v_lshrrev_b32_e32 v6, 16, v6
	v_lshrrev_b32_e32 v5, 16, v5
	v_cvt_f32_u32_e32 v13, v13
	v_mul_f32_e32 v22, v22, v52
	v_dual_mul_f32 v70, v52, v30 :: v_dual_and_b32 v59, 0xffff, v12
	v_lshrrev_b32_e32 v12, 16, v12
	v_dual_mul_f32 v27, v27, v52 :: v_dual_and_b32 v64, 0xffff, v1
	v_dual_mul_f32 v74, v52, v34 :: v_dual_and_b32 v63, 0xffff, v8
	v_lshrrev_b32_e32 v1, 16, v1
	v_dual_mul_f32 v28, v52, v28 :: v_dual_and_b32 v65, 0xffff, v2
	v_lshrrev_b32_e32 v2, 16, v2
	v_dual_mov_b32 v68, 0x2edbe6ff :: v_dual_mul_f32 v69, v29, v52
	v_cvt_f32_u32_e32 v21, v21
	v_cvt_f32_u32_e32 v55, v55
	;; [unrolled: 1-line block ×6, first 2 shown]
	v_mul_f32_e32 v71, v52, v31
	v_dual_mul_f32 v73, v52, v33 :: v_dual_mul_f32 v34, v25, v14
	v_mul_f32_e32 v41, v52, v41
	v_lshrrev_b32_e32 v8, 16, v8
	v_dual_mul_f32 v38, v52, v38 :: v_dual_and_b32 v67, 0xffff, v4
	v_cvt_f32_u32_e32 v60, v60
	v_cvt_f32_u32_e32 v5, v5
	v_dual_mul_f32 v76, v52, v36 :: v_dual_mul_f32 v31, v26, v53
	v_dual_mul_f32 v36, v22, v13 :: v_dual_mul_f32 v39, v52, v39
	v_cvt_f32_u32_e32 v12, v12
	v_mul_f32_e32 v72, v52, v32
	v_dual_mul_f32 v37, v52, v37 :: v_dual_mul_f32 v32, v27, v15
	v_mul_f32_e32 v43, v52, v43
	v_cvt_f32_u32_e32 v56, v56
	v_cvt_f32_u32_e32 v1, v1
	s_delay_alu instid0(VALU_DEP_4)
	v_mul_f32_e32 v22, v37, v12
	v_cvt_f32_u32_e32 v2, v2
	v_dual_mul_f32 v75, v52, v35 :: v_dual_mul_f32 v30, v69, v16
	v_dual_mul_f32 v35, v23, v21 :: v_dual_mul_f32 v26, v73, v10
	;; [unrolled: 1-line block ×4, first 2 shown]
	v_mul_f32_e32 v47, v52, v47
	v_cvt_f32_u32_e32 v57, v57
	v_cvt_f32_u32_e32 v61, v61
	;; [unrolled: 1-line block ×3, first 2 shown]
	v_dual_mul_f32 v40, v52, v40 :: v_dual_mul_f32 v23, v74, v58
	v_mul_f32_e32 v45, v52, v45
	v_cvt_f32_u32_e32 v63, v63
	v_cvt_f32_u32_e32 v67, v67
	v_mul_f32_e32 v42, v52, v42
	v_mul_f32_e32 v44, v52, v44
	v_dual_mul_f32 v50, v52, v50 :: v_dual_mul_f32 v19, v38, v60
	v_mul_f32_e32 v78, v52, v20
	v_dual_mul_f32 v20, v39, v5 :: v_dual_mul_f32 v33, v24, v54
	v_mul_f32_e32 v10, v47, v1
	v_lshrrev_b32_e32 v4, 16, v4
	v_cvt_f32_u32_e32 v59, v59
	v_cvt_f32_u32_e32 v65, v65
	v_dual_mul_f32 v49, v52, v49 :: v_dual_mul_f32 v14, v43, v7
	v_mul_f32_e32 v48, v52, v48
	v_cvt_f32_u32_e32 v64, v64
	v_dual_mul_f32 v46, v52, v46 :: v_dual_mul_f32 v27, v70, v56
	v_and_b32_e32 v1, 0x7fffffff, v35
	v_dual_mul_f32 v25, v72, v57 :: v_dual_mul_f32 v6, v78, v3
	v_mul_f32_e32 v24, v75, v11
	v_dual_mul_f32 v51, v52, v51 :: v_dual_mul_f32 v12, v45, v8
	v_dual_mul_f32 v15, v40, v61 :: v_dual_mul_f32 v8, v77, v2
	v_and_b32_e32 v2, 0x7fffffff, v36
	;;#ASMSTART
	v_max3_f32 v1, v68, v1, v2

	;;#ASMEND
	v_mul_f32_e32 v13, v42, v62
	v_dual_mul_f32 v11, v44, v63 :: v_dual_and_b32 v38, 0x7fffffff, v34
	v_and_b32_e32 v37, 0x7fffffff, v33
	;;#ASMSTART
	v_max3_f32 v1, v1, v37, v38

	;;#ASMEND
	v_cvt_f32_u32_e32 v4, v4
	v_mul_f32_e32 v21, v76, v59
	v_mul_f32_e32 v5, v49, v66
	v_dual_mul_f32 v7, v48, v65 :: v_dual_and_b32 v40, 0x7fffffff, v32
	v_and_b32_e32 v39, 0x7fffffff, v31
	;;#ASMSTART
	v_max3_f32 v1, v1, v39, v40

	;;#ASMEND
	v_dual_mul_f32 v9, v46, v64 :: v_dual_and_b32 v42, 0x7fffffff, v30
	v_and_b32_e32 v41, 0x7fffffff, v29
	;;#ASMSTART
	v_max3_f32 v1, v1, v41, v42

	;;#ASMEND
	v_and_b32_e32 v43, 0x7fffffff, v27
	v_and_b32_e32 v44, 0x7fffffff, v28
	;;#ASMSTART
	v_max3_f32 v1, v1, v43, v44

	;;#ASMEND
	v_and_b32_e32 v45, 0x7fffffff, v25
	;; [unrolled: 6-line block ×3, first 2 shown]
	v_and_b32_e32 v48, 0x7fffffff, v24
	;;#ASMSTART
	v_max3_f32 v1, v1, v47, v48

	;;#ASMEND
	v_dual_mul_f32 v3, v50, v67 :: v_dual_mul_f32 v4, v51, v4
	v_and_b32_e32 v49, 0x7fffffff, v21
	v_and_b32_e32 v50, 0x7fffffff, v22
	;;#ASMSTART
	v_max3_f32 v1, v1, v49, v50

	;;#ASMEND
	v_and_b32_e32 v51, 0x7fffffff, v19
	v_and_b32_e32 v52, 0x7fffffff, v20
	;;#ASMSTART
	v_max3_f32 v1, v1, v51, v52

	;;#ASMEND
	;; [unrolled: 6-line block ×7, first 2 shown]
	v_and_b32_e32 v63, 0x7fffffff, v5
	v_and_b32_e32 v64, 0x7fffffff, v6
	;; [unrolled: 1-line block ×4, first 2 shown]
	;;#ASMSTART
	v_max3_f32 v1, v1, v63, v64

	;;#ASMEND
	;;#ASMSTART
	v_max3_f32 v37, v1, v65, v66

	;;#ASMEND
	s_cbranch_scc0 .LBB24_10
; %bb.4:
	s_ashr_i32 s11, s18, 31
	s_delay_alu instid0(SALU_CYCLE_1) | instskip(NEXT) | instid1(SALU_CYCLE_1)
	s_lshr_b32 s1, s11, 27
	s_add_i32 s1, s18, s1
	s_delay_alu instid0(SALU_CYCLE_1) | instskip(NEXT) | instid1(SALU_CYCLE_1)
	s_ashr_i32 s1, s1, 5
	s_cmp_lt_i32 s1, 8
	s_cbranch_scc1 .LBB24_11
; %bb.5:
	s_cmp_lt_i32 s1, 16
	s_cbranch_scc1 .LBB24_12
; %bb.6:
	;; [unrolled: 3-line block ×3, first 2 shown]
	v_mov_b32_e32 v1, v37
	s_cmp_eq_u32 s1, 32
	s_cbranch_scc0 .LBB24_9
; %bb.8:
	s_delay_alu instid0(VALU_DEP_1) | instskip(SKIP_1) | instid1(VALU_DEP_1)
	v_mov_b32_dpp v1, v37 quad_perm:[1,0,3,2] row_mask:0xf bank_mask:0xf
	s_mov_b32 s6, 0x76543210
	v_cmp_gt_f32_e32 vcc_lo, v37, v1
	v_cndmask_b32_e32 v1, v1, v37, vcc_lo
	s_delay_alu instid0(VALU_DEP_1) | instskip(NEXT) | instid1(VALU_DEP_1)
	v_mov_b32_dpp v2, v1 quad_perm:[2,3,0,1] row_mask:0xf bank_mask:0xf
	v_cmp_gt_f32_e32 vcc_lo, v1, v2
	v_cndmask_b32_e32 v1, v2, v1, vcc_lo
	s_delay_alu instid0(VALU_DEP_1) | instskip(NEXT) | instid1(VALU_DEP_1)
	v_mov_b32_dpp v2, v1 row_xmask:7 row_mask:0xf bank_mask:0xf
	v_cmp_gt_f32_e32 vcc_lo, v1, v2
	v_cndmask_b32_e32 v1, v2, v1, vcc_lo
	s_delay_alu instid0(VALU_DEP_1) | instskip(NEXT) | instid1(VALU_DEP_1)
	v_mov_b32_dpp v2, v1 row_xmask:15 row_mask:0xf bank_mask:0xf
	v_cmp_gt_f32_e32 vcc_lo, v1, v2
	v_cndmask_b32_e32 v1, v2, v1, vcc_lo
	s_delay_alu instid0(VALU_DEP_1) | instskip(NEXT) | instid1(VALU_DEP_1)
	v_permlanex16_b32 v2, v1, s6, 0xfedcba98 op_sel:[1,1]
	v_cmp_gt_f32_e32 vcc_lo, v1, v2
	v_cndmask_b32_e32 v1, v2, v1, vcc_lo
.LBB24_9:
	s_mov_b32 s6, 0
	s_branch .LBB24_14
.LBB24_10:
	s_mov_b32 s1, 0
                                        ; implicit-def: $vgpr38
                                        ; implicit-def: $vgpr1_vgpr2
	s_and_b32 vcc_lo, exec_lo, s31
	s_cbranch_vccnz .LBB24_38
	s_branch .LBB24_41
.LBB24_11:
                                        ; implicit-def: $vgpr1
	s_branch .LBB24_21
.LBB24_12:
                                        ; implicit-def: $vgpr1
	s_branch .LBB24_18
.LBB24_13:
	s_mov_b32 s6, -1
                                        ; implicit-def: $vgpr1
.LBB24_14:
	s_delay_alu instid0(SALU_CYCLE_1)
	s_and_not1_b32 vcc_lo, exec_lo, s6
	s_cbranch_vccnz .LBB24_17
; %bb.15:
	v_mov_b32_e32 v1, v37
	s_cmp_eq_u32 s1, 16
	s_cbranch_scc0 .LBB24_17
; %bb.16:
	s_delay_alu instid0(VALU_DEP_1) | instskip(NEXT) | instid1(VALU_DEP_1)
	v_mov_b32_dpp v1, v37 quad_perm:[1,0,3,2] row_mask:0xf bank_mask:0xf
	v_cmp_gt_f32_e32 vcc_lo, v37, v1
	v_cndmask_b32_e32 v1, v1, v37, vcc_lo
	s_delay_alu instid0(VALU_DEP_1) | instskip(NEXT) | instid1(VALU_DEP_1)
	v_mov_b32_dpp v2, v1 quad_perm:[2,3,0,1] row_mask:0xf bank_mask:0xf
	v_cmp_gt_f32_e32 vcc_lo, v1, v2
	v_cndmask_b32_e32 v1, v2, v1, vcc_lo
	s_delay_alu instid0(VALU_DEP_1) | instskip(NEXT) | instid1(VALU_DEP_1)
	v_mov_b32_dpp v2, v1 row_half_mirror row_mask:0xf bank_mask:0xf
	v_cmp_gt_f32_e32 vcc_lo, v1, v2
	v_cndmask_b32_e32 v1, v2, v1, vcc_lo
	s_delay_alu instid0(VALU_DEP_1) | instskip(NEXT) | instid1(VALU_DEP_1)
	v_mov_b32_dpp v2, v1 row_mirror row_mask:0xf bank_mask:0xf
	v_cmp_gt_f32_e32 vcc_lo, v1, v2
	v_cndmask_b32_e32 v1, v2, v1, vcc_lo
.LBB24_17:
	s_cbranch_execnz .LBB24_20
.LBB24_18:
	v_mov_b32_e32 v1, v37
	s_cmp_eq_u32 s1, 8
	s_cbranch_scc0 .LBB24_20
; %bb.19:
	s_delay_alu instid0(VALU_DEP_1) | instskip(NEXT) | instid1(VALU_DEP_1)
	v_mov_b32_dpp v1, v37 quad_perm:[1,0,3,2] row_mask:0xf bank_mask:0xf
	v_cmp_gt_f32_e32 vcc_lo, v37, v1
	v_cndmask_b32_e32 v1, v1, v37, vcc_lo
	s_delay_alu instid0(VALU_DEP_1) | instskip(NEXT) | instid1(VALU_DEP_1)
	v_mov_b32_dpp v2, v1 quad_perm:[2,3,0,1] row_mask:0xf bank_mask:0xf
	v_cmp_gt_f32_e32 vcc_lo, v1, v2
	v_cndmask_b32_e32 v1, v2, v1, vcc_lo
	s_delay_alu instid0(VALU_DEP_1) | instskip(NEXT) | instid1(VALU_DEP_1)
	v_mov_b32_dpp v2, v1 row_half_mirror row_mask:0xf bank_mask:0xf
	v_cmp_gt_f32_e32 vcc_lo, v1, v2
	v_cndmask_b32_e32 v1, v2, v1, vcc_lo
.LBB24_20:
	s_cbranch_execnz .LBB24_28
.LBB24_21:
	s_cmp_lt_i32 s1, 4
	s_cbranch_scc1 .LBB24_24
; %bb.22:
	v_mov_b32_e32 v1, v37
	s_cmp_eq_u32 s1, 4
	s_cbranch_scc0 .LBB24_25
; %bb.23:
	s_delay_alu instid0(VALU_DEP_1) | instskip(NEXT) | instid1(VALU_DEP_1)
	v_mov_b32_dpp v1, v37 quad_perm:[1,0,3,2] row_mask:0xf bank_mask:0xf
	v_cmp_gt_f32_e32 vcc_lo, v37, v1
	v_cndmask_b32_e32 v1, v1, v37, vcc_lo
	s_delay_alu instid0(VALU_DEP_1) | instskip(NEXT) | instid1(VALU_DEP_1)
	v_mov_b32_dpp v2, v1 quad_perm:[2,3,0,1] row_mask:0xf bank_mask:0xf
	v_cmp_gt_f32_e32 vcc_lo, v1, v2
	v_cndmask_b32_e32 v1, v2, v1, vcc_lo
	s_cbranch_execz .LBB24_26
	s_branch .LBB24_28
.LBB24_24:
                                        ; implicit-def: $vgpr1
	s_branch .LBB24_26
.LBB24_25:
	s_cbranch_execnz .LBB24_28
.LBB24_26:
	v_mov_b32_e32 v1, v37
	s_cmp_lg_u32 s1, 2
	s_cbranch_scc1 .LBB24_28
; %bb.27:
	s_delay_alu instid0(VALU_DEP_1) | instskip(NEXT) | instid1(VALU_DEP_1)
	v_mov_b32_dpp v1, v37 quad_perm:[1,0,3,2] row_mask:0xf bank_mask:0xf
	v_cmp_gt_f32_e32 vcc_lo, v37, v1
	v_cndmask_b32_e32 v1, v1, v37, vcc_lo
.LBB24_28:
	v_cvt_f32_u32_e32 v2, s1
	s_sub_i32 s6, 0, s1
	s_mov_b32 s31, 0
	s_delay_alu instid0(VALU_DEP_1) | instskip(SKIP_2) | instid1(VALU_DEP_1)
	v_rcp_iflag_f32_e32 v2, v2
	s_waitcnt_depctr 0xfff
	v_mul_f32_e32 v2, 0x4f7ffffe, v2
	v_cvt_u32_f32_e32 v2, v2
	s_delay_alu instid0(VALU_DEP_1) | instskip(NEXT) | instid1(VALU_DEP_1)
	v_mul_lo_u32 v38, s6, v2
	v_mul_hi_u32 v38, v2, v38
	s_delay_alu instid0(VALU_DEP_1) | instskip(NEXT) | instid1(VALU_DEP_1)
	v_add_nc_u32_e32 v2, v2, v38
	v_mul_hi_u32 v2, v0, v2
	s_delay_alu instid0(VALU_DEP_1) | instskip(NEXT) | instid1(VALU_DEP_1)
	v_mul_lo_u32 v38, v2, s1
	v_sub_nc_u32_e32 v38, v0, v38
	s_delay_alu instid0(VALU_DEP_1) | instskip(SKIP_1) | instid1(VALU_DEP_2)
	v_subrev_nc_u32_e32 v40, s1, v38
	v_cmp_le_u32_e32 vcc_lo, s1, v38
	v_dual_cndmask_b32 v38, v38, v40 :: v_dual_add_nc_u32 v39, 1, v2
	s_delay_alu instid0(VALU_DEP_1) | instskip(NEXT) | instid1(VALU_DEP_2)
	v_cndmask_b32_e32 v2, v2, v39, vcc_lo
	v_cmp_le_u32_e32 vcc_lo, s1, v38
	s_delay_alu instid0(VALU_DEP_2) | instskip(NEXT) | instid1(VALU_DEP_1)
	v_dual_mul_f32 v38, 0x3b124925, v1 :: v_dual_add_nc_u32 v39, 1, v2
	v_cndmask_b32_e32 v39, v2, v39, vcc_lo
	v_cmp_gt_u32_e32 vcc_lo, s13, v17
	s_delay_alu instid0(VALU_DEP_2) | instskip(NEXT) | instid1(VALU_DEP_1)
	v_mul_lo_u32 v2, v39, s1
	v_sub_nc_u32_e32 v2, v0, v2
	s_delay_alu instid0(VALU_DEP_1) | instskip(NEXT) | instid1(VALU_DEP_1)
	v_cmp_eq_u32_e64 s1, 0, v2
                                        ; implicit-def: $vgpr1_vgpr2
	s_and_b32 s6, s1, vcc_lo
	s_mov_b32 s1, 0
	s_and_saveexec_b32 s7, s6
	s_delay_alu instid0(SALU_CYCLE_1)
	s_xor_b32 s16, exec_lo, s7
	s_cbranch_execz .LBB24_37
; %bb.29:
	s_bitcmp0_b32 s19, 0
	s_mov_b32 s10, 0
	s_cbranch_scc0 .LBB24_34
; %bb.30:
	s_ashr_i32 s1, s13, 31
	s_mul_hi_u32 s7, s13, s2
	s_mul_i32 s1, s1, s2
	s_mul_i32 s6, s13, s2
	s_add_i32 s7, s7, s1
	s_mov_b32 s19, s11
	s_delay_alu instid0(SALU_CYCLE_1) | instskip(NEXT) | instid1(SALU_CYCLE_1)
	s_or_b64 s[14:15], s[6:7], s[18:19]
	s_mov_b32 s11, s15
	s_delay_alu instid0(SALU_CYCLE_1)
	s_cmp_lg_u64 s[10:11], 0
	s_cbranch_scc0 .LBB24_45
; %bb.31:
	s_add_u32 s14, s18, s19
	s_mov_b32 s10, s19
	s_mov_b32 s11, s19
	s_addc_u32 s15, s19, s19
	s_delay_alu instid0(SALU_CYCLE_1) | instskip(NEXT) | instid1(SALU_CYCLE_1)
	s_xor_b64 s[14:15], s[14:15], s[10:11]
	v_cvt_f32_u32_e32 v1, s14
	v_cvt_f32_u32_e32 v2, s15
	s_sub_u32 s20, 0, s14
	s_subb_u32 s21, 0, s15
	s_delay_alu instid0(VALU_DEP_1) | instskip(NEXT) | instid1(VALU_DEP_1)
	v_fmamk_f32 v1, v2, 0x4f800000, v1
	v_rcp_f32_e32 v1, v1
	s_waitcnt_depctr 0xfff
	v_mul_f32_e32 v1, 0x5f7ffffc, v1
	s_delay_alu instid0(VALU_DEP_1) | instskip(NEXT) | instid1(VALU_DEP_1)
	v_mul_f32_e32 v2, 0x2f800000, v1
	v_trunc_f32_e32 v2, v2
	s_delay_alu instid0(VALU_DEP_1) | instskip(SKIP_1) | instid1(VALU_DEP_2)
	v_fmamk_f32 v1, v2, 0xcf800000, v1
	v_cvt_u32_f32_e32 v2, v2
	v_cvt_u32_f32_e32 v1, v1
	s_delay_alu instid0(VALU_DEP_2) | instskip(NEXT) | instid1(VALU_DEP_2)
	v_readfirstlane_b32 s1, v2
	v_readfirstlane_b32 s19, v1
	s_delay_alu instid0(VALU_DEP_2) | instskip(NEXT) | instid1(VALU_DEP_1)
	s_mul_i32 s22, s20, s1
	s_mul_hi_u32 s24, s20, s19
	s_mul_i32 s23, s21, s19
	s_add_i32 s22, s24, s22
	s_mul_i32 s25, s20, s19
	s_add_i32 s22, s22, s23
	s_mul_hi_u32 s24, s19, s25
	s_mul_hi_u32 s26, s1, s25
	s_mul_i32 s23, s1, s25
	s_mul_hi_u32 s25, s19, s22
	s_mul_i32 s19, s19, s22
	s_mul_hi_u32 s27, s1, s22
	s_add_u32 s19, s24, s19
	s_addc_u32 s24, 0, s25
	s_add_u32 s19, s19, s23
	s_mul_i32 s22, s1, s22
	s_addc_u32 s19, s24, s26
	s_addc_u32 s23, s27, 0
	s_add_u32 s19, s19, s22
	s_addc_u32 s22, 0, s23
	v_add_co_u32 v1, s19, v1, s19
	s_delay_alu instid0(VALU_DEP_1) | instskip(SKIP_1) | instid1(VALU_DEP_1)
	s_cmp_lg_u32 s19, 0
	s_addc_u32 s1, s1, s22
	v_readfirstlane_b32 s19, v1
	s_mul_i32 s22, s20, s1
	s_delay_alu instid0(VALU_DEP_1)
	s_mul_hi_u32 s23, s20, s19
	s_mul_i32 s21, s21, s19
	s_add_i32 s22, s23, s22
	s_mul_i32 s20, s20, s19
	s_add_i32 s22, s22, s21
	s_mul_hi_u32 s23, s1, s20
	s_mul_i32 s24, s1, s20
	s_mul_hi_u32 s20, s19, s20
	s_mul_hi_u32 s25, s19, s22
	s_mul_i32 s19, s19, s22
	s_mul_hi_u32 s21, s1, s22
	s_add_u32 s19, s20, s19
	s_addc_u32 s20, 0, s25
	s_add_u32 s19, s19, s24
	s_mul_i32 s22, s1, s22
	s_addc_u32 s19, s20, s23
	s_addc_u32 s20, s21, 0
	s_add_u32 s19, s19, s22
	s_addc_u32 s20, 0, s20
	v_add_co_u32 v1, s19, v1, s19
	s_delay_alu instid0(VALU_DEP_1) | instskip(SKIP_2) | instid1(SALU_CYCLE_1)
	s_cmp_lg_u32 s19, 0
	s_addc_u32 s1, s1, s20
	s_ashr_i32 s20, s7, 31
	s_add_u32 s22, s6, s20
	s_addc_u32 s23, s7, s20
	v_readfirstlane_b32 s7, v1
	s_mov_b32 s21, s20
	s_delay_alu instid0(SALU_CYCLE_1) | instskip(NEXT) | instid1(SALU_CYCLE_1)
	s_xor_b64 s[22:23], s[22:23], s[20:21]
	s_mul_i32 s24, s22, s1
	s_delay_alu instid0(VALU_DEP_1)
	s_mul_hi_u32 s25, s22, s7
	s_mul_hi_u32 s19, s22, s1
	;; [unrolled: 1-line block ×3, first 2 shown]
	s_mul_i32 s7, s23, s7
	s_add_u32 s24, s25, s24
	s_addc_u32 s19, 0, s19
	s_mul_hi_u32 s26, s23, s1
	s_add_u32 s7, s24, s7
	s_mul_i32 s1, s23, s1
	s_addc_u32 s7, s19, s27
	s_addc_u32 s19, s26, 0
	s_add_u32 s7, s7, s1
	s_addc_u32 s19, 0, s19
	s_mul_i32 s26, s14, s7
	s_mul_hi_u32 s1, s14, s7
	s_mul_i32 s25, s14, s19
	v_sub_co_u32 v1, s22, s22, s26
	s_mul_i32 s24, s15, s7
	s_add_i32 s1, s1, s25
	s_delay_alu instid0(SALU_CYCLE_1) | instskip(NEXT) | instid1(VALU_DEP_1)
	s_add_i32 s1, s1, s24
	v_sub_co_u32 v2, s25, v1, s14
	s_sub_i32 s24, s23, s1
	s_cmp_lg_u32 s22, 0
	s_subb_u32 s24, s24, s15
	s_cmp_lg_u32 s25, 0
	v_cmp_le_u32_e32 vcc_lo, s14, v2
	s_subb_u32 s24, s24, 0
	s_delay_alu instid0(SALU_CYCLE_1)
	s_cmp_ge_u32 s24, s15
	v_cndmask_b32_e64 v2, 0, -1, vcc_lo
	s_cselect_b32 s25, -1, 0
	s_cmp_eq_u32 s24, s15
	s_cselect_b32 vcc_lo, -1, 0
	s_add_u32 s24, s7, 1
	v_cndmask_b32_e32 v2, s25, v2, vcc_lo
	s_addc_u32 s25, s19, 0
	s_add_u32 s26, s7, 2
	s_addc_u32 s27, s19, 0
	s_cmp_lg_u32 s22, 0
	v_cmp_le_u32_e32 vcc_lo, s14, v1
	s_subb_u32 s1, s23, s1
	v_mov_b32_e32 v40, s26
	s_cmp_ge_u32 s1, s15
	v_cndmask_b32_e64 v1, 0, -1, vcc_lo
	s_cselect_b32 s14, -1, 0
	s_cmp_eq_u32 s1, s15
	v_cmp_ne_u32_e32 vcc_lo, 0, v2
	v_mov_b32_e32 v2, s27
	s_cselect_b32 s1, -1, 0
	s_xor_b64 s[10:11], s[20:21], s[10:11]
	v_cndmask_b32_e64 v1, s14, v1, s1
	v_cndmask_b32_e32 v40, s24, v40, vcc_lo
	v_cndmask_b32_e32 v2, s25, v2, vcc_lo
	s_delay_alu instid0(VALU_DEP_3) | instskip(NEXT) | instid1(VALU_DEP_2)
	v_cmp_ne_u32_e32 vcc_lo, 0, v1
	v_cndmask_b32_e32 v1, s19, v2, vcc_lo
	s_delay_alu instid0(VALU_DEP_4) | instskip(NEXT) | instid1(VALU_DEP_2)
	v_cndmask_b32_e32 v2, s7, v40, vcc_lo
	v_xor_b32_e32 v40, s11, v1
	s_delay_alu instid0(VALU_DEP_2) | instskip(NEXT) | instid1(VALU_DEP_1)
	v_xor_b32_e32 v2, s10, v2
	v_sub_co_u32 v1, vcc_lo, v2, s10
	s_delay_alu instid0(VALU_DEP_3)
	v_subrev_co_ci_u32_e32 v2, vcc_lo, s11, v40, vcc_lo
	s_cbranch_execnz .LBB24_33
.LBB24_32:
	v_cvt_f32_u32_e32 v1, s18
	s_sub_i32 s7, 0, s18
	s_delay_alu instid0(VALU_DEP_1) | instskip(SKIP_2) | instid1(VALU_DEP_1)
	v_rcp_iflag_f32_e32 v1, v1
	s_waitcnt_depctr 0xfff
	v_mul_f32_e32 v1, 0x4f7ffffe, v1
	v_cvt_u32_f32_e32 v1, v1
	s_delay_alu instid0(VALU_DEP_1) | instskip(NEXT) | instid1(VALU_DEP_1)
	v_readfirstlane_b32 s1, v1
	s_mul_i32 s7, s7, s1
	s_delay_alu instid0(SALU_CYCLE_1) | instskip(NEXT) | instid1(SALU_CYCLE_1)
	s_mul_hi_u32 s7, s1, s7
	s_add_i32 s1, s1, s7
	s_delay_alu instid0(SALU_CYCLE_1) | instskip(NEXT) | instid1(SALU_CYCLE_1)
	s_mul_hi_u32 s1, s6, s1
	s_mul_i32 s7, s1, s18
	s_delay_alu instid0(SALU_CYCLE_1)
	s_sub_i32 s6, s6, s7
	s_add_i32 s7, s1, 1
	s_sub_i32 s10, s6, s18
	s_cmp_ge_u32 s6, s18
	s_cselect_b32 s1, s7, s1
	s_cselect_b32 s6, s10, s6
	s_add_i32 s10, s1, 1
	s_cmp_ge_u32 s6, s18
	s_mov_b32 s7, 0
	s_cselect_b32 s6, s10, s1
	s_delay_alu instid0(SALU_CYCLE_1)
	v_dual_mov_b32 v1, s6 :: v_dual_mov_b32 v2, s7
.LBB24_33:
	s_delay_alu instid0(VALU_DEP_1) | instskip(NEXT) | instid1(VALU_DEP_2)
	v_add_co_u32 v1, vcc_lo, v1, v39
	v_add_co_ci_u32_e32 v2, vcc_lo, 0, v2, vcc_lo
	s_branch .LBB24_36
.LBB24_34:
                                        ; implicit-def: $vgpr1_vgpr2
	s_cbranch_execz .LBB24_36
; %bb.35:
	v_mul_lo_u32 v1, v39, s12
	s_delay_alu instid0(VALU_DEP_1) | instskip(SKIP_1) | instid1(VALU_DEP_2)
	v_ashrrev_i32_e32 v2, 31, v1
	v_add_co_u32 v1, vcc_lo, v1, s2
	v_add_co_ci_u32_e32 v2, vcc_lo, 0, v2, vcc_lo
.LBB24_36:
	s_mov_b32 s1, exec_lo
.LBB24_37:
	s_or_b32 exec_lo, exec_lo, s16
	s_delay_alu instid0(SALU_CYCLE_1)
	s_and_b32 vcc_lo, exec_lo, s31
	s_cbranch_vccz .LBB24_41
.LBB24_38:
	v_mov_b32_dpp v1, v37 quad_perm:[1,0,3,2] row_mask:0xf bank_mask:0xf
	s_delay_alu instid0(VALU_DEP_1) | instskip(SKIP_1) | instid1(VALU_DEP_1)
	v_cmp_gt_f32_e32 vcc_lo, v37, v1
	v_cndmask_b32_e32 v1, v1, v37, vcc_lo
	v_mov_b32_dpp v2, v1 quad_perm:[2,3,0,1] row_mask:0xf bank_mask:0xf
	s_delay_alu instid0(VALU_DEP_1) | instskip(SKIP_1) | instid1(VALU_DEP_1)
	v_cmp_gt_f32_e32 vcc_lo, v1, v2
	v_cndmask_b32_e32 v1, v2, v1, vcc_lo
	v_mov_b32_dpp v2, v1 row_xmask:7 row_mask:0xf bank_mask:0xf
	s_delay_alu instid0(VALU_DEP_1) | instskip(SKIP_1) | instid1(VALU_DEP_1)
	v_cmp_gt_f32_e32 vcc_lo, v1, v2
	v_cndmask_b32_e32 v1, v2, v1, vcc_lo
	v_mov_b32_dpp v2, v1 row_xmask:15 row_mask:0xf bank_mask:0xf
	s_delay_alu instid0(VALU_DEP_1)
	v_cmp_gt_f32_e32 vcc_lo, v1, v2
	s_and_saveexec_b32 s1, s0
	s_cbranch_execz .LBB24_40
; %bb.39:
	v_cndmask_b32_e32 v1, v2, v1, vcc_lo
	v_lshrrev_b32_e32 v2, 3, v0
	s_mov_b32 s0, 0x76543210
	s_delay_alu instid0(VALU_DEP_1) | instskip(NEXT) | instid1(VALU_DEP_3)
	v_and_b32_e32 v2, 0x7c, v2
	v_permlanex16_b32 v37, v1, s0, 0xfedcba98 op_sel:[1,1]
	s_delay_alu instid0(VALU_DEP_1)
	v_cmp_gt_f32_e32 vcc_lo, v1, v37
	v_cndmask_b32_e32 v1, v37, v1, vcc_lo
	ds_store_b32 v2, v1
.LBB24_40:
	s_or_b32 exec_lo, exec_lo, s1
	s_waitcnt lgkmcnt(0)
	s_barrier
	buffer_gl0_inv
	ds_load_b32 v1, v18
	v_cmp_eq_u32_e64 s1, 0, v0
	s_waitcnt lgkmcnt(0)
	v_mov_b32_dpp v2, v1 quad_perm:[1,0,3,2] row_mask:0xf bank_mask:0xf
	s_delay_alu instid0(VALU_DEP_1) | instskip(SKIP_1) | instid1(VALU_DEP_1)
	v_cmp_gt_f32_e32 vcc_lo, v1, v2
	v_cndmask_b32_e32 v1, v2, v1, vcc_lo
	v_mov_b32_dpp v2, v1 quad_perm:[2,3,0,1] row_mask:0xf bank_mask:0xf
	s_delay_alu instid0(VALU_DEP_1) | instskip(SKIP_1) | instid1(VALU_DEP_1)
	v_cmp_gt_f32_e32 vcc_lo, v1, v2
	v_cndmask_b32_e32 v1, v2, v1, vcc_lo
	v_mov_b32_dpp v2, v1 row_xmask:7 row_mask:0xf bank_mask:0xf
	s_delay_alu instid0(VALU_DEP_1) | instskip(SKIP_1) | instid1(VALU_DEP_1)
	v_cmp_gt_f32_e32 vcc_lo, v1, v2
	v_cndmask_b32_e32 v1, v2, v1, vcc_lo
	v_dual_mul_f32 v38, 0x3b124925, v1 :: v_dual_mov_b32 v1, s2
	v_mov_b32_e32 v2, s3
.LBB24_41:
	s_and_saveexec_b32 s0, s1
	s_cbranch_execz .LBB24_43
; %bb.42:
	s_delay_alu instid0(VALU_DEP_1) | instskip(NEXT) | instid1(VALU_DEP_1)
	v_lshlrev_b64 v[0:1], 2, v[1:2]
	v_add_co_u32 v0, vcc_lo, s8, v0
	s_delay_alu instid0(VALU_DEP_2)
	v_add_co_ci_u32_e32 v1, vcc_lo, s9, v1, vcc_lo
	global_store_b32 v[0:1], v38, off
.LBB24_43:
	s_or_b32 exec_lo, exec_lo, s0
	;;#ASMSTART
	v_rcp_f32 v2, v38
	;;#ASMEND
	v_dual_mul_f32 v0, v2, v35 :: v_dual_mov_b32 v35, 0x43e00000
	v_dual_mul_f32 v1, v2, v36 :: v_dual_mov_b32 v18, 0xc3e00000
	v_mul_f32_e32 v33, v2, v33
	v_mul_f32_e32 v34, v2, v34
	;;#ASMSTART
	v_med3_f32 v0, v0, v18, v35
v_med3_f32 v1, v1, v18, v35
v_cvt_pk_fp8_f32 v36, v0, v1
	;;#ASMEND
	s_add_i32 s0, s13, 3
	;;#ASMSTART
	v_med3_f32 v33, v33, v18, v35
v_med3_f32 v34, v34, v18, v35
v_cvt_pk_fp8_f32 v0, v33, v34
	;;#ASMEND
	v_perm_b32 v1, v0, v36, 0x5040100
	s_ashr_i32 s3, s0, 31
	s_ashr_i32 s1, s17, 31
	s_lshr_b32 s3, s3, 30
	v_mul_f32_e32 v31, v2, v31
	v_mul_f32_e32 v32, v2, v32
	;; [unrolled: 1-line block ×4, first 2 shown]
	v_perm_b32 v29, v1, v0, 0x1060504
	;;#ASMSTART
	v_med3_f32 v31, v31, v18, v35
v_med3_f32 v32, v32, v18, v35
v_cvt_pk_fp8_f32 v0, v31, v32
	;;#ASMEND
	;;#ASMSTART
	v_med3_f32 v33, v33, v18, v35
v_med3_f32 v30, v30, v18, v35
v_cvt_pk_fp8_f32 v1, v33, v30
	;;#ASMEND
	s_mul_hi_u32 s6, s17, s2
	s_add_i32 s0, s0, s3
	s_mul_i32 s1, s1, s2
	v_perm_b32 v30, v0, v1, 0x1000504
	v_mul_f32_e32 v0, v2, v27
	v_mul_f32_e32 v1, v2, v28
	s_mul_i32 s7, s17, s2
	v_mul_f32_e32 v25, v2, v25
	v_mul_f32_e32 v26, v2, v26
	;;#ASMSTART
	v_med3_f32 v0, v0, v18, v35
v_med3_f32 v1, v1, v18, v35
v_cvt_pk_fp8_f32 v27, v0, v1
	;;#ASMEND
	s_and_b32 s2, s0, -4
	s_add_i32 s6, s6, s1
	v_mul_f32_e32 v23, v2, v23
	v_mul_f32_e32 v24, v2, v24
	;; [unrolled: 1-line block ×4, first 2 shown]
	;;#ASMSTART
	v_med3_f32 v25, v25, v18, v35
v_med3_f32 v26, v26, v18, v35
v_cvt_pk_fp8_f32 v0, v25, v26
	;;#ASMEND
	s_add_u32 s0, s4, s7
	v_perm_b32 v31, v27, v0, 0x1000504
	;;#ASMSTART
	v_med3_f32 v23, v23, v18, v35
v_med3_f32 v24, v24, v18, v35
v_cvt_pk_fp8_f32 v0, v23, v24
	;;#ASMEND
	;;#ASMSTART
	v_med3_f32 v21, v21, v18, v35
v_med3_f32 v22, v22, v18, v35
v_cvt_pk_fp8_f32 v1, v21, v22
	;;#ASMEND
	v_perm_b32 v32, v0, v1, 0x1000504
	s_addc_u32 s1, s5, s6
	s_mov_b32 s3, -1
	s_and_b32 s1, s1, 0xffff
	v_mul_f32_e32 v0, v2, v19
	v_mul_f32_e32 v1, v2, v20
	;; [unrolled: 1-line block ×4, first 2 shown]
	buffer_store_b128 v[29:32], v17, s[0:3], 0 offen
	;;#ASMSTART
	s_nop 0
	;;#ASMEND
	;;#ASMSTART
	v_med3_f32 v0, v0, v18, v35
v_med3_f32 v1, v1, v18, v35
v_cvt_pk_fp8_f32 v19, v0, v1
	;;#ASMEND
	;;#ASMSTART
	v_med3_f32 v15, v15, v18, v35
v_med3_f32 v16, v16, v18, v35
v_cvt_pk_fp8_f32 v0, v15, v16
	;;#ASMEND
	v_perm_b32 v1, v0, v19, 0x5040100
	v_mul_f32_e32 v13, v2, v13
	v_mul_f32_e32 v14, v2, v14
	;; [unrolled: 1-line block ×4, first 2 shown]
	v_perm_b32 v0, v1, v0, 0x1060504
	;;#ASMSTART
	v_med3_f32 v13, v13, v18, v35
v_med3_f32 v14, v14, v18, v35
v_cvt_pk_fp8_f32 v1, v13, v14
	;;#ASMEND
	v_mul_f32_e32 v9, v2, v9
	v_mul_f32_e32 v10, v2, v10
	;;#ASMSTART
	v_med3_f32 v11, v11, v18, v35
v_med3_f32 v12, v12, v18, v35
v_cvt_pk_fp8_f32 v13, v11, v12
	;;#ASMEND
	v_mul_f32_e32 v7, v2, v7
	v_mul_f32_e32 v8, v2, v8
	;; [unrolled: 1-line block ×6, first 2 shown]
	;;#ASMSTART
	v_med3_f32 v9, v9, v18, v35
v_med3_f32 v10, v10, v18, v35
v_cvt_pk_fp8_f32 v2, v9, v10
	;;#ASMEND
	;;#ASMSTART
	v_med3_f32 v7, v7, v18, v35
v_med3_f32 v8, v8, v18, v35
v_cvt_pk_fp8_f32 v9, v7, v8
	;;#ASMEND
	;; [unrolled: 5-line block ×4, first 2 shown]
	v_perm_b32 v1, v1, v13, 0x1000504
	v_perm_b32 v2, v2, v9, 0x1000504
	;; [unrolled: 1-line block ×3, first 2 shown]
	buffer_store_b128 v[0:3], v17, s[0:3], 16 offen
	;;#ASMSTART
	s_nop 0
	;;#ASMEND
.LBB24_44:
	s_nop 0
	s_sendmsg sendmsg(MSG_DEALLOC_VGPRS)
	s_endpgm
.LBB24_45:
                                        ; implicit-def: $vgpr1_vgpr2
	s_branch .LBB24_32
	.section	.rodata,"a",@progbits
	.p2align	6, 0x0
	.amdhsa_kernel _ZN5aiter24add_rmsnorm_quant_kernelItDB8_Li256ELi32ELb1ELb1ELb0ELi1EEEvPT0_PT_PfS5_S5_S5_diiiiiiib
		.amdhsa_group_segment_fixed_size 64
		.amdhsa_private_segment_fixed_size 0
		.amdhsa_kernarg_size 88
		.amdhsa_user_sgpr_count 15
		.amdhsa_user_sgpr_dispatch_ptr 0
		.amdhsa_user_sgpr_queue_ptr 0
		.amdhsa_user_sgpr_kernarg_segment_ptr 1
		.amdhsa_user_sgpr_dispatch_id 0
		.amdhsa_user_sgpr_private_segment_size 0
		.amdhsa_wavefront_size32 1
		.amdhsa_uses_dynamic_stack 0
		.amdhsa_enable_private_segment 0
		.amdhsa_system_sgpr_workgroup_id_x 1
		.amdhsa_system_sgpr_workgroup_id_y 0
		.amdhsa_system_sgpr_workgroup_id_z 0
		.amdhsa_system_sgpr_workgroup_info 0
		.amdhsa_system_vgpr_workitem_id 0
		.amdhsa_next_free_vgpr 80
		.amdhsa_next_free_sgpr 40
		.amdhsa_reserve_vcc 1
		.amdhsa_float_round_mode_32 0
		.amdhsa_float_round_mode_16_64 0
		.amdhsa_float_denorm_mode_32 3
		.amdhsa_float_denorm_mode_16_64 3
		.amdhsa_dx10_clamp 1
		.amdhsa_ieee_mode 1
		.amdhsa_fp16_overflow 0
		.amdhsa_workgroup_processor_mode 1
		.amdhsa_memory_ordered 1
		.amdhsa_forward_progress 0
		.amdhsa_shared_vgpr_count 0
		.amdhsa_exception_fp_ieee_invalid_op 0
		.amdhsa_exception_fp_denorm_src 0
		.amdhsa_exception_fp_ieee_div_zero 0
		.amdhsa_exception_fp_ieee_overflow 0
		.amdhsa_exception_fp_ieee_underflow 0
		.amdhsa_exception_fp_ieee_inexact 0
		.amdhsa_exception_int_div_zero 0
	.end_amdhsa_kernel
	.section	.text._ZN5aiter24add_rmsnorm_quant_kernelItDB8_Li256ELi32ELb1ELb1ELb0ELi1EEEvPT0_PT_PfS5_S5_S5_diiiiiiib,"axG",@progbits,_ZN5aiter24add_rmsnorm_quant_kernelItDB8_Li256ELi32ELb1ELb1ELb0ELi1EEEvPT0_PT_PfS5_S5_S5_diiiiiiib,comdat
.Lfunc_end24:
	.size	_ZN5aiter24add_rmsnorm_quant_kernelItDB8_Li256ELi32ELb1ELb1ELb0ELi1EEEvPT0_PT_PfS5_S5_S5_diiiiiiib, .Lfunc_end24-_ZN5aiter24add_rmsnorm_quant_kernelItDB8_Li256ELi32ELb1ELb1ELb0ELi1EEEvPT0_PT_PfS5_S5_S5_diiiiiiib
                                        ; -- End function
	.section	.AMDGPU.csdata,"",@progbits
; Kernel info:
; codeLenInByte = 6508
; NumSgprs: 42
; NumVgprs: 80
; ScratchSize: 0
; MemoryBound: 0
; FloatMode: 240
; IeeeMode: 1
; LDSByteSize: 64 bytes/workgroup (compile time only)
; SGPRBlocks: 5
; VGPRBlocks: 9
; NumSGPRsForWavesPerEU: 42
; NumVGPRsForWavesPerEU: 80
; Occupancy: 16
; WaveLimiterHint : 0
; COMPUTE_PGM_RSRC2:SCRATCH_EN: 0
; COMPUTE_PGM_RSRC2:USER_SGPR: 15
; COMPUTE_PGM_RSRC2:TRAP_HANDLER: 0
; COMPUTE_PGM_RSRC2:TGID_X_EN: 1
; COMPUTE_PGM_RSRC2:TGID_Y_EN: 0
; COMPUTE_PGM_RSRC2:TGID_Z_EN: 0
; COMPUTE_PGM_RSRC2:TIDIG_COMP_CNT: 0
	.section	.text._ZN5aiter24add_rmsnorm_quant_kernelIDF16_DB8_Li512ELi16ELb1ELb1ELb1ELi1EEEvPT0_PT_PfS5_S5_S5_diiiiiiib,"axG",@progbits,_ZN5aiter24add_rmsnorm_quant_kernelIDF16_DB8_Li512ELi16ELb1ELb1ELb1ELi1EEEvPT0_PT_PfS5_S5_S5_diiiiiiib,comdat
	.protected	_ZN5aiter24add_rmsnorm_quant_kernelIDF16_DB8_Li512ELi16ELb1ELb1ELb1ELi1EEEvPT0_PT_PfS5_S5_S5_diiiiiiib ; -- Begin function _ZN5aiter24add_rmsnorm_quant_kernelIDF16_DB8_Li512ELi16ELb1ELb1ELb1ELi1EEEvPT0_PT_PfS5_S5_S5_diiiiiiib
	.globl	_ZN5aiter24add_rmsnorm_quant_kernelIDF16_DB8_Li512ELi16ELb1ELb1ELb1ELi1EEEvPT0_PT_PfS5_S5_S5_diiiiiiib
	.p2align	8
	.type	_ZN5aiter24add_rmsnorm_quant_kernelIDF16_DB8_Li512ELi16ELb1ELb1ELb1ELi1EEEvPT0_PT_PfS5_S5_S5_diiiiiiib,@function
_ZN5aiter24add_rmsnorm_quant_kernelIDF16_DB8_Li512ELi16ELb1ELb1ELb1ELi1EEEvPT0_PT_PfS5_S5_S5_diiiiiiib: ; @_ZN5aiter24add_rmsnorm_quant_kernelIDF16_DB8_Li512ELi16ELb1ELb1ELb1ELi1EEEvPT0_PT_PfS5_S5_S5_diiiiiiib
; %bb.0:
	s_load_b256 s[4:11], s[0:1], 0x38
	s_mov_b32 s34, s15
	s_mov_b32 s35, 0
	s_waitcnt lgkmcnt(0)
	s_ashr_i32 s3, s4, 31
	s_mov_b32 s2, s4
	s_delay_alu instid0(SALU_CYCLE_1) | instskip(NEXT) | instid1(VALU_DEP_1)
	v_cmp_ge_i64_e64 s2, s[34:35], s[2:3]
	s_and_b32 vcc_lo, exec_lo, s2
	s_cbranch_vccnz .LBB25_44
; %bb.1:
	s_clause 0x1
	s_load_b256 s[12:19], s[0:1], 0x0
	s_load_b256 s[20:27], s[0:1], 0x20
	v_lshlrev_b32_e32 v19, 4, v0
	s_ashr_i32 s0, s6, 31
	s_mul_hi_u32 s3, s6, s34
	s_mul_i32 s0, s0, s34
	v_lshlrev_b32_e32 v1, 3, v0
	v_and_b32_e32 v2, 0x3e00, v19
	s_mul_i32 s2, s6, s34
	s_add_i32 s3, s3, s0
	s_waitcnt lgkmcnt(0)
	s_mul_hi_u32 s26, s7, s34
	s_lshl_b64 s[2:3], s[2:3], 1
	v_and_or_b32 v9, 0xf8, v1, v2
	s_mul_i32 s6, s7, s34
	s_mov_b32 s31, -1
	s_movk_i32 s1, 0x200
	s_mov_b32 s39, s31
	v_lshlrev_b32_e32 v37, 1, v9
	v_and_b32_e32 v38, 31, v0
	s_add_u32 s28, s18, s2
	s_addc_u32 s0, s19, s3
	s_add_i32 s2, s5, 1
	s_ashr_i32 s3, s7, 31
	s_lshr_b32 s7, s2, 31
	s_mul_i32 s3, s3, s34
	s_add_i32 s2, s2, s7
	s_and_b32 s29, s0, 0xffff
	s_lshl_b32 s0, s2, 1
	s_add_i32 s7, s26, s3
	s_and_b32 s30, s0, -4
	s_lshl_b64 s[2:3], s[6:7], 1
	s_and_b32 s37, s23, 0xffff
	s_clause 0x1
	buffer_load_b128 v[13:16], v37, s[28:31], 0 offen glc slc
	buffer_load_b128 v[22:25], v37, s[28:31], s1 offen glc slc
	s_add_u32 s28, s20, s2
	s_addc_u32 s0, s21, s3
	s_mov_b32 s36, s22
	s_and_b32 s29, s0, 0xffff
	s_clause 0x1
	buffer_load_b128 v[26:29], v37, s[28:31], 0 offen glc slc
	buffer_load_b128 v[30:33], v37, s[28:31], s1 offen glc slc
	s_mov_b32 s38, s30
	s_ashr_i32 s0, s8, 31
	s_mul_hi_u32 s3, s8, s34
	s_mul_i32 s0, s0, s34
	s_mul_i32 s2, s8, s34
	s_add_i32 s3, s3, s0
	s_delay_alu instid0(SALU_CYCLE_1) | instskip(NEXT) | instid1(SALU_CYCLE_1)
	s_lshl_b64 s[2:3], s[2:3], 1
	s_add_u32 s28, s14, s2
	s_addc_u32 s0, s15, s3
	s_delay_alu instid0(SALU_CYCLE_1)
	s_and_b32 s29, s0, 0xffff
	v_cmp_eq_u32_e64 s0, 31, v38
	s_waitcnt vmcnt(3)
	v_lshrrev_b32_e32 v10, 16, v13
	v_cvt_f32_f16_e32 v12, v13
	v_cvt_f32_f16_e32 v13, v14
	s_delay_alu instid0(VALU_DEP_3)
	v_cvt_f32_f16_e32 v10, v10
	s_waitcnt vmcnt(1)
	v_lshrrev_b32_e32 v11, 16, v26
	v_cvt_f32_f16_e32 v17, v26
	v_lshrrev_b32_e32 v18, 16, v27
	v_cvt_f32_f16_e32 v20, v28
	;; [unrolled: 2-line block ×3, first 2 shown]
	v_add_f32_e32 v12, v12, v17
	v_cvt_f32_f16_e32 v17, v15
	v_cvt_f32_f16_e32 v18, v18
	v_lshrrev_b32_e32 v15, 16, v15
	v_add_f32_e32 v11, v10, v11
	v_lshrrev_b32_e32 v10, 16, v14
	v_cvt_f32_f16_e32 v14, v27
	v_cvt_f32_f16_e32 v21, v21
	v_lshrrev_b32_e32 v26, 16, v29
	v_mul_f32_e32 v34, v11, v11
	v_cvt_f32_f16_e32 v10, v10
	v_add_f32_e32 v13, v13, v14
	s_waitcnt vmcnt(0)
	v_lshrrev_b32_e32 v28, 16, v31
	v_cvt_f32_f16_e32 v26, v26
	v_fmac_f32_e32 v34, v12, v12
	s_clause 0x1
	buffer_load_b128 v[5:8], v37, s[36:39], 0 offen
	buffer_load_b128 v[1:4], v37, s[36:39], s1 offen
	v_add_f32_e32 v14, v10, v18
	v_cvt_f32_f16_e32 v18, v15
	v_add_f32_e32 v15, v17, v20
	v_lshrrev_b32_e32 v17, 16, v16
	v_cvt_f32_f16_e32 v10, v16
	v_fmac_f32_e32 v34, v13, v13
	v_add_f32_e32 v16, v18, v21
	v_cvt_f32_f16_e32 v20, v29
	v_cvt_f32_f16_e32 v18, v17
	;; [unrolled: 1-line block ×5, first 2 shown]
	v_cvt_f16_f32_e32 v39, v11
	v_add_f32_e32 v18, v18, v26
	v_cvt_f32_f16_e32 v26, v23
	v_lshrrev_b32_e32 v23, 16, v23
	v_add_f32_e32 v17, v10, v20
	v_lshrrev_b32_e32 v10, 16, v22
	v_lshrrev_b32_e32 v22, 16, v30
	v_cvt_f32_f16_e32 v20, v30
	v_cvt_f32_f16_e32 v23, v23
	v_fmac_f32_e32 v34, v14, v14
	v_cvt_f32_f16_e32 v10, v10
	v_cvt_f32_f16_e32 v22, v22
	v_add_f32_e32 v20, v21, v20
	v_add_f32_e32 v23, v23, v28
	v_fmac_f32_e32 v34, v15, v15
	v_lshrrev_b32_e32 v30, 16, v33
	v_add_f32_e32 v21, v10, v22
	v_cvt_f32_f16_e32 v10, v24
	v_add_f32_e32 v22, v26, v27
	v_lshrrev_b32_e32 v24, 16, v24
	v_cvt_f32_f16_e32 v26, v32
	v_lshrrev_b32_e32 v27, 16, v32
	v_cvt_f32_f16_e32 v28, v25
	v_cvt_f16_f32_e32 v31, v17
	v_cvt_f32_f16_e32 v29, v24
	v_add_f32_e32 v24, v10, v26
	v_cvt_f32_f16_e32 v27, v27
	v_lshrrev_b32_e32 v10, 16, v25
	v_cvt_f32_f16_e32 v26, v33
	v_cvt_f16_f32_e32 v33, v20
	v_cvt_f16_f32_e32 v35, v24
	v_add_f32_e32 v25, v29, v27
	v_cvt_f32_f16_e32 v10, v10
	v_cvt_f32_f16_e32 v27, v30
	v_fmac_f32_e32 v34, v16, v16
	v_add_f32_e32 v26, v28, v26
	v_cvt_f16_f32_e32 v28, v12
	v_cvt_f16_f32_e32 v29, v13
	s_delay_alu instid0(VALU_DEP_4)
	v_dual_add_f32 v27, v10, v27 :: v_dual_fmac_f32 v34, v17, v17
	v_cvt_f16_f32_e32 v30, v15
	v_cvt_f16_f32_e32 v36, v26
	;; [unrolled: 1-line block ×4, first 2 shown]
	v_fmac_f32_e32 v34, v18, v18
	v_cvt_f16_f32_e32 v42, v18
	v_cvt_f16_f32_e32 v43, v21
	;; [unrolled: 1-line block ×4, first 2 shown]
	v_fmac_f32_e32 v34, v20, v20
	v_cvt_f16_f32_e32 v46, v27
	v_pack_b32_f16 v33, v33, v43
	s_delay_alu instid0(VALU_DEP_4) | instskip(NEXT) | instid1(VALU_DEP_4)
	v_pack_b32_f16 v35, v35, v45
	v_fmac_f32_e32 v34, v21, v21
	s_delay_alu instid0(VALU_DEP_4) | instskip(NEXT) | instid1(VALU_DEP_2)
	v_pack_b32_f16 v36, v36, v46
	v_fmac_f32_e32 v34, v22, v22
	s_delay_alu instid0(VALU_DEP_1) | instskip(NEXT) | instid1(VALU_DEP_1)
	v_fmac_f32_e32 v34, v23, v23
	v_fmac_f32_e32 v34, v24, v24
	s_delay_alu instid0(VALU_DEP_1) | instskip(NEXT) | instid1(VALU_DEP_1)
	v_fmac_f32_e32 v34, v25, v25
	v_fmac_f32_e32 v34, v26, v26
	s_delay_alu instid0(VALU_DEP_1) | instskip(NEXT) | instid1(VALU_DEP_1)
	v_fmac_f32_e32 v34, v27, v27
	v_mov_b32_dpp v10, v34 quad_perm:[1,0,3,2] row_mask:0xf bank_mask:0xf
	s_delay_alu instid0(VALU_DEP_1) | instskip(SKIP_1) | instid1(VALU_DEP_2)
	v_add_f32_e32 v10, v34, v10
	v_cvt_f16_f32_e32 v34, v22
	v_mov_b32_dpp v32, v10 quad_perm:[2,3,0,1] row_mask:0xf bank_mask:0xf
	s_delay_alu instid0(VALU_DEP_2) | instskip(NEXT) | instid1(VALU_DEP_2)
	v_pack_b32_f16 v34, v34, v44
	v_add_f32_e32 v10, v10, v32
	v_pack_b32_f16 v32, v31, v42
	v_pack_b32_f16 v31, v30, v41
	;; [unrolled: 1-line block ×4, first 2 shown]
	v_mov_b32_dpp v47, v10 row_xmask:7 row_mask:0xf bank_mask:0xf
	buffer_store_b128 v[29:32], v37, s[28:31], 0 offen glc slc
	v_add_f32_e32 v10, v10, v47
	;;#ASMSTART
	s_nop 0
	;;#ASMEND
	buffer_store_b128 v[33:36], v37, s[28:31], s1 offen glc slc
	;;#ASMSTART
	s_nop 0
	;;#ASMEND
	v_mov_b32_dpp v28, v10 row_xmask:15 row_mask:0xf bank_mask:0xf
	s_and_saveexec_b32 s1, s0
	s_cbranch_execz .LBB25_3
; %bb.2:
	s_delay_alu instid0(VALU_DEP_1) | instskip(SKIP_2) | instid1(VALU_DEP_2)
	v_add_f32_e32 v10, v10, v28
	s_mov_b32 s2, 0x76543210
	v_lshrrev_b32_e32 v28, 3, v0
	v_permlanex16_b32 v29, v10, s2, 0xfedcba98 op_sel:[1,1]
	s_delay_alu instid0(VALU_DEP_2) | instskip(NEXT) | instid1(VALU_DEP_2)
	v_and_b32_e32 v28, 0x7c, v28
	v_add_f32_e32 v10, v10, v29
	ds_store_b32 v28, v10 offset:64
.LBB25_3:
	s_or_b32 exec_lo, exec_lo, s1
	v_and_b32_e32 v10, 15, v0
	s_waitcnt vmcnt(0) lgkmcnt(0)
	s_waitcnt_vscnt null, 0x0
	s_barrier
	buffer_gl0_inv
	v_cvt_f32_i32_e32 v30, s5
	v_dual_mov_b32 v37, 0x2edbe6ff :: v_dual_lshlrev_b32 v10, 2, v10
	v_cvt_f32_f16_e32 v36, v4
	v_cvt_f32_f16_e32 v35, v3
	v_lshrrev_b32_e32 v3, 16, v3
	ds_load_b32 v28, v10 offset:64
	v_lshrrev_b32_e32 v4, 16, v4
	s_cmp_lg_u32 s10, 0
	v_cvt_f32_f16_e32 v3, v3
	s_delay_alu instid0(VALU_DEP_2) | instskip(SKIP_2) | instid1(VALU_DEP_1)
	v_cvt_f32_f16_e32 v4, v4
	s_waitcnt lgkmcnt(0)
	v_mov_b32_dpp v29, v28 quad_perm:[1,0,3,2] row_mask:0xf bank_mask:0xf
	v_add_f32_e32 v28, v28, v29
	s_delay_alu instid0(VALU_DEP_1) | instskip(NEXT) | instid1(VALU_DEP_1)
	v_mov_b32_dpp v29, v28 quad_perm:[2,3,0,1] row_mask:0xf bank_mask:0xf
	v_add_f32_e32 v28, v28, v29
	s_delay_alu instid0(VALU_DEP_1) | instskip(NEXT) | instid1(VALU_DEP_1)
	v_mov_b32_dpp v29, v28 row_xmask:7 row_mask:0xf bank_mask:0xf
	v_add_f32_e32 v28, v28, v29
	s_delay_alu instid0(VALU_DEP_1) | instskip(NEXT) | instid1(VALU_DEP_1)
	v_mov_b32_dpp v29, v28 row_xmask:15 row_mask:0xf bank_mask:0xf
	v_add_f32_e32 v28, v28, v29
	s_delay_alu instid0(VALU_DEP_1) | instskip(SKIP_1) | instid1(VALU_DEP_2)
	v_div_scale_f32 v29, null, v30, v30, v28
	v_div_scale_f32 v33, vcc_lo, v28, v30, v28
	v_rcp_f32_e32 v31, v29
	s_waitcnt_depctr 0xfff
	v_fma_f32 v32, -v29, v31, 1.0
	s_delay_alu instid0(VALU_DEP_1) | instskip(NEXT) | instid1(VALU_DEP_1)
	v_fmac_f32_e32 v31, v32, v31
	v_mul_f32_e32 v32, v33, v31
	s_delay_alu instid0(VALU_DEP_1) | instskip(NEXT) | instid1(VALU_DEP_1)
	v_fma_f32 v34, -v29, v32, v33
	v_fmac_f32_e32 v32, v34, v31
	v_cvt_f32_f16_e32 v34, v2
	v_lshrrev_b32_e32 v2, 16, v2
	s_delay_alu instid0(VALU_DEP_3) | instskip(SKIP_2) | instid1(VALU_DEP_4)
	v_fma_f32 v29, -v29, v32, v33
	v_cvt_f32_f16_e32 v33, v1
	v_lshrrev_b32_e32 v1, 16, v1
	v_cvt_f32_f16_e32 v2, v2
	s_delay_alu instid0(VALU_DEP_4)
	v_div_fmas_f32 v29, v29, v31, v32
	v_cvt_f32_f16_e32 v31, v6
	v_lshrrev_b32_e32 v6, 16, v6
	v_cvt_f32_f16_e32 v32, v8
	v_lshrrev_b32_e32 v8, 16, v8
	v_div_fixup_f32 v28, v29, v30, v28
	v_cvt_f32_f16_e32 v1, v1
	v_cvt_f32_f16_e32 v6, v6
	s_delay_alu instid0(VALU_DEP_4) | instskip(NEXT) | instid1(VALU_DEP_4)
	v_cvt_f32_f16_e32 v8, v8
	v_cvt_f64_f32_e32 v[28:29], v28
	s_delay_alu instid0(VALU_DEP_1) | instskip(NEXT) | instid1(VALU_DEP_1)
	v_add_f64 v[28:29], v[28:29], s[24:25]
	v_cvt_f32_f64_e32 v28, v[28:29]
	v_cvt_f32_f16_e32 v29, v5
	v_lshrrev_b32_e32 v5, 16, v5
	s_delay_alu instid0(VALU_DEP_1) | instskip(NEXT) | instid1(VALU_DEP_4)
	v_cvt_f32_f16_e32 v5, v5
	v_mul_f32_e32 v30, 0x4b800000, v28
	v_cmp_gt_f32_e32 vcc_lo, 0x800000, v28
	s_delay_alu instid0(VALU_DEP_2) | instskip(SKIP_2) | instid1(VALU_DEP_3)
	v_cndmask_b32_e32 v28, v28, v30, vcc_lo
	v_cvt_f32_f16_e32 v30, v7
	v_lshrrev_b32_e32 v7, 16, v7
	v_rsq_f32_e32 v28, v28
	s_delay_alu instid0(VALU_DEP_1) | instskip(SKIP_2) | instid1(VALU_DEP_1)
	v_cvt_f32_f16_e32 v7, v7
	s_waitcnt_depctr 0xfff
	v_mul_f32_e32 v38, 0x45800000, v28
	v_cndmask_b32_e32 v28, v28, v38, vcc_lo
	s_delay_alu instid0(VALU_DEP_1) | instskip(SKIP_1) | instid1(VALU_DEP_2)
	v_mul_f32_e32 v12, v12, v28
	v_mul_f32_e32 v40, v20, v28
	v_dual_mul_f32 v41, v21, v28 :: v_dual_mul_f32 v20, v12, v29
	s_delay_alu instid0(VALU_DEP_1)
	v_dual_mul_f32 v12, v41, v1 :: v_dual_and_b32 v1, 0x7fffffff, v20
	v_mul_f32_e32 v11, v11, v28
	v_mul_f32_e32 v39, v18, v28
	;; [unrolled: 1-line block ×10, first 2 shown]
	v_dual_mul_f32 v15, v15, v28 :: v_dual_mul_f32 v18, v14, v6
	v_mul_f32_e32 v14, v39, v8
	v_mul_f32_e32 v16, v16, v28
	;; [unrolled: 1-line block ×5, first 2 shown]
	v_dual_mul_f32 v26, v26, v28 :: v_dual_mul_f32 v17, v13, v31
	v_mul_f32_e32 v15, v15, v30
	v_mul_f32_e32 v8, v23, v2
	v_and_b32_e32 v2, 0x7fffffff, v21
	v_dual_mul_f32 v4, v27, v4 :: v_dual_and_b32 v27, 0x7fffffff, v14
	v_mul_f32_e32 v16, v16, v7
	v_mul_f32_e32 v11, v40, v33
	v_and_b32_e32 v33, 0x7fffffff, v6
	v_mul_f32_e32 v13, v38, v32
	v_mul_f32_e32 v7, v22, v34
	;;#ASMSTART
	v_max3_f32 v1, v37, v1, v2

	;;#ASMEND
	v_dual_mul_f32 v3, v26, v36 :: v_dual_and_b32 v22, 0x7fffffff, v17
	v_and_b32_e32 v23, 0x7fffffff, v18
	;;#ASMSTART
	v_max3_f32 v1, v1, v22, v23

	;;#ASMEND
	v_and_b32_e32 v24, 0x7fffffff, v15
	v_and_b32_e32 v25, 0x7fffffff, v16
	;;#ASMSTART
	v_max3_f32 v1, v1, v24, v25

	;;#ASMEND
	v_and_b32_e32 v26, 0x7fffffff, v13
	;;#ASMSTART
	v_max3_f32 v1, v1, v26, v27

	;;#ASMEND
	v_and_b32_e32 v28, 0x7fffffff, v11
	v_and_b32_e32 v29, 0x7fffffff, v12
	;;#ASMSTART
	v_max3_f32 v1, v1, v28, v29

	;;#ASMEND
	v_and_b32_e32 v30, 0x7fffffff, v7
	;; [unrolled: 6-line block ×3, first 2 shown]
	v_and_b32_e32 v34, 0x7fffffff, v3
	v_and_b32_e32 v35, 0x7fffffff, v4
	;;#ASMSTART
	v_max3_f32 v1, v1, v32, v33

	;;#ASMEND
	;;#ASMSTART
	v_max3_f32 v22, v1, v34, v35

	;;#ASMEND
	s_cbranch_scc0 .LBB25_10
; %bb.4:
	s_ashr_i32 s7, s10, 31
	s_delay_alu instid0(SALU_CYCLE_1) | instskip(NEXT) | instid1(SALU_CYCLE_1)
	s_lshr_b32 s1, s7, 28
	s_add_i32 s1, s10, s1
	s_delay_alu instid0(SALU_CYCLE_1) | instskip(NEXT) | instid1(SALU_CYCLE_1)
	s_ashr_i32 s1, s1, 4
	s_cmp_lt_i32 s1, 8
	s_cbranch_scc1 .LBB25_11
; %bb.5:
	s_cmp_lt_i32 s1, 16
	s_cbranch_scc1 .LBB25_12
; %bb.6:
	;; [unrolled: 3-line block ×3, first 2 shown]
	v_mov_b32_e32 v1, v22
	s_cmp_eq_u32 s1, 32
	s_cbranch_scc0 .LBB25_9
; %bb.8:
	s_delay_alu instid0(VALU_DEP_1) | instskip(SKIP_1) | instid1(VALU_DEP_1)
	v_mov_b32_dpp v1, v22 quad_perm:[1,0,3,2] row_mask:0xf bank_mask:0xf
	s_mov_b32 s2, 0x76543210
	v_cmp_gt_f32_e32 vcc_lo, v22, v1
	v_cndmask_b32_e32 v1, v1, v22, vcc_lo
	s_delay_alu instid0(VALU_DEP_1) | instskip(NEXT) | instid1(VALU_DEP_1)
	v_mov_b32_dpp v2, v1 quad_perm:[2,3,0,1] row_mask:0xf bank_mask:0xf
	v_cmp_gt_f32_e32 vcc_lo, v1, v2
	v_cndmask_b32_e32 v1, v2, v1, vcc_lo
	s_delay_alu instid0(VALU_DEP_1) | instskip(NEXT) | instid1(VALU_DEP_1)
	v_mov_b32_dpp v2, v1 row_xmask:7 row_mask:0xf bank_mask:0xf
	v_cmp_gt_f32_e32 vcc_lo, v1, v2
	v_cndmask_b32_e32 v1, v2, v1, vcc_lo
	s_delay_alu instid0(VALU_DEP_1) | instskip(NEXT) | instid1(VALU_DEP_1)
	v_mov_b32_dpp v2, v1 row_xmask:15 row_mask:0xf bank_mask:0xf
	v_cmp_gt_f32_e32 vcc_lo, v1, v2
	v_cndmask_b32_e32 v1, v2, v1, vcc_lo
	s_delay_alu instid0(VALU_DEP_1) | instskip(NEXT) | instid1(VALU_DEP_1)
	v_permlanex16_b32 v2, v1, s2, 0xfedcba98 op_sel:[1,1]
	v_cmp_gt_f32_e32 vcc_lo, v1, v2
	v_cndmask_b32_e32 v1, v2, v1, vcc_lo
.LBB25_9:
	s_mov_b32 s2, 0
	s_branch .LBB25_14
.LBB25_10:
	s_mov_b32 s1, 0
                                        ; implicit-def: $vgpr19
                                        ; implicit-def: $vgpr1_vgpr2
	s_and_b32 vcc_lo, exec_lo, s31
	s_cbranch_vccnz .LBB25_38
	s_branch .LBB25_41
.LBB25_11:
                                        ; implicit-def: $vgpr1
	s_branch .LBB25_21
.LBB25_12:
                                        ; implicit-def: $vgpr1
	s_branch .LBB25_18
.LBB25_13:
	s_mov_b32 s2, -1
                                        ; implicit-def: $vgpr1
.LBB25_14:
	s_delay_alu instid0(SALU_CYCLE_1)
	s_and_not1_b32 vcc_lo, exec_lo, s2
	s_cbranch_vccnz .LBB25_17
; %bb.15:
	v_mov_b32_e32 v1, v22
	s_cmp_eq_u32 s1, 16
	s_cbranch_scc0 .LBB25_17
; %bb.16:
	s_delay_alu instid0(VALU_DEP_1) | instskip(NEXT) | instid1(VALU_DEP_1)
	v_mov_b32_dpp v1, v22 quad_perm:[1,0,3,2] row_mask:0xf bank_mask:0xf
	v_cmp_gt_f32_e32 vcc_lo, v22, v1
	v_cndmask_b32_e32 v1, v1, v22, vcc_lo
	s_delay_alu instid0(VALU_DEP_1) | instskip(NEXT) | instid1(VALU_DEP_1)
	v_mov_b32_dpp v2, v1 quad_perm:[2,3,0,1] row_mask:0xf bank_mask:0xf
	v_cmp_gt_f32_e32 vcc_lo, v1, v2
	v_cndmask_b32_e32 v1, v2, v1, vcc_lo
	s_delay_alu instid0(VALU_DEP_1) | instskip(NEXT) | instid1(VALU_DEP_1)
	v_mov_b32_dpp v2, v1 row_half_mirror row_mask:0xf bank_mask:0xf
	v_cmp_gt_f32_e32 vcc_lo, v1, v2
	v_cndmask_b32_e32 v1, v2, v1, vcc_lo
	s_delay_alu instid0(VALU_DEP_1) | instskip(NEXT) | instid1(VALU_DEP_1)
	v_mov_b32_dpp v2, v1 row_mirror row_mask:0xf bank_mask:0xf
	v_cmp_gt_f32_e32 vcc_lo, v1, v2
	v_cndmask_b32_e32 v1, v2, v1, vcc_lo
.LBB25_17:
	s_cbranch_execnz .LBB25_20
.LBB25_18:
	v_mov_b32_e32 v1, v22
	s_cmp_eq_u32 s1, 8
	s_cbranch_scc0 .LBB25_20
; %bb.19:
	s_delay_alu instid0(VALU_DEP_1) | instskip(NEXT) | instid1(VALU_DEP_1)
	v_mov_b32_dpp v1, v22 quad_perm:[1,0,3,2] row_mask:0xf bank_mask:0xf
	v_cmp_gt_f32_e32 vcc_lo, v22, v1
	v_cndmask_b32_e32 v1, v1, v22, vcc_lo
	s_delay_alu instid0(VALU_DEP_1) | instskip(NEXT) | instid1(VALU_DEP_1)
	v_mov_b32_dpp v2, v1 quad_perm:[2,3,0,1] row_mask:0xf bank_mask:0xf
	v_cmp_gt_f32_e32 vcc_lo, v1, v2
	v_cndmask_b32_e32 v1, v2, v1, vcc_lo
	s_delay_alu instid0(VALU_DEP_1) | instskip(NEXT) | instid1(VALU_DEP_1)
	v_mov_b32_dpp v2, v1 row_half_mirror row_mask:0xf bank_mask:0xf
	v_cmp_gt_f32_e32 vcc_lo, v1, v2
	v_cndmask_b32_e32 v1, v2, v1, vcc_lo
.LBB25_20:
	s_cbranch_execnz .LBB25_28
.LBB25_21:
	s_cmp_lt_i32 s1, 4
	s_cbranch_scc1 .LBB25_24
; %bb.22:
	v_mov_b32_e32 v1, v22
	s_cmp_eq_u32 s1, 4
	s_cbranch_scc0 .LBB25_25
; %bb.23:
	s_delay_alu instid0(VALU_DEP_1) | instskip(NEXT) | instid1(VALU_DEP_1)
	v_mov_b32_dpp v1, v22 quad_perm:[1,0,3,2] row_mask:0xf bank_mask:0xf
	v_cmp_gt_f32_e32 vcc_lo, v22, v1
	v_cndmask_b32_e32 v1, v1, v22, vcc_lo
	s_delay_alu instid0(VALU_DEP_1) | instskip(NEXT) | instid1(VALU_DEP_1)
	v_mov_b32_dpp v2, v1 quad_perm:[2,3,0,1] row_mask:0xf bank_mask:0xf
	v_cmp_gt_f32_e32 vcc_lo, v1, v2
	v_cndmask_b32_e32 v1, v2, v1, vcc_lo
	s_cbranch_execz .LBB25_26
	s_branch .LBB25_28
.LBB25_24:
                                        ; implicit-def: $vgpr1
	s_branch .LBB25_26
.LBB25_25:
	s_cbranch_execnz .LBB25_28
.LBB25_26:
	v_mov_b32_e32 v1, v22
	s_cmp_lg_u32 s1, 2
	s_cbranch_scc1 .LBB25_28
; %bb.27:
	s_delay_alu instid0(VALU_DEP_1) | instskip(NEXT) | instid1(VALU_DEP_1)
	v_mov_b32_dpp v1, v22 quad_perm:[1,0,3,2] row_mask:0xf bank_mask:0xf
	v_cmp_gt_f32_e32 vcc_lo, v22, v1
	v_cndmask_b32_e32 v1, v1, v22, vcc_lo
.LBB25_28:
	v_cvt_f32_u32_e32 v2, s1
	s_sub_i32 s2, 0, s1
	s_mov_b32 s31, 0
	s_delay_alu instid0(VALU_DEP_1) | instskip(SKIP_2) | instid1(VALU_DEP_1)
	v_rcp_iflag_f32_e32 v2, v2
	s_waitcnt_depctr 0xfff
	v_mul_f32_e32 v2, 0x4f7ffffe, v2
	v_cvt_u32_f32_e32 v2, v2
	s_delay_alu instid0(VALU_DEP_1) | instskip(NEXT) | instid1(VALU_DEP_1)
	v_mul_lo_u32 v23, s2, v2
	v_mul_hi_u32 v23, v2, v23
	s_delay_alu instid0(VALU_DEP_1) | instskip(NEXT) | instid1(VALU_DEP_1)
	v_add_nc_u32_e32 v2, v2, v23
	v_mul_hi_u32 v2, v0, v2
	s_delay_alu instid0(VALU_DEP_1) | instskip(SKIP_1) | instid1(VALU_DEP_2)
	v_mul_lo_u32 v23, v2, s1
	v_add_nc_u32_e32 v24, 1, v2
	v_sub_nc_u32_e32 v23, v0, v23
	s_delay_alu instid0(VALU_DEP_1) | instskip(SKIP_1) | instid1(VALU_DEP_2)
	v_subrev_nc_u32_e32 v25, s1, v23
	v_cmp_le_u32_e32 vcc_lo, s1, v23
	v_dual_cndmask_b32 v2, v2, v24 :: v_dual_cndmask_b32 v23, v23, v25
	s_delay_alu instid0(VALU_DEP_1) | instskip(NEXT) | instid1(VALU_DEP_2)
	v_add_nc_u32_e32 v24, 1, v2
	v_cmp_le_u32_e32 vcc_lo, s1, v23
	s_delay_alu instid0(VALU_DEP_2) | instskip(SKIP_2) | instid1(VALU_DEP_3)
	v_cndmask_b32_e32 v23, v2, v24, vcc_lo
	v_cmp_gt_u32_e32 vcc_lo, s5, v19
	v_mul_f32_e32 v19, 0x3b124925, v1
	v_mul_lo_u32 v2, v23, s1
	s_delay_alu instid0(VALU_DEP_1) | instskip(NEXT) | instid1(VALU_DEP_1)
	v_sub_nc_u32_e32 v2, v0, v2
	v_cmp_eq_u32_e64 s1, 0, v2
                                        ; implicit-def: $vgpr1_vgpr2
	s_delay_alu instid0(VALU_DEP_1) | instskip(SKIP_2) | instid1(SALU_CYCLE_1)
	s_and_b32 s2, s1, vcc_lo
	s_mov_b32 s1, 0
	s_and_saveexec_b32 s3, s2
	s_xor_b32 s8, exec_lo, s3
	s_cbranch_execz .LBB25_37
; %bb.29:
	s_bitcmp0_b32 s11, 0
	s_mov_b32 s6, 0
	s_cbranch_scc0 .LBB25_34
; %bb.30:
	s_ashr_i32 s1, s5, 31
	s_mul_hi_u32 s3, s5, s34
	s_mul_i32 s1, s1, s34
	s_mul_i32 s2, s5, s34
	s_add_i32 s3, s3, s1
	s_mov_b32 s11, s7
	s_delay_alu instid0(SALU_CYCLE_1) | instskip(NEXT) | instid1(SALU_CYCLE_1)
	s_or_b64 s[14:15], s[2:3], s[10:11]
	s_mov_b32 s7, s15
	s_delay_alu instid0(SALU_CYCLE_1)
	s_cmp_lg_u64 s[6:7], 0
	s_cbranch_scc0 .LBB25_45
; %bb.31:
	s_add_u32 s14, s10, s11
	s_mov_b32 s6, s11
	s_mov_b32 s7, s11
	s_addc_u32 s15, s11, s11
	s_delay_alu instid0(SALU_CYCLE_1) | instskip(NEXT) | instid1(SALU_CYCLE_1)
	s_xor_b64 s[14:15], s[14:15], s[6:7]
	v_cvt_f32_u32_e32 v1, s14
	v_cvt_f32_u32_e32 v2, s15
	s_sub_u32 s18, 0, s14
	s_subb_u32 s19, 0, s15
	s_delay_alu instid0(VALU_DEP_1) | instskip(NEXT) | instid1(VALU_DEP_1)
	v_fmamk_f32 v1, v2, 0x4f800000, v1
	v_rcp_f32_e32 v1, v1
	s_waitcnt_depctr 0xfff
	v_mul_f32_e32 v1, 0x5f7ffffc, v1
	s_delay_alu instid0(VALU_DEP_1) | instskip(NEXT) | instid1(VALU_DEP_1)
	v_mul_f32_e32 v2, 0x2f800000, v1
	v_trunc_f32_e32 v2, v2
	s_delay_alu instid0(VALU_DEP_1) | instskip(SKIP_1) | instid1(VALU_DEP_2)
	v_fmamk_f32 v1, v2, 0xcf800000, v1
	v_cvt_u32_f32_e32 v2, v2
	v_cvt_u32_f32_e32 v1, v1
	s_delay_alu instid0(VALU_DEP_2) | instskip(NEXT) | instid1(VALU_DEP_2)
	v_readfirstlane_b32 s1, v2
	v_readfirstlane_b32 s11, v1
	s_delay_alu instid0(VALU_DEP_2) | instskip(NEXT) | instid1(VALU_DEP_1)
	s_mul_i32 s20, s18, s1
	s_mul_hi_u32 s22, s18, s11
	s_mul_i32 s21, s19, s11
	s_add_i32 s20, s22, s20
	s_mul_i32 s23, s18, s11
	s_add_i32 s20, s20, s21
	s_mul_hi_u32 s22, s11, s23
	s_mul_hi_u32 s24, s1, s23
	s_mul_i32 s21, s1, s23
	s_mul_hi_u32 s23, s11, s20
	s_mul_i32 s11, s11, s20
	s_mul_hi_u32 s25, s1, s20
	s_add_u32 s11, s22, s11
	s_addc_u32 s22, 0, s23
	s_add_u32 s11, s11, s21
	s_mul_i32 s20, s1, s20
	s_addc_u32 s11, s22, s24
	s_addc_u32 s21, s25, 0
	s_add_u32 s11, s11, s20
	s_addc_u32 s20, 0, s21
	v_add_co_u32 v1, s11, v1, s11
	s_delay_alu instid0(VALU_DEP_1) | instskip(SKIP_1) | instid1(VALU_DEP_1)
	s_cmp_lg_u32 s11, 0
	s_addc_u32 s1, s1, s20
	v_readfirstlane_b32 s11, v1
	s_mul_i32 s20, s18, s1
	s_delay_alu instid0(VALU_DEP_1)
	s_mul_hi_u32 s21, s18, s11
	s_mul_i32 s19, s19, s11
	s_add_i32 s20, s21, s20
	s_mul_i32 s18, s18, s11
	s_add_i32 s20, s20, s19
	s_mul_hi_u32 s21, s1, s18
	s_mul_i32 s22, s1, s18
	s_mul_hi_u32 s18, s11, s18
	s_mul_hi_u32 s23, s11, s20
	s_mul_i32 s11, s11, s20
	s_mul_hi_u32 s19, s1, s20
	s_add_u32 s11, s18, s11
	s_addc_u32 s18, 0, s23
	s_add_u32 s11, s11, s22
	s_mul_i32 s20, s1, s20
	s_addc_u32 s11, s18, s21
	s_addc_u32 s18, s19, 0
	s_add_u32 s11, s11, s20
	s_addc_u32 s18, 0, s18
	v_add_co_u32 v1, s11, v1, s11
	s_delay_alu instid0(VALU_DEP_1) | instskip(SKIP_2) | instid1(SALU_CYCLE_1)
	s_cmp_lg_u32 s11, 0
	s_addc_u32 s1, s1, s18
	s_ashr_i32 s18, s3, 31
	s_add_u32 s20, s2, s18
	s_addc_u32 s21, s3, s18
	v_readfirstlane_b32 s3, v1
	s_mov_b32 s19, s18
	s_delay_alu instid0(SALU_CYCLE_1) | instskip(NEXT) | instid1(SALU_CYCLE_1)
	s_xor_b64 s[20:21], s[20:21], s[18:19]
	s_mul_i32 s22, s20, s1
	s_delay_alu instid0(VALU_DEP_1)
	s_mul_hi_u32 s23, s20, s3
	s_mul_hi_u32 s11, s20, s1
	;; [unrolled: 1-line block ×3, first 2 shown]
	s_mul_i32 s3, s21, s3
	s_add_u32 s22, s23, s22
	s_addc_u32 s11, 0, s11
	s_mul_hi_u32 s24, s21, s1
	s_add_u32 s3, s22, s3
	s_mul_i32 s1, s21, s1
	s_addc_u32 s3, s11, s25
	s_addc_u32 s11, s24, 0
	s_add_u32 s3, s3, s1
	s_addc_u32 s11, 0, s11
	s_mul_i32 s24, s14, s3
	s_mul_hi_u32 s1, s14, s3
	s_mul_i32 s23, s14, s11
	v_sub_co_u32 v1, s20, s20, s24
	s_mul_i32 s22, s15, s3
	s_add_i32 s1, s1, s23
	s_delay_alu instid0(SALU_CYCLE_1) | instskip(NEXT) | instid1(VALU_DEP_1)
	s_add_i32 s1, s1, s22
	v_sub_co_u32 v2, s23, v1, s14
	s_sub_i32 s22, s21, s1
	s_cmp_lg_u32 s20, 0
	s_subb_u32 s22, s22, s15
	s_cmp_lg_u32 s23, 0
	v_cmp_le_u32_e32 vcc_lo, s14, v2
	s_subb_u32 s22, s22, 0
	s_delay_alu instid0(SALU_CYCLE_1)
	s_cmp_ge_u32 s22, s15
	v_cndmask_b32_e64 v2, 0, -1, vcc_lo
	s_cselect_b32 s23, -1, 0
	s_cmp_eq_u32 s22, s15
	s_cselect_b32 vcc_lo, -1, 0
	s_add_u32 s22, s3, 1
	v_cndmask_b32_e32 v2, s23, v2, vcc_lo
	s_addc_u32 s23, s11, 0
	s_add_u32 s24, s3, 2
	s_addc_u32 s25, s11, 0
	s_cmp_lg_u32 s20, 0
	v_cmp_le_u32_e32 vcc_lo, s14, v1
	s_subb_u32 s1, s21, s1
	v_mov_b32_e32 v24, s24
	s_cmp_ge_u32 s1, s15
	v_cndmask_b32_e64 v1, 0, -1, vcc_lo
	s_cselect_b32 s14, -1, 0
	s_cmp_eq_u32 s1, s15
	v_cmp_ne_u32_e32 vcc_lo, 0, v2
	v_mov_b32_e32 v2, s25
	s_cselect_b32 s1, -1, 0
	s_xor_b64 s[6:7], s[18:19], s[6:7]
	v_cndmask_b32_e64 v1, s14, v1, s1
	v_cndmask_b32_e32 v24, s22, v24, vcc_lo
	v_cndmask_b32_e32 v2, s23, v2, vcc_lo
	s_delay_alu instid0(VALU_DEP_3) | instskip(NEXT) | instid1(VALU_DEP_2)
	v_cmp_ne_u32_e32 vcc_lo, 0, v1
	v_cndmask_b32_e32 v1, s11, v2, vcc_lo
	s_delay_alu instid0(VALU_DEP_4) | instskip(NEXT) | instid1(VALU_DEP_2)
	v_cndmask_b32_e32 v2, s3, v24, vcc_lo
	v_xor_b32_e32 v24, s7, v1
	s_delay_alu instid0(VALU_DEP_2) | instskip(NEXT) | instid1(VALU_DEP_1)
	v_xor_b32_e32 v2, s6, v2
	v_sub_co_u32 v1, vcc_lo, v2, s6
	s_delay_alu instid0(VALU_DEP_3)
	v_subrev_co_ci_u32_e32 v2, vcc_lo, s7, v24, vcc_lo
	s_cbranch_execnz .LBB25_33
.LBB25_32:
	v_cvt_f32_u32_e32 v1, s10
	s_sub_i32 s3, 0, s10
	s_delay_alu instid0(VALU_DEP_1) | instskip(SKIP_2) | instid1(VALU_DEP_1)
	v_rcp_iflag_f32_e32 v1, v1
	s_waitcnt_depctr 0xfff
	v_mul_f32_e32 v1, 0x4f7ffffe, v1
	v_cvt_u32_f32_e32 v1, v1
	s_delay_alu instid0(VALU_DEP_1) | instskip(NEXT) | instid1(VALU_DEP_1)
	v_readfirstlane_b32 s1, v1
	s_mul_i32 s3, s3, s1
	s_delay_alu instid0(SALU_CYCLE_1) | instskip(NEXT) | instid1(SALU_CYCLE_1)
	s_mul_hi_u32 s3, s1, s3
	s_add_i32 s1, s1, s3
	s_delay_alu instid0(SALU_CYCLE_1) | instskip(NEXT) | instid1(SALU_CYCLE_1)
	s_mul_hi_u32 s1, s2, s1
	s_mul_i32 s3, s1, s10
	s_delay_alu instid0(SALU_CYCLE_1)
	s_sub_i32 s2, s2, s3
	s_add_i32 s3, s1, 1
	s_sub_i32 s6, s2, s10
	s_cmp_ge_u32 s2, s10
	s_cselect_b32 s1, s3, s1
	s_cselect_b32 s2, s6, s2
	s_add_i32 s6, s1, 1
	s_cmp_ge_u32 s2, s10
	s_mov_b32 s3, 0
	s_cselect_b32 s2, s6, s1
	s_delay_alu instid0(SALU_CYCLE_1)
	v_dual_mov_b32 v1, s2 :: v_dual_mov_b32 v2, s3
.LBB25_33:
	s_delay_alu instid0(VALU_DEP_1) | instskip(NEXT) | instid1(VALU_DEP_2)
	v_add_co_u32 v1, vcc_lo, v1, v23
	v_add_co_ci_u32_e32 v2, vcc_lo, 0, v2, vcc_lo
	s_branch .LBB25_36
.LBB25_34:
                                        ; implicit-def: $vgpr1_vgpr2
	s_cbranch_execz .LBB25_36
; %bb.35:
	v_mul_lo_u32 v1, v23, s4
	s_delay_alu instid0(VALU_DEP_1) | instskip(SKIP_1) | instid1(VALU_DEP_2)
	v_ashrrev_i32_e32 v2, 31, v1
	v_add_co_u32 v1, vcc_lo, v1, s34
	v_add_co_ci_u32_e32 v2, vcc_lo, 0, v2, vcc_lo
.LBB25_36:
	s_mov_b32 s1, exec_lo
.LBB25_37:
	s_or_b32 exec_lo, exec_lo, s8
	s_delay_alu instid0(SALU_CYCLE_1)
	s_and_b32 vcc_lo, exec_lo, s31
	s_cbranch_vccz .LBB25_41
.LBB25_38:
	v_mov_b32_dpp v1, v22 quad_perm:[1,0,3,2] row_mask:0xf bank_mask:0xf
	s_delay_alu instid0(VALU_DEP_1) | instskip(SKIP_1) | instid1(VALU_DEP_1)
	v_cmp_gt_f32_e32 vcc_lo, v22, v1
	v_cndmask_b32_e32 v1, v1, v22, vcc_lo
	v_mov_b32_dpp v2, v1 quad_perm:[2,3,0,1] row_mask:0xf bank_mask:0xf
	s_delay_alu instid0(VALU_DEP_1) | instskip(SKIP_1) | instid1(VALU_DEP_1)
	v_cmp_gt_f32_e32 vcc_lo, v1, v2
	v_cndmask_b32_e32 v1, v2, v1, vcc_lo
	v_mov_b32_dpp v2, v1 row_xmask:7 row_mask:0xf bank_mask:0xf
	s_delay_alu instid0(VALU_DEP_1) | instskip(SKIP_1) | instid1(VALU_DEP_1)
	v_cmp_gt_f32_e32 vcc_lo, v1, v2
	v_cndmask_b32_e32 v1, v2, v1, vcc_lo
	v_mov_b32_dpp v2, v1 row_xmask:15 row_mask:0xf bank_mask:0xf
	s_delay_alu instid0(VALU_DEP_1)
	v_cmp_gt_f32_e32 vcc_lo, v1, v2
	s_and_saveexec_b32 s1, s0
	s_cbranch_execz .LBB25_40
; %bb.39:
	v_cndmask_b32_e32 v1, v2, v1, vcc_lo
	v_lshrrev_b32_e32 v2, 3, v0
	s_mov_b32 s0, 0x76543210
	s_delay_alu instid0(VALU_DEP_1) | instskip(NEXT) | instid1(VALU_DEP_3)
	v_and_b32_e32 v2, 0x7c, v2
	v_permlanex16_b32 v19, v1, s0, 0xfedcba98 op_sel:[1,1]
	s_delay_alu instid0(VALU_DEP_1)
	v_cmp_gt_f32_e32 vcc_lo, v1, v19
	v_cndmask_b32_e32 v1, v19, v1, vcc_lo
	ds_store_b32 v2, v1
.LBB25_40:
	s_or_b32 exec_lo, exec_lo, s1
	s_waitcnt lgkmcnt(0)
	s_barrier
	buffer_gl0_inv
	ds_load_b32 v1, v10
	v_cmp_eq_u32_e64 s1, 0, v0
	s_waitcnt lgkmcnt(0)
	v_mov_b32_dpp v2, v1 quad_perm:[1,0,3,2] row_mask:0xf bank_mask:0xf
	s_delay_alu instid0(VALU_DEP_1) | instskip(SKIP_1) | instid1(VALU_DEP_1)
	v_cmp_gt_f32_e32 vcc_lo, v1, v2
	v_cndmask_b32_e32 v1, v2, v1, vcc_lo
	v_mov_b32_dpp v2, v1 quad_perm:[2,3,0,1] row_mask:0xf bank_mask:0xf
	s_delay_alu instid0(VALU_DEP_1) | instskip(SKIP_1) | instid1(VALU_DEP_1)
	v_cmp_gt_f32_e32 vcc_lo, v1, v2
	v_cndmask_b32_e32 v1, v2, v1, vcc_lo
	v_mov_b32_dpp v2, v1 row_xmask:7 row_mask:0xf bank_mask:0xf
	s_delay_alu instid0(VALU_DEP_1) | instskip(SKIP_1) | instid1(VALU_DEP_1)
	v_cmp_gt_f32_e32 vcc_lo, v1, v2
	v_cndmask_b32_e32 v1, v2, v1, vcc_lo
	v_mov_b32_dpp v2, v1 row_xmask:15 row_mask:0xf bank_mask:0xf
	s_delay_alu instid0(VALU_DEP_1) | instskip(SKIP_1) | instid1(VALU_DEP_1)
	v_cmp_gt_f32_e32 vcc_lo, v1, v2
	v_cndmask_b32_e32 v1, v2, v1, vcc_lo
	v_mul_f32_e32 v19, 0x3b124925, v1
	v_dual_mov_b32 v1, s34 :: v_dual_mov_b32 v2, s35
.LBB25_41:
	s_and_saveexec_b32 s0, s1
	s_cbranch_execz .LBB25_43
; %bb.42:
	s_delay_alu instid0(VALU_DEP_1) | instskip(NEXT) | instid1(VALU_DEP_1)
	v_lshlrev_b64 v[0:1], 2, v[1:2]
	v_add_co_u32 v0, vcc_lo, s16, v0
	s_delay_alu instid0(VALU_DEP_2)
	v_add_co_ci_u32_e32 v1, vcc_lo, s17, v1, vcc_lo
	global_store_b32 v[0:1], v19, off
.LBB25_43:
	s_or_b32 exec_lo, exec_lo, s0
	;;#ASMSTART
	v_rcp_f32 v2, v19
	;;#ASMEND
	v_dual_mul_f32 v0, v20, v2 :: v_dual_mov_b32 v19, 0x43e00000
	v_dual_mul_f32 v1, v21, v2 :: v_dual_mov_b32 v10, 0xc3e00000
	v_mul_f32_e32 v17, v17, v2
	v_mul_f32_e32 v18, v18, v2
	;;#ASMSTART
	v_med3_f32 v0, v0, v10, v19
v_med3_f32 v1, v1, v10, v19
v_cvt_pk_fp8_f32 v20, v0, v1
	;;#ASMEND
	;;#ASMSTART
	v_med3_f32 v17, v17, v10, v19
v_med3_f32 v18, v18, v10, v19
v_cvt_pk_fp8_f32 v0, v17, v18
	;;#ASMEND
	v_perm_b32 v1, v0, v20, 0x5040100
	v_and_b32_e32 v0, 0xffffff00, v0
	s_add_i32 s0, s5, 3
	v_mul_f32_e32 v16, v16, v2
	s_ashr_i32 s1, s0, 31
	v_lshrrev_b32_e32 v17, 16, v1
	s_lshr_b32 s1, s1, 30
	v_mul_f32_e32 v13, v13, v2
	v_mul_f32_e32 v14, v14, v2
	s_add_i32 s0, s0, s1
	v_and_b32_e32 v17, 0xff, v17
	s_ashr_i32 s1, s9, 31
	s_mul_hi_u32 s3, s9, s34
	s_mul_i32 s1, s1, s34
	s_and_b32 s2, s0, -4
	v_or_b32_e32 v0, v17, v0
	v_mul_f32_e32 v15, v15, v2
	s_mul_i32 s0, s9, s34
	s_add_i32 s3, s3, s1
	s_add_u32 s0, s12, s0
	v_lshlrev_b32_e32 v0, 16, v0
	;;#ASMSTART
	v_med3_f32 v15, v15, v10, v19
v_med3_f32 v16, v16, v10, v19
v_cvt_pk_fp8_f32 v17, v15, v16
	;;#ASMEND
	;;#ASMSTART
	v_med3_f32 v13, v13, v10, v19
v_med3_f32 v14, v14, v10, v19
v_cvt_pk_fp8_f32 v15, v13, v14
	;;#ASMEND
	v_lshlrev_b32_e32 v13, 16, v15
	s_addc_u32 s1, s13, s3
	v_and_or_b32 v0, 0xffff, v1, v0
	s_and_b32 s1, s1, 0xffff
	s_mov_b32 s3, -1
	v_and_or_b32 v1, 0xffff, v17, v13
	v_mul_f32_e32 v11, v11, v2
	v_mul_f32_e32 v12, v12, v2
	v_mul_f32_e32 v7, v7, v2
	v_mul_f32_e32 v8, v8, v2
	buffer_store_b64 v[0:1], v9, s[0:3], 0 offen
	;;#ASMSTART
	s_nop 0
	;;#ASMEND
	;;#ASMSTART
	v_med3_f32 v11, v11, v10, v19
v_med3_f32 v12, v12, v10, v19
v_cvt_pk_fp8_f32 v0, v11, v12
	;;#ASMEND
	;;#ASMSTART
	v_med3_f32 v7, v7, v10, v19
v_med3_f32 v8, v8, v10, v19
v_cvt_pk_fp8_f32 v1, v7, v8
	;;#ASMEND
	v_perm_b32 v0, v1, v0, 0x5040100
	v_and_b32_e32 v1, 0xffffff00, v1
	v_mul_f32_e32 v5, v5, v2
	v_mul_f32_e32 v6, v6, v2
	;; [unrolled: 1-line block ×3, first 2 shown]
	v_lshrrev_b32_e32 v7, 16, v0
	v_mul_f32_e32 v2, v4, v2
	;;#ASMSTART
	v_med3_f32 v5, v5, v10, v19
v_med3_f32 v6, v6, v10, v19
v_cvt_pk_fp8_f32 v4, v5, v6
	;;#ASMEND
	;;#ASMSTART
	v_med3_f32 v3, v3, v10, v19
v_med3_f32 v2, v2, v10, v19
v_cvt_pk_fp8_f32 v5, v3, v2
	;;#ASMEND
	v_lshlrev_b32_e32 v2, 16, v5
	v_and_b32_e32 v7, 0xff, v7
	s_movk_i32 s4, 0x100
	s_delay_alu instid0(VALU_DEP_1) | instskip(NEXT) | instid1(VALU_DEP_1)
	v_or_b32_e32 v1, v7, v1
	v_lshlrev_b32_e32 v3, 16, v1
	v_and_or_b32 v1, 0xffff, v4, v2
	s_delay_alu instid0(VALU_DEP_2)
	v_and_or_b32 v0, 0xffff, v0, v3
	buffer_store_b64 v[0:1], v9, s[0:3], s4 offen
	;;#ASMSTART
	s_nop 0
	;;#ASMEND
.LBB25_44:
	s_nop 0
	s_sendmsg sendmsg(MSG_DEALLOC_VGPRS)
	s_endpgm
.LBB25_45:
                                        ; implicit-def: $vgpr1_vgpr2
	s_branch .LBB25_32
	.section	.rodata,"a",@progbits
	.p2align	6, 0x0
	.amdhsa_kernel _ZN5aiter24add_rmsnorm_quant_kernelIDF16_DB8_Li512ELi16ELb1ELb1ELb1ELi1EEEvPT0_PT_PfS5_S5_S5_diiiiiiib
		.amdhsa_group_segment_fixed_size 128
		.amdhsa_private_segment_fixed_size 0
		.amdhsa_kernarg_size 88
		.amdhsa_user_sgpr_count 15
		.amdhsa_user_sgpr_dispatch_ptr 0
		.amdhsa_user_sgpr_queue_ptr 0
		.amdhsa_user_sgpr_kernarg_segment_ptr 1
		.amdhsa_user_sgpr_dispatch_id 0
		.amdhsa_user_sgpr_private_segment_size 0
		.amdhsa_wavefront_size32 1
		.amdhsa_uses_dynamic_stack 0
		.amdhsa_enable_private_segment 0
		.amdhsa_system_sgpr_workgroup_id_x 1
		.amdhsa_system_sgpr_workgroup_id_y 0
		.amdhsa_system_sgpr_workgroup_id_z 0
		.amdhsa_system_sgpr_workgroup_info 0
		.amdhsa_system_vgpr_workitem_id 0
		.amdhsa_next_free_vgpr 48
		.amdhsa_next_free_sgpr 40
		.amdhsa_reserve_vcc 1
		.amdhsa_float_round_mode_32 0
		.amdhsa_float_round_mode_16_64 0
		.amdhsa_float_denorm_mode_32 3
		.amdhsa_float_denorm_mode_16_64 3
		.amdhsa_dx10_clamp 1
		.amdhsa_ieee_mode 1
		.amdhsa_fp16_overflow 0
		.amdhsa_workgroup_processor_mode 1
		.amdhsa_memory_ordered 1
		.amdhsa_forward_progress 0
		.amdhsa_shared_vgpr_count 0
		.amdhsa_exception_fp_ieee_invalid_op 0
		.amdhsa_exception_fp_denorm_src 0
		.amdhsa_exception_fp_ieee_div_zero 0
		.amdhsa_exception_fp_ieee_overflow 0
		.amdhsa_exception_fp_ieee_underflow 0
		.amdhsa_exception_fp_ieee_inexact 0
		.amdhsa_exception_int_div_zero 0
	.end_amdhsa_kernel
	.section	.text._ZN5aiter24add_rmsnorm_quant_kernelIDF16_DB8_Li512ELi16ELb1ELb1ELb1ELi1EEEvPT0_PT_PfS5_S5_S5_diiiiiiib,"axG",@progbits,_ZN5aiter24add_rmsnorm_quant_kernelIDF16_DB8_Li512ELi16ELb1ELb1ELb1ELi1EEEvPT0_PT_PfS5_S5_S5_diiiiiiib,comdat
.Lfunc_end25:
	.size	_ZN5aiter24add_rmsnorm_quant_kernelIDF16_DB8_Li512ELi16ELb1ELb1ELb1ELi1EEEvPT0_PT_PfS5_S5_S5_diiiiiiib, .Lfunc_end25-_ZN5aiter24add_rmsnorm_quant_kernelIDF16_DB8_Li512ELi16ELb1ELb1ELb1ELi1EEEvPT0_PT_PfS5_S5_S5_diiiiiiib
                                        ; -- End function
	.section	.AMDGPU.csdata,"",@progbits
; Kernel info:
; codeLenInByte = 4620
; NumSgprs: 42
; NumVgprs: 48
; ScratchSize: 0
; MemoryBound: 0
; FloatMode: 240
; IeeeMode: 1
; LDSByteSize: 128 bytes/workgroup (compile time only)
; SGPRBlocks: 5
; VGPRBlocks: 5
; NumSGPRsForWavesPerEU: 42
; NumVGPRsForWavesPerEU: 48
; Occupancy: 16
; WaveLimiterHint : 0
; COMPUTE_PGM_RSRC2:SCRATCH_EN: 0
; COMPUTE_PGM_RSRC2:USER_SGPR: 15
; COMPUTE_PGM_RSRC2:TRAP_HANDLER: 0
; COMPUTE_PGM_RSRC2:TGID_X_EN: 1
; COMPUTE_PGM_RSRC2:TGID_Y_EN: 0
; COMPUTE_PGM_RSRC2:TGID_Z_EN: 0
; COMPUTE_PGM_RSRC2:TIDIG_COMP_CNT: 0
	.section	.text._ZN5aiter24add_rmsnorm_quant_kernelItDB8_Li512ELi16ELb1ELb1ELb1ELi1EEEvPT0_PT_PfS5_S5_S5_diiiiiiib,"axG",@progbits,_ZN5aiter24add_rmsnorm_quant_kernelItDB8_Li512ELi16ELb1ELb1ELb1ELi1EEEvPT0_PT_PfS5_S5_S5_diiiiiiib,comdat
	.protected	_ZN5aiter24add_rmsnorm_quant_kernelItDB8_Li512ELi16ELb1ELb1ELb1ELi1EEEvPT0_PT_PfS5_S5_S5_diiiiiiib ; -- Begin function _ZN5aiter24add_rmsnorm_quant_kernelItDB8_Li512ELi16ELb1ELb1ELb1ELi1EEEvPT0_PT_PfS5_S5_S5_diiiiiiib
	.globl	_ZN5aiter24add_rmsnorm_quant_kernelItDB8_Li512ELi16ELb1ELb1ELb1ELi1EEEvPT0_PT_PfS5_S5_S5_diiiiiiib
	.p2align	8
	.type	_ZN5aiter24add_rmsnorm_quant_kernelItDB8_Li512ELi16ELb1ELb1ELb1ELi1EEEvPT0_PT_PfS5_S5_S5_diiiiiiib,@function
_ZN5aiter24add_rmsnorm_quant_kernelItDB8_Li512ELi16ELb1ELb1ELb1ELi1EEEvPT0_PT_PfS5_S5_S5_diiiiiiib: ; @_ZN5aiter24add_rmsnorm_quant_kernelItDB8_Li512ELi16ELb1ELb1ELb1ELi1EEEvPT0_PT_PfS5_S5_S5_diiiiiiib
; %bb.0:
	s_load_b256 s[4:11], s[0:1], 0x38
	s_mov_b32 s34, s15
	s_mov_b32 s35, 0
	s_waitcnt lgkmcnt(0)
	s_ashr_i32 s3, s4, 31
	s_mov_b32 s2, s4
	s_delay_alu instid0(SALU_CYCLE_1) | instskip(NEXT) | instid1(VALU_DEP_1)
	v_cmp_ge_i64_e64 s2, s[34:35], s[2:3]
	s_and_b32 vcc_lo, exec_lo, s2
	s_cbranch_vccnz .LBB26_44
; %bb.1:
	s_load_b256 s[12:19], s[0:1], 0x0
	s_ashr_i32 s2, s6, 31
	s_mul_hi_u32 s3, s6, s34
	s_mul_i32 s20, s2, s34
	v_lshlrev_b32_e32 v17, 4, v0
	s_add_i32 s3, s3, s20
	s_load_b256 s[20:27], s[0:1], 0x20
	s_mul_i32 s2, s6, s34
	v_lshlrev_b32_e32 v1, 3, v0
	v_and_b32_e32 v2, 0x3e00, v17
	s_lshl_b64 s[0:1], s[2:3], 1
	s_mov_b32 s31, -1
	s_delay_alu instid0(SALU_CYCLE_1) | instskip(NEXT) | instid1(VALU_DEP_1)
	s_mov_b32 s39, s31
	v_and_or_b32 v9, 0xf8, v1, v2
	s_delay_alu instid0(VALU_DEP_1)
	v_lshlrev_b32_e32 v37, 1, v9
	s_waitcnt lgkmcnt(0)
	s_add_u32 s28, s18, s0
	s_addc_u32 s0, s19, s1
	s_add_i32 s2, s5, 1
	s_and_b32 s29, s0, 0xffff
	s_lshr_b32 s3, s2, 31
	s_ashr_i32 s0, s7, 31
	s_add_i32 s2, s2, s3
	s_mul_hi_u32 s3, s7, s34
	s_lshl_b32 s2, s2, 1
	s_mul_i32 s0, s0, s34
	s_and_b32 s30, s2, -4
	s_mul_i32 s2, s7, s34
	s_add_i32 s3, s3, s0
	s_movk_i32 s1, 0x200
	s_lshl_b64 s[2:3], s[2:3], 1
	s_and_b32 s37, s23, 0xffff
	s_clause 0x1
	buffer_load_b128 v[10:13], v37, s[28:31], 0 offen glc slc
	buffer_load_b128 v[18:21], v37, s[28:31], s1 offen glc slc
	s_add_u32 s28, s20, s2
	s_addc_u32 s0, s21, s3
	s_mov_b32 s36, s22
	s_and_b32 s29, s0, 0xffff
	s_clause 0x1
	buffer_load_b128 v[22:25], v37, s[28:31], 0 offen glc slc
	buffer_load_b128 v[26:29], v37, s[28:31], s1 offen glc slc
	s_mov_b32 s38, s30
	s_ashr_i32 s0, s8, 31
	s_mul_hi_u32 s3, s8, s34
	s_mul_i32 s0, s0, s34
	s_mul_i32 s2, s8, s34
	s_add_i32 s3, s3, s0
	s_delay_alu instid0(SALU_CYCLE_1) | instskip(NEXT) | instid1(SALU_CYCLE_1)
	s_lshl_b64 s[2:3], s[2:3], 1
	s_add_u32 s28, s14, s2
	s_addc_u32 s0, s15, s3
	s_delay_alu instid0(SALU_CYCLE_1)
	s_and_b32 s29, s0, 0xffff
	s_waitcnt vmcnt(3)
	v_lshrrev_b32_e32 v14, 16, v10
	v_lshrrev_b32_e32 v15, 16, v11
	s_waitcnt vmcnt(2)
	v_lshrrev_b32_e32 v34, 16, v18
	v_and_b32_e32 v35, 0xffff, v18
	v_and_b32_e32 v16, 0xffff, v11
	v_lshrrev_b32_e32 v30, 16, v12
	s_waitcnt vmcnt(1)
	v_lshrrev_b32_e32 v18, 16, v23
	v_cvt_f32_u32_e32 v15, v15
	v_lshrrev_b32_e32 v36, 16, v19
	v_lshrrev_b32_e32 v39, 16, v20
	;; [unrolled: 1-line block ×3, first 2 shown]
	v_cvt_f32_u32_e32 v18, v18
	v_and_b32_e32 v31, 0xffff, v12
	v_cvt_f32_u32_e32 v12, v14
	v_and_b32_e32 v14, 0xffff, v23
	v_and_b32_e32 v40, 0xffff, v20
	v_cvt_f32_u32_e32 v16, v16
	v_lshrrev_b32_e32 v20, 16, v24
	v_lshrrev_b32_e32 v32, 16, v13
	v_cvt_f32_u32_e32 v14, v14
	v_and_b32_e32 v38, 0xffff, v19
	v_and_b32_e32 v19, 0xffff, v24
	;; [unrolled: 1-line block ×3, first 2 shown]
	v_cvt_f32_u32_e32 v11, v11
	v_cvt_f32_u32_e32 v20, v20
	v_and_b32_e32 v13, 0xffff, v22
	v_cvt_f32_u32_e32 v19, v19
	s_delay_alu instid0(VALU_DEP_4)
	v_dual_add_f32 v11, v12, v11 :: v_dual_and_b32 v10, 0xffff, v10
	s_waitcnt vmcnt(0)
	v_lshrrev_b32_e32 v24, 16, v26
	v_cvt_f32_u32_e32 v13, v13
	v_lshrrev_b32_e32 v41, 16, v21
	v_cvt_f32_u32_e32 v10, v10
	;; [unrolled: 2-line block ×3, first 2 shown]
	v_and_b32_e32 v42, 0xffff, v21
	s_delay_alu instid0(VALU_DEP_4) | instskip(SKIP_4) | instid1(VALU_DEP_4)
	v_add_f32_e32 v12, v10, v13
	v_dual_mul_f32 v10, v11, v11 :: v_dual_add_f32 v13, v16, v14
	v_add_f32_e32 v14, v15, v18
	v_cvt_f32_u32_e32 v16, v31
	v_cvt_f32_u32_e32 v18, v30
	v_fmac_f32_e32 v10, v12, v12
	s_clause 0x1
	buffer_load_b128 v[5:8], v37, s[36:39], 0 offen
	buffer_load_b128 v[1:4], v37, s[36:39], s1 offen
	v_cvt_f32_u32_e32 v22, v22
	v_dual_add_f32 v15, v16, v19 :: v_dual_add_f32 v16, v18, v20
	v_fmac_f32_e32 v10, v13, v13
	v_cvt_f32_u32_e32 v20, v32
	v_and_b32_e32 v30, 0xffff, v29
	v_lshrrev_b32_e32 v29, 16, v29
	v_perm_b32 v31, v16, v15, 0x7060302
	v_fmac_f32_e32 v10, v14, v14
	v_cvt_f32_u32_e32 v19, v33
	v_cvt_f32_u32_e32 v30, v30
	;; [unrolled: 1-line block ×3, first 2 shown]
	s_delay_alu instid0(VALU_DEP_4) | instskip(NEXT) | instid1(VALU_DEP_1)
	v_dual_fmac_f32 v10, v15, v15 :: v_dual_and_b32 v21, 0xffff, v25
	v_dual_fmac_f32 v10, v16, v16 :: v_dual_and_b32 v25, 0xffff, v27
	s_delay_alu instid0(VALU_DEP_2) | instskip(SKIP_2) | instid1(VALU_DEP_4)
	v_cvt_f32_u32_e32 v21, v21
	v_and_b32_e32 v23, 0xffff, v26
	v_lshrrev_b32_e32 v26, 16, v27
	v_cvt_f32_u32_e32 v25, v25
	s_delay_alu instid0(VALU_DEP_4)
	v_dual_add_f32 v18, v19, v21 :: v_dual_and_b32 v27, 0xffff, v28
	v_cvt_f32_u32_e32 v21, v35
	v_cvt_f32_u32_e32 v23, v23
	v_add_f32_e32 v19, v20, v22
	v_cvt_f32_u32_e32 v22, v34
	v_fmac_f32_e32 v10, v18, v18
	v_cvt_f32_u32_e32 v26, v26
	v_add_f32_e32 v20, v21, v23
	v_cvt_f32_u32_e32 v23, v38
	v_add_f32_e32 v21, v22, v24
	v_cvt_f32_u32_e32 v24, v36
	v_lshrrev_b32_e32 v28, 16, v28
	v_cvt_f32_u32_e32 v27, v27
	v_add_f32_e32 v22, v23, v25
	s_delay_alu instid0(VALU_DEP_4)
	v_dual_add_f32 v23, v24, v26 :: v_dual_and_b32 v38, 31, v0
	v_cvt_f32_u32_e32 v25, v40
	v_cvt_f32_u32_e32 v26, v39
	;; [unrolled: 1-line block ×3, first 2 shown]
	v_perm_b32 v32, v19, v18, 0x7060302
	v_perm_b32 v34, v23, v22, 0x7060302
	v_add_f32_e32 v24, v25, v27
	v_cvt_f32_u32_e32 v27, v42
	v_add_f32_e32 v25, v26, v28
	v_cvt_f32_u32_e32 v28, v41
	v_fmac_f32_e32 v10, v19, v19
	v_perm_b32 v33, v21, v20, 0x7060302
	v_add_f32_e32 v26, v27, v30
	v_perm_b32 v30, v14, v13, 0x7060302
	v_add_f32_e32 v27, v28, v29
	v_fmac_f32_e32 v10, v20, v20
	v_perm_b32 v29, v11, v12, 0x7060302
	v_perm_b32 v35, v25, v24, 0x7060302
	v_cmp_eq_u32_e64 s0, 31, v38
	v_perm_b32 v36, v27, v26, 0x7060302
	v_fmac_f32_e32 v10, v21, v21
	buffer_store_b128 v[29:32], v37, s[28:31], 0 offen glc slc
	;;#ASMSTART
	s_nop 0
	;;#ASMEND
	buffer_store_b128 v[33:36], v37, s[28:31], s1 offen glc slc
	v_fmac_f32_e32 v10, v22, v22
	;;#ASMSTART
	s_nop 0
	;;#ASMEND
	s_delay_alu instid0(VALU_DEP_1) | instskip(NEXT) | instid1(VALU_DEP_1)
	v_fmac_f32_e32 v10, v23, v23
	v_fmac_f32_e32 v10, v24, v24
	s_delay_alu instid0(VALU_DEP_1) | instskip(NEXT) | instid1(VALU_DEP_1)
	v_fmac_f32_e32 v10, v25, v25
	v_fmac_f32_e32 v10, v26, v26
	s_delay_alu instid0(VALU_DEP_1) | instskip(NEXT) | instid1(VALU_DEP_1)
	v_fmac_f32_e32 v10, v27, v27
	v_mov_b32_dpp v28, v10 quad_perm:[1,0,3,2] row_mask:0xf bank_mask:0xf
	s_delay_alu instid0(VALU_DEP_1) | instskip(NEXT) | instid1(VALU_DEP_1)
	v_add_f32_e32 v10, v10, v28
	v_mov_b32_dpp v28, v10 quad_perm:[2,3,0,1] row_mask:0xf bank_mask:0xf
	s_delay_alu instid0(VALU_DEP_1) | instskip(NEXT) | instid1(VALU_DEP_1)
	v_add_f32_e32 v10, v10, v28
	v_mov_b32_dpp v28, v10 row_xmask:7 row_mask:0xf bank_mask:0xf
	s_delay_alu instid0(VALU_DEP_1) | instskip(NEXT) | instid1(VALU_DEP_1)
	v_add_f32_e32 v10, v10, v28
	v_mov_b32_dpp v28, v10 row_xmask:15 row_mask:0xf bank_mask:0xf
	s_and_saveexec_b32 s1, s0
	s_cbranch_execz .LBB26_3
; %bb.2:
	s_delay_alu instid0(VALU_DEP_1) | instskip(SKIP_2) | instid1(VALU_DEP_2)
	v_add_f32_e32 v10, v10, v28
	s_mov_b32 s2, 0x76543210
	v_lshrrev_b32_e32 v28, 3, v0
	v_permlanex16_b32 v29, v10, s2, 0xfedcba98 op_sel:[1,1]
	s_delay_alu instid0(VALU_DEP_2) | instskip(NEXT) | instid1(VALU_DEP_2)
	v_and_b32_e32 v28, 0x7c, v28
	v_add_f32_e32 v10, v10, v29
	ds_store_b32 v28, v10 offset:64
.LBB26_3:
	s_or_b32 exec_lo, exec_lo, s1
	v_and_b32_e32 v10, 15, v0
	s_waitcnt vmcnt(0) lgkmcnt(0)
	s_waitcnt_vscnt null, 0x0
	s_barrier
	buffer_gl0_inv
	v_cvt_f32_i32_e32 v30, s5
	v_dual_mov_b32 v37, 0x2edbe6ff :: v_dual_lshlrev_b32 v10, 2, v10
	s_cmp_lg_u32 s10, 0
	v_and_b32_e32 v35, 0xffff, v2
	v_lshrrev_b32_e32 v2, 16, v2
	ds_load_b32 v28, v10 offset:64
	v_cvt_f32_u32_e32 v35, v35
	v_cvt_f32_u32_e32 v2, v2
	s_waitcnt lgkmcnt(0)
	v_mov_b32_dpp v29, v28 quad_perm:[1,0,3,2] row_mask:0xf bank_mask:0xf
	s_delay_alu instid0(VALU_DEP_1) | instskip(NEXT) | instid1(VALU_DEP_1)
	v_add_f32_e32 v28, v28, v29
	v_mov_b32_dpp v29, v28 quad_perm:[2,3,0,1] row_mask:0xf bank_mask:0xf
	s_delay_alu instid0(VALU_DEP_1) | instskip(NEXT) | instid1(VALU_DEP_1)
	v_add_f32_e32 v28, v28, v29
	v_mov_b32_dpp v29, v28 row_xmask:7 row_mask:0xf bank_mask:0xf
	s_delay_alu instid0(VALU_DEP_1) | instskip(NEXT) | instid1(VALU_DEP_1)
	v_add_f32_e32 v28, v28, v29
	v_mov_b32_dpp v29, v28 row_xmask:15 row_mask:0xf bank_mask:0xf
	s_delay_alu instid0(VALU_DEP_1) | instskip(NEXT) | instid1(VALU_DEP_1)
	v_add_f32_e32 v28, v28, v29
	v_div_scale_f32 v29, null, v30, v30, v28
	v_div_scale_f32 v33, vcc_lo, v28, v30, v28
	s_delay_alu instid0(VALU_DEP_2) | instskip(SKIP_2) | instid1(VALU_DEP_1)
	v_rcp_f32_e32 v31, v29
	s_waitcnt_depctr 0xfff
	v_fma_f32 v32, -v29, v31, 1.0
	v_fmac_f32_e32 v31, v32, v31
	s_delay_alu instid0(VALU_DEP_1) | instskip(NEXT) | instid1(VALU_DEP_1)
	v_mul_f32_e32 v32, v33, v31
	v_fma_f32 v34, -v29, v32, v33
	s_delay_alu instid0(VALU_DEP_1) | instskip(NEXT) | instid1(VALU_DEP_1)
	v_fmac_f32_e32 v32, v34, v31
	v_fma_f32 v29, -v29, v32, v33
	v_and_b32_e32 v33, 0xffff, v1
	v_lshrrev_b32_e32 v1, 16, v1
	s_delay_alu instid0(VALU_DEP_3) | instskip(NEXT) | instid1(VALU_DEP_3)
	v_div_fmas_f32 v29, v29, v31, v32
	v_cvt_f32_u32_e32 v33, v33
	v_and_b32_e32 v31, 0xffff, v7
	v_lshrrev_b32_e32 v7, 16, v7
	v_cvt_f32_u32_e32 v1, v1
	v_div_fixup_f32 v28, v29, v30, v28
	s_delay_alu instid0(VALU_DEP_4) | instskip(NEXT) | instid1(VALU_DEP_4)
	v_cvt_f32_u32_e32 v31, v31
	v_cvt_f32_u32_e32 v7, v7
	s_delay_alu instid0(VALU_DEP_3) | instskip(NEXT) | instid1(VALU_DEP_1)
	v_cvt_f64_f32_e32 v[28:29], v28
	v_add_f64 v[28:29], v[28:29], s[24:25]
	s_delay_alu instid0(VALU_DEP_1) | instskip(SKIP_2) | instid1(VALU_DEP_2)
	v_cvt_f32_f64_e32 v28, v[28:29]
	v_and_b32_e32 v29, 0xffff, v5
	v_lshrrev_b32_e32 v5, 16, v5
	v_cvt_f32_u32_e32 v29, v29
	s_delay_alu instid0(VALU_DEP_2) | instskip(SKIP_2) | instid1(VALU_DEP_2)
	v_cvt_f32_u32_e32 v5, v5
	v_mul_f32_e32 v34, 0x4b800000, v28
	v_cmp_gt_f32_e32 vcc_lo, 0x800000, v28
	v_cndmask_b32_e32 v28, v28, v34, vcc_lo
	s_delay_alu instid0(VALU_DEP_1) | instskip(SKIP_2) | instid1(VALU_DEP_1)
	v_rsq_f32_e32 v28, v28
	s_waitcnt_depctr 0xfff
	v_mul_f32_e32 v38, 0x45800000, v28
	v_cndmask_b32_e32 v28, v28, v38, vcc_lo
	v_and_b32_e32 v30, 0xffff, v6
	v_lshrrev_b32_e32 v6, 16, v6
	v_and_b32_e32 v34, 0xffff, v3
	v_lshrrev_b32_e32 v3, 16, v3
	v_mul_f32_e32 v16, v16, v28
	v_mul_f32_e32 v22, v22, v28
	v_and_b32_e32 v36, 0xffff, v4
	v_cvt_f32_u32_e32 v6, v6
	v_cvt_f32_u32_e32 v3, v3
	v_mul_f32_e32 v14, v14, v28
	v_dual_mul_f32 v25, v25, v28 :: v_dual_mul_f32 v16, v16, v7
	v_mul_f32_e32 v26, v26, v28
	v_mul_f32_e32 v7, v22, v35
	v_cvt_f32_u32_e32 v36, v36
	v_mul_f32_e32 v39, v19, v28
	v_dual_mul_f32 v19, v14, v6 :: v_dual_mul_f32 v6, v25, v3
	v_lshrrev_b32_e32 v4, 16, v4
	s_delay_alu instid0(VALU_DEP_4)
	v_mul_f32_e32 v3, v26, v36
	v_mul_f32_e32 v11, v11, v28
	v_and_b32_e32 v32, 0xffff, v8
	v_lshrrev_b32_e32 v8, 16, v8
	v_cvt_f32_u32_e32 v30, v30
	v_mul_f32_e32 v13, v13, v28
	v_mul_f32_e32 v23, v23, v28
	;; [unrolled: 1-line block ×3, first 2 shown]
	v_cvt_f32_u32_e32 v8, v8
	v_mul_f32_e32 v38, v18, v28
	v_mul_f32_e32 v41, v21, v28
	v_dual_mul_f32 v18, v13, v30 :: v_dual_mul_f32 v21, v11, v5
	s_delay_alu instid0(VALU_DEP_4)
	v_mul_f32_e32 v14, v39, v8
	v_dual_mul_f32 v8, v23, v2 :: v_dual_and_b32 v23, 0x7fffffff, v19
	v_mul_f32_e32 v15, v15, v28
	v_cvt_f32_u32_e32 v32, v32
	v_mul_f32_e32 v40, v20, v28
	v_mul_f32_e32 v20, v12, v29
	v_cvt_f32_u32_e32 v34, v34
	v_cvt_f32_u32_e32 v4, v4
	v_mul_f32_e32 v24, v24, v28
	v_dual_mul_f32 v27, v27, v28 :: v_dual_and_b32 v2, 0x7fffffff, v21
	v_mul_f32_e32 v15, v15, v31
	v_mul_f32_e32 v13, v38, v32
	;; [unrolled: 1-line block ×3, first 2 shown]
	v_dual_mul_f32 v12, v41, v1 :: v_dual_and_b32 v1, 0x7fffffff, v20
	;;#ASMSTART
	v_max3_f32 v1, v37, v1, v2

	;;#ASMEND
	v_dual_mul_f32 v5, v24, v34 :: v_dual_mul_f32 v4, v27, v4
	v_and_b32_e32 v22, 0x7fffffff, v18
	;;#ASMSTART
	v_max3_f32 v1, v1, v22, v23

	;;#ASMEND
	v_and_b32_e32 v24, 0x7fffffff, v15
	v_and_b32_e32 v25, 0x7fffffff, v16
	;;#ASMSTART
	v_max3_f32 v1, v1, v24, v25

	;;#ASMEND
	v_and_b32_e32 v26, 0x7fffffff, v13
	;; [unrolled: 6-line block ×5, first 2 shown]
	v_and_b32_e32 v33, 0x7fffffff, v6
	v_and_b32_e32 v34, 0x7fffffff, v3
	;; [unrolled: 1-line block ×3, first 2 shown]
	;;#ASMSTART
	v_max3_f32 v1, v1, v32, v33

	;;#ASMEND
	;;#ASMSTART
	v_max3_f32 v22, v1, v34, v35

	;;#ASMEND
	s_cbranch_scc0 .LBB26_10
; %bb.4:
	s_ashr_i32 s7, s10, 31
	s_delay_alu instid0(SALU_CYCLE_1) | instskip(NEXT) | instid1(SALU_CYCLE_1)
	s_lshr_b32 s1, s7, 28
	s_add_i32 s1, s10, s1
	s_delay_alu instid0(SALU_CYCLE_1) | instskip(NEXT) | instid1(SALU_CYCLE_1)
	s_ashr_i32 s1, s1, 4
	s_cmp_lt_i32 s1, 8
	s_cbranch_scc1 .LBB26_11
; %bb.5:
	s_cmp_lt_i32 s1, 16
	s_cbranch_scc1 .LBB26_12
; %bb.6:
	;; [unrolled: 3-line block ×3, first 2 shown]
	v_mov_b32_e32 v1, v22
	s_cmp_eq_u32 s1, 32
	s_cbranch_scc0 .LBB26_9
; %bb.8:
	s_delay_alu instid0(VALU_DEP_1) | instskip(SKIP_1) | instid1(VALU_DEP_1)
	v_mov_b32_dpp v1, v22 quad_perm:[1,0,3,2] row_mask:0xf bank_mask:0xf
	s_mov_b32 s2, 0x76543210
	v_cmp_gt_f32_e32 vcc_lo, v22, v1
	v_cndmask_b32_e32 v1, v1, v22, vcc_lo
	s_delay_alu instid0(VALU_DEP_1) | instskip(NEXT) | instid1(VALU_DEP_1)
	v_mov_b32_dpp v2, v1 quad_perm:[2,3,0,1] row_mask:0xf bank_mask:0xf
	v_cmp_gt_f32_e32 vcc_lo, v1, v2
	v_cndmask_b32_e32 v1, v2, v1, vcc_lo
	s_delay_alu instid0(VALU_DEP_1) | instskip(NEXT) | instid1(VALU_DEP_1)
	v_mov_b32_dpp v2, v1 row_xmask:7 row_mask:0xf bank_mask:0xf
	v_cmp_gt_f32_e32 vcc_lo, v1, v2
	v_cndmask_b32_e32 v1, v2, v1, vcc_lo
	s_delay_alu instid0(VALU_DEP_1) | instskip(NEXT) | instid1(VALU_DEP_1)
	v_mov_b32_dpp v2, v1 row_xmask:15 row_mask:0xf bank_mask:0xf
	v_cmp_gt_f32_e32 vcc_lo, v1, v2
	v_cndmask_b32_e32 v1, v2, v1, vcc_lo
	s_delay_alu instid0(VALU_DEP_1) | instskip(NEXT) | instid1(VALU_DEP_1)
	v_permlanex16_b32 v2, v1, s2, 0xfedcba98 op_sel:[1,1]
	v_cmp_gt_f32_e32 vcc_lo, v1, v2
	v_cndmask_b32_e32 v1, v2, v1, vcc_lo
.LBB26_9:
	s_mov_b32 s2, 0
	s_branch .LBB26_14
.LBB26_10:
	s_mov_b32 s1, 0
                                        ; implicit-def: $vgpr17
                                        ; implicit-def: $vgpr1_vgpr2
	s_and_b32 vcc_lo, exec_lo, s31
	s_cbranch_vccnz .LBB26_38
	s_branch .LBB26_41
.LBB26_11:
                                        ; implicit-def: $vgpr1
	s_branch .LBB26_21
.LBB26_12:
                                        ; implicit-def: $vgpr1
	s_branch .LBB26_18
.LBB26_13:
	s_mov_b32 s2, -1
                                        ; implicit-def: $vgpr1
.LBB26_14:
	s_delay_alu instid0(SALU_CYCLE_1)
	s_and_not1_b32 vcc_lo, exec_lo, s2
	s_cbranch_vccnz .LBB26_17
; %bb.15:
	v_mov_b32_e32 v1, v22
	s_cmp_eq_u32 s1, 16
	s_cbranch_scc0 .LBB26_17
; %bb.16:
	s_delay_alu instid0(VALU_DEP_1) | instskip(NEXT) | instid1(VALU_DEP_1)
	v_mov_b32_dpp v1, v22 quad_perm:[1,0,3,2] row_mask:0xf bank_mask:0xf
	v_cmp_gt_f32_e32 vcc_lo, v22, v1
	v_cndmask_b32_e32 v1, v1, v22, vcc_lo
	s_delay_alu instid0(VALU_DEP_1) | instskip(NEXT) | instid1(VALU_DEP_1)
	v_mov_b32_dpp v2, v1 quad_perm:[2,3,0,1] row_mask:0xf bank_mask:0xf
	v_cmp_gt_f32_e32 vcc_lo, v1, v2
	v_cndmask_b32_e32 v1, v2, v1, vcc_lo
	s_delay_alu instid0(VALU_DEP_1) | instskip(NEXT) | instid1(VALU_DEP_1)
	v_mov_b32_dpp v2, v1 row_half_mirror row_mask:0xf bank_mask:0xf
	v_cmp_gt_f32_e32 vcc_lo, v1, v2
	v_cndmask_b32_e32 v1, v2, v1, vcc_lo
	s_delay_alu instid0(VALU_DEP_1) | instskip(NEXT) | instid1(VALU_DEP_1)
	v_mov_b32_dpp v2, v1 row_mirror row_mask:0xf bank_mask:0xf
	v_cmp_gt_f32_e32 vcc_lo, v1, v2
	v_cndmask_b32_e32 v1, v2, v1, vcc_lo
.LBB26_17:
	s_cbranch_execnz .LBB26_20
.LBB26_18:
	v_mov_b32_e32 v1, v22
	s_cmp_eq_u32 s1, 8
	s_cbranch_scc0 .LBB26_20
; %bb.19:
	s_delay_alu instid0(VALU_DEP_1) | instskip(NEXT) | instid1(VALU_DEP_1)
	v_mov_b32_dpp v1, v22 quad_perm:[1,0,3,2] row_mask:0xf bank_mask:0xf
	v_cmp_gt_f32_e32 vcc_lo, v22, v1
	v_cndmask_b32_e32 v1, v1, v22, vcc_lo
	s_delay_alu instid0(VALU_DEP_1) | instskip(NEXT) | instid1(VALU_DEP_1)
	v_mov_b32_dpp v2, v1 quad_perm:[2,3,0,1] row_mask:0xf bank_mask:0xf
	v_cmp_gt_f32_e32 vcc_lo, v1, v2
	v_cndmask_b32_e32 v1, v2, v1, vcc_lo
	s_delay_alu instid0(VALU_DEP_1) | instskip(NEXT) | instid1(VALU_DEP_1)
	v_mov_b32_dpp v2, v1 row_half_mirror row_mask:0xf bank_mask:0xf
	v_cmp_gt_f32_e32 vcc_lo, v1, v2
	v_cndmask_b32_e32 v1, v2, v1, vcc_lo
.LBB26_20:
	s_cbranch_execnz .LBB26_28
.LBB26_21:
	s_cmp_lt_i32 s1, 4
	s_cbranch_scc1 .LBB26_24
; %bb.22:
	v_mov_b32_e32 v1, v22
	s_cmp_eq_u32 s1, 4
	s_cbranch_scc0 .LBB26_25
; %bb.23:
	s_delay_alu instid0(VALU_DEP_1) | instskip(NEXT) | instid1(VALU_DEP_1)
	v_mov_b32_dpp v1, v22 quad_perm:[1,0,3,2] row_mask:0xf bank_mask:0xf
	v_cmp_gt_f32_e32 vcc_lo, v22, v1
	v_cndmask_b32_e32 v1, v1, v22, vcc_lo
	s_delay_alu instid0(VALU_DEP_1) | instskip(NEXT) | instid1(VALU_DEP_1)
	v_mov_b32_dpp v2, v1 quad_perm:[2,3,0,1] row_mask:0xf bank_mask:0xf
	v_cmp_gt_f32_e32 vcc_lo, v1, v2
	v_cndmask_b32_e32 v1, v2, v1, vcc_lo
	s_cbranch_execz .LBB26_26
	s_branch .LBB26_28
.LBB26_24:
                                        ; implicit-def: $vgpr1
	s_branch .LBB26_26
.LBB26_25:
	s_cbranch_execnz .LBB26_28
.LBB26_26:
	v_mov_b32_e32 v1, v22
	s_cmp_lg_u32 s1, 2
	s_cbranch_scc1 .LBB26_28
; %bb.27:
	s_delay_alu instid0(VALU_DEP_1) | instskip(NEXT) | instid1(VALU_DEP_1)
	v_mov_b32_dpp v1, v22 quad_perm:[1,0,3,2] row_mask:0xf bank_mask:0xf
	v_cmp_gt_f32_e32 vcc_lo, v22, v1
	v_cndmask_b32_e32 v1, v1, v22, vcc_lo
.LBB26_28:
	v_cvt_f32_u32_e32 v2, s1
	s_sub_i32 s2, 0, s1
	s_mov_b32 s31, 0
	s_delay_alu instid0(VALU_DEP_1) | instskip(SKIP_2) | instid1(VALU_DEP_1)
	v_rcp_iflag_f32_e32 v2, v2
	s_waitcnt_depctr 0xfff
	v_mul_f32_e32 v2, 0x4f7ffffe, v2
	v_cvt_u32_f32_e32 v2, v2
	s_delay_alu instid0(VALU_DEP_1) | instskip(NEXT) | instid1(VALU_DEP_1)
	v_mul_lo_u32 v23, s2, v2
	v_mul_hi_u32 v23, v2, v23
	s_delay_alu instid0(VALU_DEP_1) | instskip(NEXT) | instid1(VALU_DEP_1)
	v_add_nc_u32_e32 v2, v2, v23
	v_mul_hi_u32 v2, v0, v2
	s_delay_alu instid0(VALU_DEP_1) | instskip(SKIP_1) | instid1(VALU_DEP_2)
	v_mul_lo_u32 v23, v2, s1
	v_add_nc_u32_e32 v24, 1, v2
	v_sub_nc_u32_e32 v23, v0, v23
	s_delay_alu instid0(VALU_DEP_1) | instskip(SKIP_1) | instid1(VALU_DEP_2)
	v_subrev_nc_u32_e32 v25, s1, v23
	v_cmp_le_u32_e32 vcc_lo, s1, v23
	v_dual_cndmask_b32 v2, v2, v24 :: v_dual_cndmask_b32 v23, v23, v25
	s_delay_alu instid0(VALU_DEP_1) | instskip(NEXT) | instid1(VALU_DEP_2)
	v_add_nc_u32_e32 v24, 1, v2
	v_cmp_le_u32_e32 vcc_lo, s1, v23
	s_delay_alu instid0(VALU_DEP_2) | instskip(SKIP_2) | instid1(VALU_DEP_3)
	v_cndmask_b32_e32 v23, v2, v24, vcc_lo
	v_cmp_gt_u32_e32 vcc_lo, s5, v17
	v_mul_f32_e32 v17, 0x3b124925, v1
	v_mul_lo_u32 v2, v23, s1
	s_delay_alu instid0(VALU_DEP_1) | instskip(NEXT) | instid1(VALU_DEP_1)
	v_sub_nc_u32_e32 v2, v0, v2
	v_cmp_eq_u32_e64 s1, 0, v2
                                        ; implicit-def: $vgpr1_vgpr2
	s_delay_alu instid0(VALU_DEP_1) | instskip(SKIP_2) | instid1(SALU_CYCLE_1)
	s_and_b32 s2, s1, vcc_lo
	s_mov_b32 s1, 0
	s_and_saveexec_b32 s3, s2
	s_xor_b32 s8, exec_lo, s3
	s_cbranch_execz .LBB26_37
; %bb.29:
	s_bitcmp0_b32 s11, 0
	s_mov_b32 s6, 0
	s_cbranch_scc0 .LBB26_34
; %bb.30:
	s_ashr_i32 s1, s5, 31
	s_mul_hi_u32 s3, s5, s34
	s_mul_i32 s1, s1, s34
	s_mul_i32 s2, s5, s34
	s_add_i32 s3, s3, s1
	s_mov_b32 s11, s7
	s_delay_alu instid0(SALU_CYCLE_1) | instskip(NEXT) | instid1(SALU_CYCLE_1)
	s_or_b64 s[14:15], s[2:3], s[10:11]
	s_mov_b32 s7, s15
	s_delay_alu instid0(SALU_CYCLE_1)
	s_cmp_lg_u64 s[6:7], 0
	s_cbranch_scc0 .LBB26_45
; %bb.31:
	s_add_u32 s14, s10, s11
	s_mov_b32 s6, s11
	s_mov_b32 s7, s11
	s_addc_u32 s15, s11, s11
	s_delay_alu instid0(SALU_CYCLE_1) | instskip(NEXT) | instid1(SALU_CYCLE_1)
	s_xor_b64 s[14:15], s[14:15], s[6:7]
	v_cvt_f32_u32_e32 v1, s14
	v_cvt_f32_u32_e32 v2, s15
	s_sub_u32 s18, 0, s14
	s_subb_u32 s19, 0, s15
	s_delay_alu instid0(VALU_DEP_1) | instskip(NEXT) | instid1(VALU_DEP_1)
	v_fmamk_f32 v1, v2, 0x4f800000, v1
	v_rcp_f32_e32 v1, v1
	s_waitcnt_depctr 0xfff
	v_mul_f32_e32 v1, 0x5f7ffffc, v1
	s_delay_alu instid0(VALU_DEP_1) | instskip(NEXT) | instid1(VALU_DEP_1)
	v_mul_f32_e32 v2, 0x2f800000, v1
	v_trunc_f32_e32 v2, v2
	s_delay_alu instid0(VALU_DEP_1) | instskip(SKIP_1) | instid1(VALU_DEP_2)
	v_fmamk_f32 v1, v2, 0xcf800000, v1
	v_cvt_u32_f32_e32 v2, v2
	v_cvt_u32_f32_e32 v1, v1
	s_delay_alu instid0(VALU_DEP_2) | instskip(NEXT) | instid1(VALU_DEP_2)
	v_readfirstlane_b32 s1, v2
	v_readfirstlane_b32 s11, v1
	s_delay_alu instid0(VALU_DEP_2) | instskip(NEXT) | instid1(VALU_DEP_1)
	s_mul_i32 s20, s18, s1
	s_mul_hi_u32 s22, s18, s11
	s_mul_i32 s21, s19, s11
	s_add_i32 s20, s22, s20
	s_mul_i32 s23, s18, s11
	s_add_i32 s20, s20, s21
	s_mul_hi_u32 s22, s11, s23
	s_mul_hi_u32 s24, s1, s23
	s_mul_i32 s21, s1, s23
	s_mul_hi_u32 s23, s11, s20
	s_mul_i32 s11, s11, s20
	s_mul_hi_u32 s25, s1, s20
	s_add_u32 s11, s22, s11
	s_addc_u32 s22, 0, s23
	s_add_u32 s11, s11, s21
	s_mul_i32 s20, s1, s20
	s_addc_u32 s11, s22, s24
	s_addc_u32 s21, s25, 0
	s_add_u32 s11, s11, s20
	s_addc_u32 s20, 0, s21
	v_add_co_u32 v1, s11, v1, s11
	s_delay_alu instid0(VALU_DEP_1) | instskip(SKIP_1) | instid1(VALU_DEP_1)
	s_cmp_lg_u32 s11, 0
	s_addc_u32 s1, s1, s20
	v_readfirstlane_b32 s11, v1
	s_mul_i32 s20, s18, s1
	s_delay_alu instid0(VALU_DEP_1)
	s_mul_hi_u32 s21, s18, s11
	s_mul_i32 s19, s19, s11
	s_add_i32 s20, s21, s20
	s_mul_i32 s18, s18, s11
	s_add_i32 s20, s20, s19
	s_mul_hi_u32 s21, s1, s18
	s_mul_i32 s22, s1, s18
	s_mul_hi_u32 s18, s11, s18
	s_mul_hi_u32 s23, s11, s20
	s_mul_i32 s11, s11, s20
	s_mul_hi_u32 s19, s1, s20
	s_add_u32 s11, s18, s11
	s_addc_u32 s18, 0, s23
	s_add_u32 s11, s11, s22
	s_mul_i32 s20, s1, s20
	s_addc_u32 s11, s18, s21
	s_addc_u32 s18, s19, 0
	s_add_u32 s11, s11, s20
	s_addc_u32 s18, 0, s18
	v_add_co_u32 v1, s11, v1, s11
	s_delay_alu instid0(VALU_DEP_1) | instskip(SKIP_2) | instid1(SALU_CYCLE_1)
	s_cmp_lg_u32 s11, 0
	s_addc_u32 s1, s1, s18
	s_ashr_i32 s18, s3, 31
	s_add_u32 s20, s2, s18
	s_addc_u32 s21, s3, s18
	v_readfirstlane_b32 s3, v1
	s_mov_b32 s19, s18
	s_delay_alu instid0(SALU_CYCLE_1) | instskip(NEXT) | instid1(SALU_CYCLE_1)
	s_xor_b64 s[20:21], s[20:21], s[18:19]
	s_mul_i32 s22, s20, s1
	s_delay_alu instid0(VALU_DEP_1)
	s_mul_hi_u32 s23, s20, s3
	s_mul_hi_u32 s11, s20, s1
	;; [unrolled: 1-line block ×3, first 2 shown]
	s_mul_i32 s3, s21, s3
	s_add_u32 s22, s23, s22
	s_addc_u32 s11, 0, s11
	s_mul_hi_u32 s24, s21, s1
	s_add_u32 s3, s22, s3
	s_mul_i32 s1, s21, s1
	s_addc_u32 s3, s11, s25
	s_addc_u32 s11, s24, 0
	s_add_u32 s3, s3, s1
	s_addc_u32 s11, 0, s11
	s_mul_i32 s24, s14, s3
	s_mul_hi_u32 s1, s14, s3
	s_mul_i32 s23, s14, s11
	v_sub_co_u32 v1, s20, s20, s24
	s_mul_i32 s22, s15, s3
	s_add_i32 s1, s1, s23
	s_delay_alu instid0(SALU_CYCLE_1) | instskip(NEXT) | instid1(VALU_DEP_1)
	s_add_i32 s1, s1, s22
	v_sub_co_u32 v2, s23, v1, s14
	s_sub_i32 s22, s21, s1
	s_cmp_lg_u32 s20, 0
	s_subb_u32 s22, s22, s15
	s_cmp_lg_u32 s23, 0
	v_cmp_le_u32_e32 vcc_lo, s14, v2
	s_subb_u32 s22, s22, 0
	s_delay_alu instid0(SALU_CYCLE_1)
	s_cmp_ge_u32 s22, s15
	v_cndmask_b32_e64 v2, 0, -1, vcc_lo
	s_cselect_b32 s23, -1, 0
	s_cmp_eq_u32 s22, s15
	s_cselect_b32 vcc_lo, -1, 0
	s_add_u32 s22, s3, 1
	v_cndmask_b32_e32 v2, s23, v2, vcc_lo
	s_addc_u32 s23, s11, 0
	s_add_u32 s24, s3, 2
	s_addc_u32 s25, s11, 0
	s_cmp_lg_u32 s20, 0
	v_cmp_le_u32_e32 vcc_lo, s14, v1
	s_subb_u32 s1, s21, s1
	v_mov_b32_e32 v24, s24
	s_cmp_ge_u32 s1, s15
	v_cndmask_b32_e64 v1, 0, -1, vcc_lo
	s_cselect_b32 s14, -1, 0
	s_cmp_eq_u32 s1, s15
	v_cmp_ne_u32_e32 vcc_lo, 0, v2
	v_mov_b32_e32 v2, s25
	s_cselect_b32 s1, -1, 0
	s_xor_b64 s[6:7], s[18:19], s[6:7]
	v_cndmask_b32_e64 v1, s14, v1, s1
	v_cndmask_b32_e32 v24, s22, v24, vcc_lo
	v_cndmask_b32_e32 v2, s23, v2, vcc_lo
	s_delay_alu instid0(VALU_DEP_3) | instskip(NEXT) | instid1(VALU_DEP_2)
	v_cmp_ne_u32_e32 vcc_lo, 0, v1
	v_cndmask_b32_e32 v1, s11, v2, vcc_lo
	s_delay_alu instid0(VALU_DEP_4) | instskip(NEXT) | instid1(VALU_DEP_2)
	v_cndmask_b32_e32 v2, s3, v24, vcc_lo
	v_xor_b32_e32 v24, s7, v1
	s_delay_alu instid0(VALU_DEP_2) | instskip(NEXT) | instid1(VALU_DEP_1)
	v_xor_b32_e32 v2, s6, v2
	v_sub_co_u32 v1, vcc_lo, v2, s6
	s_delay_alu instid0(VALU_DEP_3)
	v_subrev_co_ci_u32_e32 v2, vcc_lo, s7, v24, vcc_lo
	s_cbranch_execnz .LBB26_33
.LBB26_32:
	v_cvt_f32_u32_e32 v1, s10
	s_sub_i32 s3, 0, s10
	s_delay_alu instid0(VALU_DEP_1) | instskip(SKIP_2) | instid1(VALU_DEP_1)
	v_rcp_iflag_f32_e32 v1, v1
	s_waitcnt_depctr 0xfff
	v_mul_f32_e32 v1, 0x4f7ffffe, v1
	v_cvt_u32_f32_e32 v1, v1
	s_delay_alu instid0(VALU_DEP_1) | instskip(NEXT) | instid1(VALU_DEP_1)
	v_readfirstlane_b32 s1, v1
	s_mul_i32 s3, s3, s1
	s_delay_alu instid0(SALU_CYCLE_1) | instskip(NEXT) | instid1(SALU_CYCLE_1)
	s_mul_hi_u32 s3, s1, s3
	s_add_i32 s1, s1, s3
	s_delay_alu instid0(SALU_CYCLE_1) | instskip(NEXT) | instid1(SALU_CYCLE_1)
	s_mul_hi_u32 s1, s2, s1
	s_mul_i32 s3, s1, s10
	s_delay_alu instid0(SALU_CYCLE_1)
	s_sub_i32 s2, s2, s3
	s_add_i32 s3, s1, 1
	s_sub_i32 s6, s2, s10
	s_cmp_ge_u32 s2, s10
	s_cselect_b32 s1, s3, s1
	s_cselect_b32 s2, s6, s2
	s_add_i32 s6, s1, 1
	s_cmp_ge_u32 s2, s10
	s_mov_b32 s3, 0
	s_cselect_b32 s2, s6, s1
	s_delay_alu instid0(SALU_CYCLE_1)
	v_dual_mov_b32 v1, s2 :: v_dual_mov_b32 v2, s3
.LBB26_33:
	s_delay_alu instid0(VALU_DEP_1) | instskip(NEXT) | instid1(VALU_DEP_2)
	v_add_co_u32 v1, vcc_lo, v1, v23
	v_add_co_ci_u32_e32 v2, vcc_lo, 0, v2, vcc_lo
	s_branch .LBB26_36
.LBB26_34:
                                        ; implicit-def: $vgpr1_vgpr2
	s_cbranch_execz .LBB26_36
; %bb.35:
	v_mul_lo_u32 v1, v23, s4
	s_delay_alu instid0(VALU_DEP_1) | instskip(SKIP_1) | instid1(VALU_DEP_2)
	v_ashrrev_i32_e32 v2, 31, v1
	v_add_co_u32 v1, vcc_lo, v1, s34
	v_add_co_ci_u32_e32 v2, vcc_lo, 0, v2, vcc_lo
.LBB26_36:
	s_mov_b32 s1, exec_lo
.LBB26_37:
	s_or_b32 exec_lo, exec_lo, s8
	s_delay_alu instid0(SALU_CYCLE_1)
	s_and_b32 vcc_lo, exec_lo, s31
	s_cbranch_vccz .LBB26_41
.LBB26_38:
	v_mov_b32_dpp v1, v22 quad_perm:[1,0,3,2] row_mask:0xf bank_mask:0xf
	s_delay_alu instid0(VALU_DEP_1) | instskip(SKIP_1) | instid1(VALU_DEP_1)
	v_cmp_gt_f32_e32 vcc_lo, v22, v1
	v_cndmask_b32_e32 v1, v1, v22, vcc_lo
	v_mov_b32_dpp v2, v1 quad_perm:[2,3,0,1] row_mask:0xf bank_mask:0xf
	s_delay_alu instid0(VALU_DEP_1) | instskip(SKIP_1) | instid1(VALU_DEP_1)
	v_cmp_gt_f32_e32 vcc_lo, v1, v2
	v_cndmask_b32_e32 v1, v2, v1, vcc_lo
	v_mov_b32_dpp v2, v1 row_xmask:7 row_mask:0xf bank_mask:0xf
	s_delay_alu instid0(VALU_DEP_1) | instskip(SKIP_1) | instid1(VALU_DEP_1)
	v_cmp_gt_f32_e32 vcc_lo, v1, v2
	v_cndmask_b32_e32 v1, v2, v1, vcc_lo
	v_mov_b32_dpp v2, v1 row_xmask:15 row_mask:0xf bank_mask:0xf
	s_delay_alu instid0(VALU_DEP_1)
	v_cmp_gt_f32_e32 vcc_lo, v1, v2
	s_and_saveexec_b32 s1, s0
	s_cbranch_execz .LBB26_40
; %bb.39:
	v_cndmask_b32_e32 v1, v2, v1, vcc_lo
	v_lshrrev_b32_e32 v2, 3, v0
	s_mov_b32 s0, 0x76543210
	s_delay_alu instid0(VALU_DEP_1) | instskip(NEXT) | instid1(VALU_DEP_3)
	v_and_b32_e32 v2, 0x7c, v2
	v_permlanex16_b32 v17, v1, s0, 0xfedcba98 op_sel:[1,1]
	s_delay_alu instid0(VALU_DEP_1)
	v_cmp_gt_f32_e32 vcc_lo, v1, v17
	v_cndmask_b32_e32 v1, v17, v1, vcc_lo
	ds_store_b32 v2, v1
.LBB26_40:
	s_or_b32 exec_lo, exec_lo, s1
	s_waitcnt lgkmcnt(0)
	s_barrier
	buffer_gl0_inv
	ds_load_b32 v1, v10
	v_cmp_eq_u32_e64 s1, 0, v0
	s_waitcnt lgkmcnt(0)
	v_mov_b32_dpp v2, v1 quad_perm:[1,0,3,2] row_mask:0xf bank_mask:0xf
	s_delay_alu instid0(VALU_DEP_1) | instskip(SKIP_1) | instid1(VALU_DEP_1)
	v_cmp_gt_f32_e32 vcc_lo, v1, v2
	v_cndmask_b32_e32 v1, v2, v1, vcc_lo
	v_mov_b32_dpp v2, v1 quad_perm:[2,3,0,1] row_mask:0xf bank_mask:0xf
	s_delay_alu instid0(VALU_DEP_1) | instskip(SKIP_1) | instid1(VALU_DEP_1)
	v_cmp_gt_f32_e32 vcc_lo, v1, v2
	v_cndmask_b32_e32 v1, v2, v1, vcc_lo
	v_mov_b32_dpp v2, v1 row_xmask:7 row_mask:0xf bank_mask:0xf
	s_delay_alu instid0(VALU_DEP_1) | instskip(SKIP_1) | instid1(VALU_DEP_1)
	v_cmp_gt_f32_e32 vcc_lo, v1, v2
	v_cndmask_b32_e32 v1, v2, v1, vcc_lo
	v_mov_b32_dpp v2, v1 row_xmask:15 row_mask:0xf bank_mask:0xf
	s_delay_alu instid0(VALU_DEP_1) | instskip(SKIP_1) | instid1(VALU_DEP_1)
	v_cmp_gt_f32_e32 vcc_lo, v1, v2
	v_cndmask_b32_e32 v1, v2, v1, vcc_lo
	v_mul_f32_e32 v17, 0x3b124925, v1
	v_dual_mov_b32 v1, s34 :: v_dual_mov_b32 v2, s35
.LBB26_41:
	s_and_saveexec_b32 s0, s1
	s_cbranch_execz .LBB26_43
; %bb.42:
	s_delay_alu instid0(VALU_DEP_1) | instskip(NEXT) | instid1(VALU_DEP_1)
	v_lshlrev_b64 v[0:1], 2, v[1:2]
	v_add_co_u32 v0, vcc_lo, s16, v0
	s_delay_alu instid0(VALU_DEP_2)
	v_add_co_ci_u32_e32 v1, vcc_lo, s17, v1, vcc_lo
	global_store_b32 v[0:1], v17, off
.LBB26_43:
	s_or_b32 exec_lo, exec_lo, s0
	;;#ASMSTART
	v_rcp_f32 v2, v17
	;;#ASMEND
	v_dual_mul_f32 v0, v20, v2 :: v_dual_mov_b32 v17, 0x43e00000
	v_dual_mul_f32 v1, v21, v2 :: v_dual_mov_b32 v10, 0xc3e00000
	v_mul_f32_e32 v18, v18, v2
	v_mul_f32_e32 v19, v19, v2
	;;#ASMSTART
	v_med3_f32 v0, v0, v10, v17
v_med3_f32 v1, v1, v10, v17
v_cvt_pk_fp8_f32 v20, v0, v1
	;;#ASMEND
	;;#ASMSTART
	v_med3_f32 v18, v18, v10, v17
v_med3_f32 v19, v19, v10, v17
v_cvt_pk_fp8_f32 v0, v18, v19
	;;#ASMEND
	v_perm_b32 v1, v0, v20, 0x5040100
	v_and_b32_e32 v0, 0xffffff00, v0
	s_add_i32 s0, s5, 3
	v_mul_f32_e32 v16, v16, v2
	s_ashr_i32 s1, s0, 31
	v_lshrrev_b32_e32 v18, 16, v1
	s_lshr_b32 s1, s1, 30
	v_mul_f32_e32 v13, v13, v2
	v_mul_f32_e32 v14, v14, v2
	s_add_i32 s0, s0, s1
	v_and_b32_e32 v18, 0xff, v18
	s_ashr_i32 s1, s9, 31
	s_mul_hi_u32 s3, s9, s34
	s_mul_i32 s1, s1, s34
	s_and_b32 s2, s0, -4
	v_or_b32_e32 v0, v18, v0
	v_mul_f32_e32 v15, v15, v2
	s_mul_i32 s0, s9, s34
	s_add_i32 s3, s3, s1
	s_add_u32 s0, s12, s0
	v_lshlrev_b32_e32 v0, 16, v0
	;;#ASMSTART
	v_med3_f32 v15, v15, v10, v17
v_med3_f32 v16, v16, v10, v17
v_cvt_pk_fp8_f32 v18, v15, v16
	;;#ASMEND
	;;#ASMSTART
	v_med3_f32 v13, v13, v10, v17
v_med3_f32 v14, v14, v10, v17
v_cvt_pk_fp8_f32 v15, v13, v14
	;;#ASMEND
	v_lshlrev_b32_e32 v13, 16, v15
	s_addc_u32 s1, s13, s3
	v_and_or_b32 v0, 0xffff, v1, v0
	s_and_b32 s1, s1, 0xffff
	s_mov_b32 s3, -1
	v_and_or_b32 v1, 0xffff, v18, v13
	v_mul_f32_e32 v11, v11, v2
	v_mul_f32_e32 v12, v12, v2
	;; [unrolled: 1-line block ×4, first 2 shown]
	buffer_store_b64 v[0:1], v9, s[0:3], 0 offen
	;;#ASMSTART
	s_nop 0
	;;#ASMEND
	;;#ASMSTART
	v_med3_f32 v11, v11, v10, v17
v_med3_f32 v12, v12, v10, v17
v_cvt_pk_fp8_f32 v0, v11, v12
	;;#ASMEND
	;;#ASMSTART
	v_med3_f32 v7, v7, v10, v17
v_med3_f32 v8, v8, v10, v17
v_cvt_pk_fp8_f32 v1, v7, v8
	;;#ASMEND
	v_perm_b32 v0, v1, v0, 0x5040100
	v_and_b32_e32 v1, 0xffffff00, v1
	v_mul_f32_e32 v5, v5, v2
	v_mul_f32_e32 v6, v6, v2
	;; [unrolled: 1-line block ×3, first 2 shown]
	v_lshrrev_b32_e32 v7, 16, v0
	v_mul_f32_e32 v2, v4, v2
	;;#ASMSTART
	v_med3_f32 v5, v5, v10, v17
v_med3_f32 v6, v6, v10, v17
v_cvt_pk_fp8_f32 v4, v5, v6
	;;#ASMEND
	;;#ASMSTART
	v_med3_f32 v3, v3, v10, v17
v_med3_f32 v2, v2, v10, v17
v_cvt_pk_fp8_f32 v5, v3, v2
	;;#ASMEND
	v_lshlrev_b32_e32 v2, 16, v5
	v_and_b32_e32 v7, 0xff, v7
	s_movk_i32 s4, 0x100
	s_delay_alu instid0(VALU_DEP_1) | instskip(NEXT) | instid1(VALU_DEP_1)
	v_or_b32_e32 v1, v7, v1
	v_lshlrev_b32_e32 v3, 16, v1
	v_and_or_b32 v1, 0xffff, v4, v2
	s_delay_alu instid0(VALU_DEP_2)
	v_and_or_b32 v0, 0xffff, v0, v3
	buffer_store_b64 v[0:1], v9, s[0:3], s4 offen
	;;#ASMSTART
	s_nop 0
	;;#ASMEND
.LBB26_44:
	s_nop 0
	s_sendmsg sendmsg(MSG_DEALLOC_VGPRS)
	s_endpgm
.LBB26_45:
                                        ; implicit-def: $vgpr1_vgpr2
	s_branch .LBB26_32
	.section	.rodata,"a",@progbits
	.p2align	6, 0x0
	.amdhsa_kernel _ZN5aiter24add_rmsnorm_quant_kernelItDB8_Li512ELi16ELb1ELb1ELb1ELi1EEEvPT0_PT_PfS5_S5_S5_diiiiiiib
		.amdhsa_group_segment_fixed_size 128
		.amdhsa_private_segment_fixed_size 0
		.amdhsa_kernarg_size 88
		.amdhsa_user_sgpr_count 15
		.amdhsa_user_sgpr_dispatch_ptr 0
		.amdhsa_user_sgpr_queue_ptr 0
		.amdhsa_user_sgpr_kernarg_segment_ptr 1
		.amdhsa_user_sgpr_dispatch_id 0
		.amdhsa_user_sgpr_private_segment_size 0
		.amdhsa_wavefront_size32 1
		.amdhsa_uses_dynamic_stack 0
		.amdhsa_enable_private_segment 0
		.amdhsa_system_sgpr_workgroup_id_x 1
		.amdhsa_system_sgpr_workgroup_id_y 0
		.amdhsa_system_sgpr_workgroup_id_z 0
		.amdhsa_system_sgpr_workgroup_info 0
		.amdhsa_system_vgpr_workitem_id 0
		.amdhsa_next_free_vgpr 43
		.amdhsa_next_free_sgpr 40
		.amdhsa_reserve_vcc 1
		.amdhsa_float_round_mode_32 0
		.amdhsa_float_round_mode_16_64 0
		.amdhsa_float_denorm_mode_32 3
		.amdhsa_float_denorm_mode_16_64 3
		.amdhsa_dx10_clamp 1
		.amdhsa_ieee_mode 1
		.amdhsa_fp16_overflow 0
		.amdhsa_workgroup_processor_mode 1
		.amdhsa_memory_ordered 1
		.amdhsa_forward_progress 0
		.amdhsa_shared_vgpr_count 0
		.amdhsa_exception_fp_ieee_invalid_op 0
		.amdhsa_exception_fp_denorm_src 0
		.amdhsa_exception_fp_ieee_div_zero 0
		.amdhsa_exception_fp_ieee_overflow 0
		.amdhsa_exception_fp_ieee_underflow 0
		.amdhsa_exception_fp_ieee_inexact 0
		.amdhsa_exception_int_div_zero 0
	.end_amdhsa_kernel
	.section	.text._ZN5aiter24add_rmsnorm_quant_kernelItDB8_Li512ELi16ELb1ELb1ELb1ELi1EEEvPT0_PT_PfS5_S5_S5_diiiiiiib,"axG",@progbits,_ZN5aiter24add_rmsnorm_quant_kernelItDB8_Li512ELi16ELb1ELb1ELb1ELi1EEEvPT0_PT_PfS5_S5_S5_diiiiiiib,comdat
.Lfunc_end26:
	.size	_ZN5aiter24add_rmsnorm_quant_kernelItDB8_Li512ELi16ELb1ELb1ELb1ELi1EEEvPT0_PT_PfS5_S5_S5_diiiiiiib, .Lfunc_end26-_ZN5aiter24add_rmsnorm_quant_kernelItDB8_Li512ELi16ELb1ELb1ELb1ELi1EEEvPT0_PT_PfS5_S5_S5_diiiiiiib
                                        ; -- End function
	.section	.AMDGPU.csdata,"",@progbits
; Kernel info:
; codeLenInByte = 4796
; NumSgprs: 42
; NumVgprs: 43
; ScratchSize: 0
; MemoryBound: 0
; FloatMode: 240
; IeeeMode: 1
; LDSByteSize: 128 bytes/workgroup (compile time only)
; SGPRBlocks: 5
; VGPRBlocks: 5
; NumSGPRsForWavesPerEU: 42
; NumVGPRsForWavesPerEU: 43
; Occupancy: 16
; WaveLimiterHint : 0
; COMPUTE_PGM_RSRC2:SCRATCH_EN: 0
; COMPUTE_PGM_RSRC2:USER_SGPR: 15
; COMPUTE_PGM_RSRC2:TRAP_HANDLER: 0
; COMPUTE_PGM_RSRC2:TGID_X_EN: 1
; COMPUTE_PGM_RSRC2:TGID_Y_EN: 0
; COMPUTE_PGM_RSRC2:TGID_Z_EN: 0
; COMPUTE_PGM_RSRC2:TIDIG_COMP_CNT: 0
	.section	.text._ZN5aiter24add_rmsnorm_quant_kernelIDF16_DB8_Li512ELi16ELb1ELb1ELb0ELi1EEEvPT0_PT_PfS5_S5_S5_diiiiiiib,"axG",@progbits,_ZN5aiter24add_rmsnorm_quant_kernelIDF16_DB8_Li512ELi16ELb1ELb1ELb0ELi1EEEvPT0_PT_PfS5_S5_S5_diiiiiiib,comdat
	.protected	_ZN5aiter24add_rmsnorm_quant_kernelIDF16_DB8_Li512ELi16ELb1ELb1ELb0ELi1EEEvPT0_PT_PfS5_S5_S5_diiiiiiib ; -- Begin function _ZN5aiter24add_rmsnorm_quant_kernelIDF16_DB8_Li512ELi16ELb1ELb1ELb0ELi1EEEvPT0_PT_PfS5_S5_S5_diiiiiiib
	.globl	_ZN5aiter24add_rmsnorm_quant_kernelIDF16_DB8_Li512ELi16ELb1ELb1ELb0ELi1EEEvPT0_PT_PfS5_S5_S5_diiiiiiib
	.p2align	8
	.type	_ZN5aiter24add_rmsnorm_quant_kernelIDF16_DB8_Li512ELi16ELb1ELb1ELb0ELi1EEEvPT0_PT_PfS5_S5_S5_diiiiiiib,@function
_ZN5aiter24add_rmsnorm_quant_kernelIDF16_DB8_Li512ELi16ELb1ELb1ELb0ELi1EEEvPT0_PT_PfS5_S5_S5_diiiiiiib: ; @_ZN5aiter24add_rmsnorm_quant_kernelIDF16_DB8_Li512ELi16ELb1ELb1ELb0ELi1EEEvPT0_PT_PfS5_S5_S5_diiiiiiib
; %bb.0:
	s_mov_b32 s34, s15
	s_load_b256 s[12:19], s[0:1], 0x38
	s_mov_b32 s35, 0
	s_waitcnt lgkmcnt(0)
	s_ashr_i32 s3, s12, 31
	s_mov_b32 s2, s12
	s_delay_alu instid0(SALU_CYCLE_1) | instskip(NEXT) | instid1(VALU_DEP_1)
	v_cmp_ge_i64_e64 s2, s[34:35], s[2:3]
	s_and_b32 vcc_lo, exec_lo, s2
	s_cbranch_vccnz .LBB27_44
; %bb.1:
	s_clause 0x1
	s_load_b256 s[4:11], s[0:1], 0x0
	s_load_b256 s[20:27], s[0:1], 0x20
	s_ashr_i32 s1, s14, 31
	s_mul_hi_u32 s2, s14, s34
	s_mul_i32 s1, s1, s34
	s_mul_i32 s0, s14, s34
	s_add_i32 s1, s2, s1
	s_mul_hi_u32 s3, s15, s34
	s_lshl_b64 s[0:1], s[0:1], 1
	v_lshlrev_b32_e32 v35, 5, v0
	s_mul_i32 s2, s15, s34
	s_mov_b32 s31, -1
	v_and_b32_e32 v36, 31, v0
	s_waitcnt lgkmcnt(0)
	s_add_u32 s28, s10, s0
	s_addc_u32 s0, s11, s1
	s_add_i32 s10, s13, 1
	s_ashr_i32 s11, s15, 31
	s_lshr_b32 s14, s10, 31
	s_mul_i32 s11, s11, s34
	s_add_i32 s10, s10, s14
	s_and_b32 s29, s0, 0xffff
	s_lshl_b32 s0, s10, 1
	s_add_i32 s3, s3, s11
	s_and_b32 s30, s0, -4
	s_lshl_b64 s[2:3], s[2:3], 1
	s_and_b32 s1, s23, 0xffff
	s_clause 0x1
	buffer_load_b128 v[13:16], v35, s[28:31], 0 offen
	buffer_load_b128 v[21:24], v35, s[28:31], 16 offen
	s_add_u32 s28, s20, s2
	s_addc_u32 s0, s21, s3
	s_mov_b32 s3, s31
	s_and_b32 s29, s0, 0xffff
	s_clause 0x1
	buffer_load_b128 v[17:20], v35, s[28:31], 0 offen
	buffer_load_b128 v[25:28], v35, s[28:31], 16 offen
	s_mov_b32 s0, s22
	s_mov_b32 s2, s30
	s_waitcnt vmcnt(3)
	v_cvt_f32_f16_e32 v12, v13
	v_lshrrev_b32_e32 v9, 16, v13
	v_cvt_f32_f16_e32 v13, v14
	s_waitcnt vmcnt(1)
	v_lshrrev_b32_e32 v10, 16, v17
	v_cvt_f32_f16_e32 v17, v17
	v_cvt_f32_f16_e32 v9, v9
	s_delay_alu instid0(VALU_DEP_3) | instskip(NEXT) | instid1(VALU_DEP_3)
	v_cvt_f32_f16_e32 v10, v10
	v_add_f32_e32 v12, v12, v17
	s_clause 0x1
	buffer_load_b128 v[5:8], v35, s[0:3], 0 offen
	buffer_load_b128 v[1:4], v35, s[0:3], 16 offen
	v_cvt_f32_f16_e32 v17, v15
	s_ashr_i32 s0, s16, 31
	v_add_f32_e32 v11, v9, v10
	v_lshrrev_b32_e32 v9, 16, v14
	v_cvt_f32_f16_e32 v10, v18
	v_lshrrev_b32_e32 v14, 16, v18
	v_lshrrev_b32_e32 v18, 16, v19
	s_mul_hi_u32 s1, s16, s34
	v_cvt_f32_f16_e32 v9, v9
	v_add_f32_e32 v13, v13, v10
	v_cvt_f32_f16_e32 v14, v14
	v_lshrrev_b32_e32 v10, 16, v15
	v_cvt_f32_f16_e32 v15, v19
	v_cvt_f32_f16_e32 v18, v18
	;; [unrolled: 1-line block ×3, first 2 shown]
	v_lshrrev_b32_e32 v20, 16, v20
	v_cvt_f32_f16_e32 v10, v10
	v_add_f32_e32 v15, v17, v15
	v_add_f32_e32 v14, v9, v14
	v_cvt_f32_f16_e32 v9, v16
	v_lshrrev_b32_e32 v17, 16, v16
	v_add_f32_e32 v16, v10, v18
	v_cvt_f32_f16_e32 v10, v21
	v_cvt_f32_f16_e32 v20, v20
	s_mul_i32 s2, s0, s34
	v_cvt_f32_f16_e32 v18, v17
	v_add_f32_e32 v17, v9, v19
	v_lshrrev_b32_e32 v9, 16, v21
	s_waitcnt vmcnt(2)
	v_cvt_f32_f16_e32 v19, v25
	v_lshrrev_b32_e32 v21, 16, v25
	v_add_f32_e32 v18, v18, v20
	v_cvt_f32_f16_e32 v25, v22
	v_cvt_f32_f16_e32 v9, v9
	v_add_f32_e32 v19, v10, v19
	v_cvt_f32_f16_e32 v20, v21
	v_mul_f32_e32 v29, v11, v11
	v_lshrrev_b32_e32 v10, 16, v22
	v_lshrrev_b32_e32 v22, 16, v26
	v_cvt_f32_f16_e32 v21, v26
	v_add_f32_e32 v20, v9, v20
	v_cvt_f32_f16_e32 v9, v23
	v_cvt_f32_f16_e32 v10, v10
	;; [unrolled: 1-line block ×3, first 2 shown]
	v_fmac_f32_e32 v29, v12, v12
	v_lshrrev_b32_e32 v23, 16, v23
	v_lshrrev_b32_e32 v26, 16, v27
	s_delay_alu instid0(VALU_DEP_4) | instskip(SKIP_1) | instid1(VALU_DEP_4)
	v_dual_add_f32 v21, v25, v21 :: v_dual_add_f32 v22, v10, v22
	v_cvt_f32_f16_e32 v25, v27
	v_cvt_f32_f16_e32 v27, v23
	s_delay_alu instid0(VALU_DEP_4)
	v_cvt_f32_f16_e32 v26, v26
	v_fmac_f32_e32 v29, v13, v13
	v_cvt_f32_f16_e32 v10, v24
	v_add_f32_e32 v23, v9, v25
	v_lshrrev_b32_e32 v9, 16, v24
	v_add_f32_e32 v24, v27, v26
	v_fmac_f32_e32 v29, v14, v14
	v_cvt_f32_f16_e32 v25, v28
	v_lshrrev_b32_e32 v28, 16, v28
	v_cvt_f32_f16_e32 v9, v9
	s_mul_i32 s0, s16, s34
	v_fmac_f32_e32 v29, v15, v15
	v_add_f32_e32 v25, v10, v25
	v_cvt_f32_f16_e32 v26, v28
	s_add_i32 s1, s1, s2
	v_cvt_f16_f32_e32 v10, v12
	v_fmac_f32_e32 v29, v16, v16
	s_lshl_b64 s[0:1], s[0:1], 1
	v_add_f32_e32 v26, v9, v26
	v_cvt_f16_f32_e32 v27, v13
	v_cvt_f16_f32_e32 v28, v15
	v_fmac_f32_e32 v29, v17, v17
	v_cvt_f16_f32_e32 v30, v17
	v_cvt_f16_f32_e32 v31, v19
	v_cvt_f16_f32_e32 v32, v21
	v_cvt_f16_f32_e32 v33, v23
	v_fmac_f32_e32 v29, v18, v18
	v_cvt_f16_f32_e32 v34, v25
	v_cvt_f16_f32_e32 v37, v11
	;; [unrolled: 5-line block ×3, first 2 shown]
	v_cvt_f16_f32_e32 v42, v22
	v_cvt_f16_f32_e32 v43, v24
	v_fmac_f32_e32 v29, v20, v20
	v_cvt_f16_f32_e32 v44, v26
	s_add_u32 s28, s6, s0
	s_addc_u32 s0, s7, s1
	v_pack_b32_f16 v30, v30, v40
	v_fmac_f32_e32 v29, v21, v21
	s_and_b32 s29, s0, 0xffff
	v_pack_b32_f16 v34, v34, v44
	v_pack_b32_f16 v33, v33, v43
	;; [unrolled: 1-line block ×3, first 2 shown]
	v_fmac_f32_e32 v29, v22, v22
	v_pack_b32_f16 v31, v31, v41
	v_cmp_eq_u32_e64 s0, 31, v36
	s_delay_alu instid0(VALU_DEP_3) | instskip(NEXT) | instid1(VALU_DEP_1)
	v_fmac_f32_e32 v29, v23, v23
	v_fmac_f32_e32 v29, v24, v24
	s_delay_alu instid0(VALU_DEP_1) | instskip(NEXT) | instid1(VALU_DEP_1)
	v_fmac_f32_e32 v29, v25, v25
	v_fmac_f32_e32 v29, v26, v26
	s_delay_alu instid0(VALU_DEP_1) | instskip(NEXT) | instid1(VALU_DEP_1)
	v_mov_b32_dpp v9, v29 quad_perm:[1,0,3,2] row_mask:0xf bank_mask:0xf
	v_add_f32_e32 v9, v29, v9
	s_delay_alu instid0(VALU_DEP_1) | instskip(NEXT) | instid1(VALU_DEP_1)
	v_mov_b32_dpp v29, v9 quad_perm:[2,3,0,1] row_mask:0xf bank_mask:0xf
	v_add_f32_e32 v9, v9, v29
	v_pack_b32_f16 v29, v28, v39
	v_pack_b32_f16 v28, v27, v38
	;; [unrolled: 1-line block ×3, first 2 shown]
	s_delay_alu instid0(VALU_DEP_4)
	v_mov_b32_dpp v45, v9 row_xmask:7 row_mask:0xf bank_mask:0xf
	buffer_store_b128 v[27:30], v35, s[28:31], 0 offen
	;;#ASMSTART
	s_nop 0
	;;#ASMEND
	v_add_f32_e32 v9, v9, v45
	buffer_store_b128 v[31:34], v35, s[28:31], 16 offen
	;;#ASMSTART
	s_nop 0
	;;#ASMEND
	v_mov_b32_dpp v10, v9 row_xmask:15 row_mask:0xf bank_mask:0xf
	s_and_saveexec_b32 s1, s0
	s_cbranch_execz .LBB27_3
; %bb.2:
	s_delay_alu instid0(VALU_DEP_1) | instskip(SKIP_2) | instid1(VALU_DEP_2)
	v_add_f32_e32 v9, v9, v10
	s_mov_b32 s2, 0x76543210
	v_lshrrev_b32_e32 v10, 3, v0
	v_permlanex16_b32 v27, v9, s2, 0xfedcba98 op_sel:[1,1]
	s_delay_alu instid0(VALU_DEP_1)
	v_dual_add_f32 v9, v9, v27 :: v_dual_and_b32 v10, 0x7c, v10
	ds_store_b32 v10, v9 offset:64
.LBB27_3:
	s_or_b32 exec_lo, exec_lo, s1
	v_and_b32_e32 v9, 15, v0
	s_waitcnt vmcnt(0) lgkmcnt(0)
	s_waitcnt_vscnt null, 0x0
	s_barrier
	buffer_gl0_inv
	v_cvt_f32_i32_e32 v28, s13
	v_lshlrev_b32_e32 v10, 2, v9
	v_cvt_f32_f16_e32 v33, v2
	v_lshrrev_b32_e32 v2, 16, v2
	v_cvt_f32_f16_e32 v35, v4
	v_lshrrev_b32_e32 v4, 16, v4
	ds_load_b32 v9, v10 offset:64
	v_cvt_f32_f16_e32 v34, v3
	v_cvt_f32_f16_e32 v2, v2
	v_lshrrev_b32_e32 v3, 16, v3
	v_cvt_f32_f16_e32 v4, v4
	s_cmp_lg_u32 s18, 0
	v_mov_b32_e32 v36, 0x2edbe6ff
	s_delay_alu instid0(VALU_DEP_3) | instskip(SKIP_2) | instid1(VALU_DEP_1)
	v_cvt_f32_f16_e32 v3, v3
	s_waitcnt lgkmcnt(0)
	v_mov_b32_dpp v27, v9 quad_perm:[1,0,3,2] row_mask:0xf bank_mask:0xf
	v_add_f32_e32 v9, v9, v27
	s_delay_alu instid0(VALU_DEP_1) | instskip(NEXT) | instid1(VALU_DEP_1)
	v_mov_b32_dpp v27, v9 quad_perm:[2,3,0,1] row_mask:0xf bank_mask:0xf
	v_add_f32_e32 v9, v9, v27
	s_delay_alu instid0(VALU_DEP_1) | instskip(NEXT) | instid1(VALU_DEP_1)
	v_mov_b32_dpp v27, v9 row_xmask:7 row_mask:0xf bank_mask:0xf
	v_add_f32_e32 v9, v9, v27
	s_delay_alu instid0(VALU_DEP_1) | instskip(NEXT) | instid1(VALU_DEP_1)
	v_mov_b32_dpp v27, v9 row_xmask:15 row_mask:0xf bank_mask:0xf
	v_add_f32_e32 v9, v9, v27
	s_delay_alu instid0(VALU_DEP_1) | instskip(SKIP_1) | instid1(VALU_DEP_2)
	v_div_scale_f32 v27, null, v28, v28, v9
	v_div_scale_f32 v31, vcc_lo, v9, v28, v9
	v_rcp_f32_e32 v29, v27
	s_waitcnt_depctr 0xfff
	v_fma_f32 v30, -v27, v29, 1.0
	s_delay_alu instid0(VALU_DEP_1) | instskip(NEXT) | instid1(VALU_DEP_1)
	v_fmac_f32_e32 v29, v30, v29
	v_mul_f32_e32 v30, v31, v29
	s_delay_alu instid0(VALU_DEP_1) | instskip(NEXT) | instid1(VALU_DEP_1)
	v_fma_f32 v32, -v27, v30, v31
	v_fmac_f32_e32 v30, v32, v29
	v_cvt_f32_f16_e32 v32, v1
	v_lshrrev_b32_e32 v1, 16, v1
	s_delay_alu instid0(VALU_DEP_3) | instskip(SKIP_2) | instid1(VALU_DEP_4)
	v_fma_f32 v27, -v27, v30, v31
	v_cvt_f32_f16_e32 v31, v8
	v_lshrrev_b32_e32 v8, 16, v8
	v_cvt_f32_f16_e32 v1, v1
	s_delay_alu instid0(VALU_DEP_4) | instskip(SKIP_3) | instid1(VALU_DEP_4)
	v_div_fmas_f32 v27, v27, v29, v30
	v_cvt_f32_f16_e32 v30, v6
	v_lshrrev_b32_e32 v6, 16, v6
	v_cvt_f32_f16_e32 v8, v8
	v_div_fixup_f32 v9, v27, v28, v9
	s_delay_alu instid0(VALU_DEP_3) | instskip(NEXT) | instid1(VALU_DEP_2)
	v_cvt_f32_f16_e32 v6, v6
	v_cvt_f64_f32_e32 v[27:28], v9
	s_delay_alu instid0(VALU_DEP_1) | instskip(NEXT) | instid1(VALU_DEP_1)
	v_add_f64 v[27:28], v[27:28], s[24:25]
	v_cvt_f32_f64_e32 v27, v[27:28]
	v_cvt_f32_f16_e32 v28, v5
	v_lshrrev_b32_e32 v5, 16, v5
	s_delay_alu instid0(VALU_DEP_1) | instskip(NEXT) | instid1(VALU_DEP_4)
	v_cvt_f32_f16_e32 v5, v5
	v_mul_f32_e32 v29, 0x4b800000, v27
	v_cmp_gt_f32_e32 vcc_lo, 0x800000, v27
	s_delay_alu instid0(VALU_DEP_2) | instskip(SKIP_2) | instid1(VALU_DEP_3)
	v_cndmask_b32_e32 v27, v27, v29, vcc_lo
	v_cvt_f32_f16_e32 v29, v7
	v_lshrrev_b32_e32 v7, 16, v7
	v_rsq_f32_e32 v27, v27
	s_delay_alu instid0(VALU_DEP_1) | instskip(SKIP_2) | instid1(VALU_DEP_1)
	v_cvt_f32_f16_e32 v7, v7
	s_waitcnt_depctr 0xfff
	v_mul_f32_e32 v37, 0x45800000, v27
	v_cndmask_b32_e32 v27, v27, v37, vcc_lo
	s_delay_alu instid0(VALU_DEP_1) | instskip(SKIP_2) | instid1(VALU_DEP_3)
	v_dual_mul_f32 v14, v14, v27 :: v_dual_lshlrev_b32 v9, 4, v0
	v_mul_f32_e32 v38, v18, v27
	v_mul_f32_e32 v22, v22, v27
	;; [unrolled: 1-line block ×3, first 2 shown]
	s_delay_alu instid0(VALU_DEP_3) | instskip(NEXT) | instid1(VALU_DEP_3)
	v_mul_f32_e32 v14, v38, v8
	v_mul_f32_e32 v8, v22, v2
	;; [unrolled: 1-line block ×6, first 2 shown]
	s_delay_alu instid0(VALU_DEP_4) | instskip(SKIP_4) | instid1(VALU_DEP_4)
	v_dual_mul_f32 v11, v11, v27 :: v_dual_mul_f32 v4, v26, v4
	v_mul_f32_e32 v16, v16, v27
	v_dual_mul_f32 v37, v17, v27 :: v_dual_and_b32 v22, 0x7fffffff, v18
	v_mul_f32_e32 v17, v13, v30
	v_dual_mul_f32 v21, v21, v27 :: v_dual_and_b32 v26, 0x7fffffff, v14
	v_mul_f32_e32 v16, v16, v7
	v_mul_f32_e32 v39, v19, v27
	;; [unrolled: 1-line block ×6, first 2 shown]
	v_dual_mul_f32 v24, v24, v27 :: v_dual_mul_f32 v7, v21, v33
	s_delay_alu instid0(VALU_DEP_4) | instskip(SKIP_1) | instid1(VALU_DEP_4)
	v_dual_mul_f32 v23, v23, v27 :: v_dual_and_b32 v28, 0x7fffffff, v12
	v_dual_mul_f32 v25, v25, v27 :: v_dual_and_b32 v30, 0x7fffffff, v8
	;; [unrolled: 1-line block ×3, first 2 shown]
	s_delay_alu instid0(VALU_DEP_4) | instskip(SKIP_3) | instid1(VALU_DEP_4)
	v_dual_mul_f32 v6, v24, v3 :: v_dual_and_b32 v21, 0x7fffffff, v17
	v_mul_f32_e32 v13, v37, v31
	v_and_b32_e32 v1, 0x7fffffff, v19
	v_and_b32_e32 v24, 0x7fffffff, v16
	v_dual_mul_f32 v11, v39, v32 :: v_dual_and_b32 v32, 0x7fffffff, v6
	;;#ASMSTART
	v_max3_f32 v1, v36, v1, v2

	;;#ASMEND
	v_mul_f32_e32 v5, v23, v34
	v_dual_mul_f32 v3, v25, v35 :: v_dual_and_b32 v34, 0x7fffffff, v4
	;;#ASMSTART
	v_max3_f32 v1, v1, v21, v22

	;;#ASMEND
	v_and_b32_e32 v23, 0x7fffffff, v15
	;;#ASMSTART
	v_max3_f32 v1, v1, v23, v24

	;;#ASMEND
	v_and_b32_e32 v25, 0x7fffffff, v13
	;;#ASMSTART
	v_max3_f32 v1, v1, v25, v26

	;;#ASMEND
	v_and_b32_e32 v27, 0x7fffffff, v11
	;;#ASMSTART
	v_max3_f32 v1, v1, v27, v28

	;;#ASMEND
	v_and_b32_e32 v29, 0x7fffffff, v7
	;;#ASMSTART
	v_max3_f32 v1, v1, v29, v30

	;;#ASMEND
	v_and_b32_e32 v31, 0x7fffffff, v5
	v_and_b32_e32 v33, 0x7fffffff, v3
	;;#ASMSTART
	v_max3_f32 v1, v1, v31, v32

	;;#ASMEND
	;;#ASMSTART
	v_max3_f32 v21, v1, v33, v34

	;;#ASMEND
	s_cbranch_scc0 .LBB27_10
; %bb.4:
	s_ashr_i32 s7, s18, 31
	s_delay_alu instid0(SALU_CYCLE_1) | instskip(NEXT) | instid1(SALU_CYCLE_1)
	s_lshr_b32 s1, s7, 28
	s_add_i32 s1, s18, s1
	s_delay_alu instid0(SALU_CYCLE_1) | instskip(NEXT) | instid1(SALU_CYCLE_1)
	s_ashr_i32 s1, s1, 4
	s_cmp_lt_i32 s1, 8
	s_cbranch_scc1 .LBB27_11
; %bb.5:
	s_cmp_lt_i32 s1, 16
	s_cbranch_scc1 .LBB27_12
; %bb.6:
	s_cmp_lt_i32 s1, 32
	s_cbranch_scc1 .LBB27_13
; %bb.7:
	v_mov_b32_e32 v1, v21
	s_cmp_eq_u32 s1, 32
	s_cbranch_scc0 .LBB27_9
; %bb.8:
	s_delay_alu instid0(VALU_DEP_1) | instskip(SKIP_1) | instid1(VALU_DEP_1)
	v_mov_b32_dpp v1, v21 quad_perm:[1,0,3,2] row_mask:0xf bank_mask:0xf
	s_mov_b32 s2, 0x76543210
	v_cmp_gt_f32_e32 vcc_lo, v21, v1
	v_cndmask_b32_e32 v1, v1, v21, vcc_lo
	s_delay_alu instid0(VALU_DEP_1) | instskip(NEXT) | instid1(VALU_DEP_1)
	v_mov_b32_dpp v2, v1 quad_perm:[2,3,0,1] row_mask:0xf bank_mask:0xf
	v_cmp_gt_f32_e32 vcc_lo, v1, v2
	v_cndmask_b32_e32 v1, v2, v1, vcc_lo
	s_delay_alu instid0(VALU_DEP_1) | instskip(NEXT) | instid1(VALU_DEP_1)
	v_mov_b32_dpp v2, v1 row_xmask:7 row_mask:0xf bank_mask:0xf
	v_cmp_gt_f32_e32 vcc_lo, v1, v2
	v_cndmask_b32_e32 v1, v2, v1, vcc_lo
	s_delay_alu instid0(VALU_DEP_1) | instskip(NEXT) | instid1(VALU_DEP_1)
	v_mov_b32_dpp v2, v1 row_xmask:15 row_mask:0xf bank_mask:0xf
	v_cmp_gt_f32_e32 vcc_lo, v1, v2
	v_cndmask_b32_e32 v1, v2, v1, vcc_lo
	s_delay_alu instid0(VALU_DEP_1) | instskip(NEXT) | instid1(VALU_DEP_1)
	v_permlanex16_b32 v2, v1, s2, 0xfedcba98 op_sel:[1,1]
	v_cmp_gt_f32_e32 vcc_lo, v1, v2
	v_cndmask_b32_e32 v1, v2, v1, vcc_lo
.LBB27_9:
	s_mov_b32 s2, 0
	s_branch .LBB27_14
.LBB27_10:
	s_mov_b32 s1, 0
                                        ; implicit-def: $vgpr22
                                        ; implicit-def: $vgpr1_vgpr2
	s_and_b32 vcc_lo, exec_lo, s31
	s_cbranch_vccnz .LBB27_38
	s_branch .LBB27_41
.LBB27_11:
                                        ; implicit-def: $vgpr1
	s_branch .LBB27_21
.LBB27_12:
                                        ; implicit-def: $vgpr1
	s_branch .LBB27_18
.LBB27_13:
	s_mov_b32 s2, -1
                                        ; implicit-def: $vgpr1
.LBB27_14:
	s_delay_alu instid0(SALU_CYCLE_1)
	s_and_not1_b32 vcc_lo, exec_lo, s2
	s_cbranch_vccnz .LBB27_17
; %bb.15:
	v_mov_b32_e32 v1, v21
	s_cmp_eq_u32 s1, 16
	s_cbranch_scc0 .LBB27_17
; %bb.16:
	s_delay_alu instid0(VALU_DEP_1) | instskip(NEXT) | instid1(VALU_DEP_1)
	v_mov_b32_dpp v1, v21 quad_perm:[1,0,3,2] row_mask:0xf bank_mask:0xf
	v_cmp_gt_f32_e32 vcc_lo, v21, v1
	v_cndmask_b32_e32 v1, v1, v21, vcc_lo
	s_delay_alu instid0(VALU_DEP_1) | instskip(NEXT) | instid1(VALU_DEP_1)
	v_mov_b32_dpp v2, v1 quad_perm:[2,3,0,1] row_mask:0xf bank_mask:0xf
	v_cmp_gt_f32_e32 vcc_lo, v1, v2
	v_cndmask_b32_e32 v1, v2, v1, vcc_lo
	s_delay_alu instid0(VALU_DEP_1) | instskip(NEXT) | instid1(VALU_DEP_1)
	v_mov_b32_dpp v2, v1 row_half_mirror row_mask:0xf bank_mask:0xf
	v_cmp_gt_f32_e32 vcc_lo, v1, v2
	v_cndmask_b32_e32 v1, v2, v1, vcc_lo
	s_delay_alu instid0(VALU_DEP_1) | instskip(NEXT) | instid1(VALU_DEP_1)
	v_mov_b32_dpp v2, v1 row_mirror row_mask:0xf bank_mask:0xf
	v_cmp_gt_f32_e32 vcc_lo, v1, v2
	v_cndmask_b32_e32 v1, v2, v1, vcc_lo
.LBB27_17:
	s_cbranch_execnz .LBB27_20
.LBB27_18:
	v_mov_b32_e32 v1, v21
	s_cmp_eq_u32 s1, 8
	s_cbranch_scc0 .LBB27_20
; %bb.19:
	s_delay_alu instid0(VALU_DEP_1) | instskip(NEXT) | instid1(VALU_DEP_1)
	v_mov_b32_dpp v1, v21 quad_perm:[1,0,3,2] row_mask:0xf bank_mask:0xf
	v_cmp_gt_f32_e32 vcc_lo, v21, v1
	v_cndmask_b32_e32 v1, v1, v21, vcc_lo
	s_delay_alu instid0(VALU_DEP_1) | instskip(NEXT) | instid1(VALU_DEP_1)
	v_mov_b32_dpp v2, v1 quad_perm:[2,3,0,1] row_mask:0xf bank_mask:0xf
	v_cmp_gt_f32_e32 vcc_lo, v1, v2
	v_cndmask_b32_e32 v1, v2, v1, vcc_lo
	s_delay_alu instid0(VALU_DEP_1) | instskip(NEXT) | instid1(VALU_DEP_1)
	v_mov_b32_dpp v2, v1 row_half_mirror row_mask:0xf bank_mask:0xf
	v_cmp_gt_f32_e32 vcc_lo, v1, v2
	v_cndmask_b32_e32 v1, v2, v1, vcc_lo
.LBB27_20:
	s_cbranch_execnz .LBB27_28
.LBB27_21:
	s_cmp_lt_i32 s1, 4
	s_cbranch_scc1 .LBB27_24
; %bb.22:
	v_mov_b32_e32 v1, v21
	s_cmp_eq_u32 s1, 4
	s_cbranch_scc0 .LBB27_25
; %bb.23:
	s_delay_alu instid0(VALU_DEP_1) | instskip(NEXT) | instid1(VALU_DEP_1)
	v_mov_b32_dpp v1, v21 quad_perm:[1,0,3,2] row_mask:0xf bank_mask:0xf
	v_cmp_gt_f32_e32 vcc_lo, v21, v1
	v_cndmask_b32_e32 v1, v1, v21, vcc_lo
	s_delay_alu instid0(VALU_DEP_1) | instskip(NEXT) | instid1(VALU_DEP_1)
	v_mov_b32_dpp v2, v1 quad_perm:[2,3,0,1] row_mask:0xf bank_mask:0xf
	v_cmp_gt_f32_e32 vcc_lo, v1, v2
	v_cndmask_b32_e32 v1, v2, v1, vcc_lo
	s_cbranch_execz .LBB27_26
	s_branch .LBB27_28
.LBB27_24:
                                        ; implicit-def: $vgpr1
	s_branch .LBB27_26
.LBB27_25:
	s_cbranch_execnz .LBB27_28
.LBB27_26:
	v_mov_b32_e32 v1, v21
	s_cmp_lg_u32 s1, 2
	s_cbranch_scc1 .LBB27_28
; %bb.27:
	s_delay_alu instid0(VALU_DEP_1) | instskip(NEXT) | instid1(VALU_DEP_1)
	v_mov_b32_dpp v1, v21 quad_perm:[1,0,3,2] row_mask:0xf bank_mask:0xf
	v_cmp_gt_f32_e32 vcc_lo, v21, v1
	v_cndmask_b32_e32 v1, v1, v21, vcc_lo
.LBB27_28:
	v_cvt_f32_u32_e32 v2, s1
	s_sub_i32 s2, 0, s1
	s_mov_b32 s31, 0
	s_delay_alu instid0(VALU_DEP_1) | instskip(SKIP_2) | instid1(VALU_DEP_1)
	v_rcp_iflag_f32_e32 v2, v2
	s_waitcnt_depctr 0xfff
	v_mul_f32_e32 v2, 0x4f7ffffe, v2
	v_cvt_u32_f32_e32 v2, v2
	s_delay_alu instid0(VALU_DEP_1) | instskip(NEXT) | instid1(VALU_DEP_1)
	v_mul_lo_u32 v22, s2, v2
	v_mul_hi_u32 v22, v2, v22
	s_delay_alu instid0(VALU_DEP_1) | instskip(NEXT) | instid1(VALU_DEP_1)
	v_add_nc_u32_e32 v2, v2, v22
	v_mul_hi_u32 v2, v0, v2
	s_delay_alu instid0(VALU_DEP_1) | instskip(NEXT) | instid1(VALU_DEP_1)
	v_mul_lo_u32 v22, v2, s1
	v_sub_nc_u32_e32 v22, v0, v22
	s_delay_alu instid0(VALU_DEP_1) | instskip(SKIP_1) | instid1(VALU_DEP_2)
	v_subrev_nc_u32_e32 v24, s1, v22
	v_cmp_le_u32_e32 vcc_lo, s1, v22
	v_dual_cndmask_b32 v22, v22, v24 :: v_dual_add_nc_u32 v23, 1, v2
	s_delay_alu instid0(VALU_DEP_1) | instskip(NEXT) | instid1(VALU_DEP_2)
	v_cndmask_b32_e32 v2, v2, v23, vcc_lo
	v_cmp_le_u32_e32 vcc_lo, s1, v22
	s_delay_alu instid0(VALU_DEP_2) | instskip(NEXT) | instid1(VALU_DEP_1)
	v_dual_mul_f32 v22, 0x3b124925, v1 :: v_dual_add_nc_u32 v23, 1, v2
	v_cndmask_b32_e32 v23, v2, v23, vcc_lo
	v_cmp_gt_u32_e32 vcc_lo, s13, v9
	s_delay_alu instid0(VALU_DEP_2) | instskip(NEXT) | instid1(VALU_DEP_1)
	v_mul_lo_u32 v2, v23, s1
	v_sub_nc_u32_e32 v2, v0, v2
	s_delay_alu instid0(VALU_DEP_1) | instskip(NEXT) | instid1(VALU_DEP_1)
	v_cmp_eq_u32_e64 s1, 0, v2
                                        ; implicit-def: $vgpr1_vgpr2
	s_and_b32 s2, s1, vcc_lo
	s_mov_b32 s1, 0
	s_and_saveexec_b32 s3, s2
	s_delay_alu instid0(SALU_CYCLE_1)
	s_xor_b32 s14, exec_lo, s3
	s_cbranch_execz .LBB27_37
; %bb.29:
	s_bitcmp0_b32 s19, 0
	s_mov_b32 s6, 0
	s_cbranch_scc0 .LBB27_34
; %bb.30:
	s_ashr_i32 s1, s13, 31
	s_mul_hi_u32 s3, s13, s34
	s_mul_i32 s1, s1, s34
	s_mul_i32 s2, s13, s34
	s_add_i32 s3, s3, s1
	s_mov_b32 s19, s7
	s_delay_alu instid0(SALU_CYCLE_1) | instskip(NEXT) | instid1(SALU_CYCLE_1)
	s_or_b64 s[10:11], s[2:3], s[18:19]
	s_mov_b32 s7, s11
	s_delay_alu instid0(SALU_CYCLE_1)
	s_cmp_lg_u64 s[6:7], 0
	s_cbranch_scc0 .LBB27_45
; %bb.31:
	s_add_u32 s10, s18, s19
	s_mov_b32 s6, s19
	s_mov_b32 s7, s19
	s_addc_u32 s11, s19, s19
	s_delay_alu instid0(SALU_CYCLE_1) | instskip(NEXT) | instid1(SALU_CYCLE_1)
	s_xor_b64 s[10:11], s[10:11], s[6:7]
	v_cvt_f32_u32_e32 v1, s10
	v_cvt_f32_u32_e32 v2, s11
	s_sub_u32 s16, 0, s10
	s_subb_u32 s19, 0, s11
	s_delay_alu instid0(VALU_DEP_1) | instskip(NEXT) | instid1(VALU_DEP_1)
	v_fmamk_f32 v1, v2, 0x4f800000, v1
	v_rcp_f32_e32 v1, v1
	s_waitcnt_depctr 0xfff
	v_mul_f32_e32 v1, 0x5f7ffffc, v1
	s_delay_alu instid0(VALU_DEP_1) | instskip(NEXT) | instid1(VALU_DEP_1)
	v_mul_f32_e32 v2, 0x2f800000, v1
	v_trunc_f32_e32 v2, v2
	s_delay_alu instid0(VALU_DEP_1) | instskip(SKIP_1) | instid1(VALU_DEP_2)
	v_fmamk_f32 v1, v2, 0xcf800000, v1
	v_cvt_u32_f32_e32 v2, v2
	v_cvt_u32_f32_e32 v1, v1
	s_delay_alu instid0(VALU_DEP_2) | instskip(NEXT) | instid1(VALU_DEP_2)
	v_readfirstlane_b32 s1, v2
	v_readfirstlane_b32 s15, v1
	s_delay_alu instid0(VALU_DEP_2) | instskip(NEXT) | instid1(VALU_DEP_1)
	s_mul_i32 s20, s16, s1
	s_mul_hi_u32 s22, s16, s15
	s_mul_i32 s21, s19, s15
	s_add_i32 s20, s22, s20
	s_mul_i32 s23, s16, s15
	s_add_i32 s20, s20, s21
	s_mul_hi_u32 s22, s15, s23
	s_mul_hi_u32 s24, s1, s23
	s_mul_i32 s21, s1, s23
	s_mul_hi_u32 s23, s15, s20
	s_mul_i32 s15, s15, s20
	s_mul_hi_u32 s25, s1, s20
	s_add_u32 s15, s22, s15
	s_addc_u32 s22, 0, s23
	s_add_u32 s15, s15, s21
	s_mul_i32 s20, s1, s20
	s_addc_u32 s15, s22, s24
	s_addc_u32 s21, s25, 0
	s_add_u32 s15, s15, s20
	s_addc_u32 s20, 0, s21
	v_add_co_u32 v1, s15, v1, s15
	s_delay_alu instid0(VALU_DEP_1) | instskip(SKIP_1) | instid1(VALU_DEP_1)
	s_cmp_lg_u32 s15, 0
	s_addc_u32 s1, s1, s20
	v_readfirstlane_b32 s15, v1
	s_mul_i32 s20, s16, s1
	s_delay_alu instid0(VALU_DEP_1)
	s_mul_hi_u32 s21, s16, s15
	s_mul_i32 s19, s19, s15
	s_add_i32 s20, s21, s20
	s_mul_i32 s16, s16, s15
	s_add_i32 s20, s20, s19
	s_mul_hi_u32 s21, s1, s16
	s_mul_i32 s22, s1, s16
	s_mul_hi_u32 s16, s15, s16
	s_mul_hi_u32 s23, s15, s20
	s_mul_i32 s15, s15, s20
	s_mul_hi_u32 s19, s1, s20
	s_add_u32 s15, s16, s15
	s_addc_u32 s16, 0, s23
	s_add_u32 s15, s15, s22
	s_mul_i32 s20, s1, s20
	s_addc_u32 s15, s16, s21
	s_addc_u32 s16, s19, 0
	s_add_u32 s15, s15, s20
	s_addc_u32 s16, 0, s16
	v_add_co_u32 v1, s15, v1, s15
	s_delay_alu instid0(VALU_DEP_1) | instskip(SKIP_2) | instid1(SALU_CYCLE_1)
	s_cmp_lg_u32 s15, 0
	s_addc_u32 s1, s1, s16
	s_ashr_i32 s20, s3, 31
	s_add_u32 s22, s2, s20
	s_addc_u32 s23, s3, s20
	v_readfirstlane_b32 s3, v1
	s_mov_b32 s21, s20
	s_delay_alu instid0(SALU_CYCLE_1) | instskip(NEXT) | instid1(SALU_CYCLE_1)
	s_xor_b64 s[22:23], s[22:23], s[20:21]
	s_mul_i32 s16, s22, s1
	s_delay_alu instid0(VALU_DEP_1)
	s_mul_hi_u32 s19, s22, s3
	s_mul_hi_u32 s15, s22, s1
	;; [unrolled: 1-line block ×3, first 2 shown]
	s_mul_i32 s3, s23, s3
	s_add_u32 s16, s19, s16
	s_addc_u32 s15, 0, s15
	s_mul_hi_u32 s24, s23, s1
	s_add_u32 s3, s16, s3
	s_mul_i32 s1, s23, s1
	s_addc_u32 s3, s15, s25
	s_addc_u32 s15, s24, 0
	s_add_u32 s3, s3, s1
	s_addc_u32 s15, 0, s15
	s_mul_hi_u32 s1, s10, s3
	s_mul_i32 s19, s10, s15
	s_mul_i32 s24, s10, s3
	s_add_i32 s1, s1, s19
	v_sub_co_u32 v1, s19, s22, s24
	s_mul_i32 s16, s11, s3
	s_delay_alu instid0(SALU_CYCLE_1) | instskip(NEXT) | instid1(VALU_DEP_1)
	s_add_i32 s1, s1, s16
	v_sub_co_u32 v2, s22, v1, s10
	s_sub_i32 s16, s23, s1
	s_cmp_lg_u32 s19, 0
	s_subb_u32 s16, s16, s11
	s_cmp_lg_u32 s22, 0
	v_cmp_le_u32_e32 vcc_lo, s10, v2
	s_subb_u32 s16, s16, 0
	s_delay_alu instid0(SALU_CYCLE_1)
	s_cmp_ge_u32 s16, s11
	v_cndmask_b32_e64 v2, 0, -1, vcc_lo
	s_cselect_b32 s22, -1, 0
	s_cmp_eq_u32 s16, s11
	s_cselect_b32 vcc_lo, -1, 0
	s_add_u32 s16, s3, 1
	v_cndmask_b32_e32 v2, s22, v2, vcc_lo
	s_addc_u32 s22, s15, 0
	s_add_u32 s24, s3, 2
	s_addc_u32 s25, s15, 0
	s_cmp_lg_u32 s19, 0
	v_cmp_le_u32_e32 vcc_lo, s10, v1
	s_subb_u32 s1, s23, s1
	v_mov_b32_e32 v24, s24
	s_cmp_ge_u32 s1, s11
	v_cndmask_b32_e64 v1, 0, -1, vcc_lo
	s_cselect_b32 s10, -1, 0
	s_cmp_eq_u32 s1, s11
	v_cmp_ne_u32_e32 vcc_lo, 0, v2
	v_mov_b32_e32 v2, s25
	s_cselect_b32 s1, -1, 0
	s_xor_b64 s[6:7], s[20:21], s[6:7]
	v_cndmask_b32_e64 v1, s10, v1, s1
	v_cndmask_b32_e32 v24, s16, v24, vcc_lo
	v_cndmask_b32_e32 v2, s22, v2, vcc_lo
	s_delay_alu instid0(VALU_DEP_3) | instskip(NEXT) | instid1(VALU_DEP_2)
	v_cmp_ne_u32_e32 vcc_lo, 0, v1
	v_cndmask_b32_e32 v1, s15, v2, vcc_lo
	s_delay_alu instid0(VALU_DEP_4) | instskip(NEXT) | instid1(VALU_DEP_2)
	v_cndmask_b32_e32 v2, s3, v24, vcc_lo
	v_xor_b32_e32 v24, s7, v1
	s_delay_alu instid0(VALU_DEP_2) | instskip(NEXT) | instid1(VALU_DEP_1)
	v_xor_b32_e32 v2, s6, v2
	v_sub_co_u32 v1, vcc_lo, v2, s6
	s_delay_alu instid0(VALU_DEP_3)
	v_subrev_co_ci_u32_e32 v2, vcc_lo, s7, v24, vcc_lo
	s_cbranch_execnz .LBB27_33
.LBB27_32:
	v_cvt_f32_u32_e32 v1, s18
	s_sub_i32 s3, 0, s18
	s_delay_alu instid0(VALU_DEP_1) | instskip(SKIP_2) | instid1(VALU_DEP_1)
	v_rcp_iflag_f32_e32 v1, v1
	s_waitcnt_depctr 0xfff
	v_mul_f32_e32 v1, 0x4f7ffffe, v1
	v_cvt_u32_f32_e32 v1, v1
	s_delay_alu instid0(VALU_DEP_1) | instskip(NEXT) | instid1(VALU_DEP_1)
	v_readfirstlane_b32 s1, v1
	s_mul_i32 s3, s3, s1
	s_delay_alu instid0(SALU_CYCLE_1) | instskip(NEXT) | instid1(SALU_CYCLE_1)
	s_mul_hi_u32 s3, s1, s3
	s_add_i32 s1, s1, s3
	s_delay_alu instid0(SALU_CYCLE_1) | instskip(NEXT) | instid1(SALU_CYCLE_1)
	s_mul_hi_u32 s1, s2, s1
	s_mul_i32 s3, s1, s18
	s_delay_alu instid0(SALU_CYCLE_1)
	s_sub_i32 s2, s2, s3
	s_add_i32 s3, s1, 1
	s_sub_i32 s6, s2, s18
	s_cmp_ge_u32 s2, s18
	s_cselect_b32 s1, s3, s1
	s_cselect_b32 s2, s6, s2
	s_add_i32 s6, s1, 1
	s_cmp_ge_u32 s2, s18
	s_mov_b32 s3, 0
	s_cselect_b32 s2, s6, s1
	s_delay_alu instid0(SALU_CYCLE_1)
	v_dual_mov_b32 v1, s2 :: v_dual_mov_b32 v2, s3
.LBB27_33:
	s_delay_alu instid0(VALU_DEP_1) | instskip(NEXT) | instid1(VALU_DEP_2)
	v_add_co_u32 v1, vcc_lo, v1, v23
	v_add_co_ci_u32_e32 v2, vcc_lo, 0, v2, vcc_lo
	s_branch .LBB27_36
.LBB27_34:
                                        ; implicit-def: $vgpr1_vgpr2
	s_cbranch_execz .LBB27_36
; %bb.35:
	v_mul_lo_u32 v1, v23, s12
	s_delay_alu instid0(VALU_DEP_1) | instskip(SKIP_1) | instid1(VALU_DEP_2)
	v_ashrrev_i32_e32 v2, 31, v1
	v_add_co_u32 v1, vcc_lo, v1, s34
	v_add_co_ci_u32_e32 v2, vcc_lo, 0, v2, vcc_lo
.LBB27_36:
	s_mov_b32 s1, exec_lo
.LBB27_37:
	s_or_b32 exec_lo, exec_lo, s14
	s_delay_alu instid0(SALU_CYCLE_1)
	s_and_b32 vcc_lo, exec_lo, s31
	s_cbranch_vccz .LBB27_41
.LBB27_38:
	v_mov_b32_dpp v1, v21 quad_perm:[1,0,3,2] row_mask:0xf bank_mask:0xf
	s_delay_alu instid0(VALU_DEP_1) | instskip(SKIP_1) | instid1(VALU_DEP_1)
	v_cmp_gt_f32_e32 vcc_lo, v21, v1
	v_cndmask_b32_e32 v1, v1, v21, vcc_lo
	v_mov_b32_dpp v2, v1 quad_perm:[2,3,0,1] row_mask:0xf bank_mask:0xf
	s_delay_alu instid0(VALU_DEP_1) | instskip(SKIP_1) | instid1(VALU_DEP_1)
	v_cmp_gt_f32_e32 vcc_lo, v1, v2
	v_cndmask_b32_e32 v1, v2, v1, vcc_lo
	v_mov_b32_dpp v2, v1 row_xmask:7 row_mask:0xf bank_mask:0xf
	s_delay_alu instid0(VALU_DEP_1) | instskip(SKIP_1) | instid1(VALU_DEP_1)
	v_cmp_gt_f32_e32 vcc_lo, v1, v2
	v_cndmask_b32_e32 v1, v2, v1, vcc_lo
	v_mov_b32_dpp v2, v1 row_xmask:15 row_mask:0xf bank_mask:0xf
	s_delay_alu instid0(VALU_DEP_1)
	v_cmp_gt_f32_e32 vcc_lo, v1, v2
	s_and_saveexec_b32 s1, s0
	s_cbranch_execz .LBB27_40
; %bb.39:
	v_cndmask_b32_e32 v1, v2, v1, vcc_lo
	v_lshrrev_b32_e32 v2, 3, v0
	s_mov_b32 s0, 0x76543210
	s_delay_alu instid0(VALU_DEP_1) | instskip(NEXT) | instid1(VALU_DEP_3)
	v_and_b32_e32 v2, 0x7c, v2
	v_permlanex16_b32 v21, v1, s0, 0xfedcba98 op_sel:[1,1]
	s_delay_alu instid0(VALU_DEP_1)
	v_cmp_gt_f32_e32 vcc_lo, v1, v21
	v_cndmask_b32_e32 v1, v21, v1, vcc_lo
	ds_store_b32 v2, v1
.LBB27_40:
	s_or_b32 exec_lo, exec_lo, s1
	s_waitcnt lgkmcnt(0)
	s_barrier
	buffer_gl0_inv
	ds_load_b32 v1, v10
	v_cmp_eq_u32_e64 s1, 0, v0
	s_waitcnt lgkmcnt(0)
	v_mov_b32_dpp v2, v1 quad_perm:[1,0,3,2] row_mask:0xf bank_mask:0xf
	s_delay_alu instid0(VALU_DEP_1) | instskip(SKIP_1) | instid1(VALU_DEP_1)
	v_cmp_gt_f32_e32 vcc_lo, v1, v2
	v_cndmask_b32_e32 v1, v2, v1, vcc_lo
	v_mov_b32_dpp v2, v1 quad_perm:[2,3,0,1] row_mask:0xf bank_mask:0xf
	s_delay_alu instid0(VALU_DEP_1) | instskip(SKIP_1) | instid1(VALU_DEP_1)
	v_cmp_gt_f32_e32 vcc_lo, v1, v2
	v_cndmask_b32_e32 v1, v2, v1, vcc_lo
	v_mov_b32_dpp v2, v1 row_xmask:7 row_mask:0xf bank_mask:0xf
	s_delay_alu instid0(VALU_DEP_1) | instskip(SKIP_1) | instid1(VALU_DEP_1)
	v_cmp_gt_f32_e32 vcc_lo, v1, v2
	v_cndmask_b32_e32 v1, v2, v1, vcc_lo
	v_mov_b32_dpp v2, v1 row_xmask:15 row_mask:0xf bank_mask:0xf
	s_delay_alu instid0(VALU_DEP_1) | instskip(SKIP_1) | instid1(VALU_DEP_1)
	v_cmp_gt_f32_e32 vcc_lo, v1, v2
	v_cndmask_b32_e32 v1, v2, v1, vcc_lo
	v_dual_mul_f32 v22, 0x3b124925, v1 :: v_dual_mov_b32 v1, s34
	v_mov_b32_e32 v2, s35
.LBB27_41:
	s_and_saveexec_b32 s0, s1
	s_cbranch_execz .LBB27_43
; %bb.42:
	s_delay_alu instid0(VALU_DEP_1) | instskip(NEXT) | instid1(VALU_DEP_1)
	v_lshlrev_b64 v[0:1], 2, v[1:2]
	v_add_co_u32 v0, vcc_lo, s8, v0
	s_delay_alu instid0(VALU_DEP_2)
	v_add_co_ci_u32_e32 v1, vcc_lo, s9, v1, vcc_lo
	global_store_b32 v[0:1], v22, off
.LBB27_43:
	s_or_b32 exec_lo, exec_lo, s0
	;;#ASMSTART
	v_rcp_f32 v2, v22
	;;#ASMEND
	v_dual_mul_f32 v0, v19, v2 :: v_dual_mov_b32 v19, 0x43e00000
	v_dual_mul_f32 v1, v20, v2 :: v_dual_mov_b32 v10, 0xc3e00000
	v_mul_f32_e32 v17, v17, v2
	v_mul_f32_e32 v18, v18, v2
	;;#ASMSTART
	v_med3_f32 v0, v0, v10, v19
v_med3_f32 v1, v1, v10, v19
v_cvt_pk_fp8_f32 v20, v0, v1
	;;#ASMEND
	s_add_i32 s0, s13, 3
	;;#ASMSTART
	v_med3_f32 v17, v17, v10, v19
v_med3_f32 v18, v18, v10, v19
v_cvt_pk_fp8_f32 v0, v17, v18
	;;#ASMEND
	v_perm_b32 v1, v0, v20, 0x5040100
	s_ashr_i32 s2, s0, 31
	v_mul_f32_e32 v15, v15, v2
	s_lshr_b32 s2, s2, 30
	v_mul_f32_e32 v16, v16, v2
	s_ashr_i32 s1, s17, 31
	v_mul_f32_e32 v13, v13, v2
	v_mul_f32_e32 v14, v14, v2
	v_perm_b32 v0, v1, v0, 0x1060504
	;;#ASMSTART
	v_med3_f32 v15, v15, v10, v19
v_med3_f32 v16, v16, v10, v19
v_cvt_pk_fp8_f32 v1, v15, v16
	;;#ASMEND
	v_mul_f32_e32 v11, v11, v2
	v_mul_f32_e32 v12, v12, v2
	s_add_i32 s0, s0, s2
	;;#ASMSTART
	v_med3_f32 v13, v13, v10, v19
v_med3_f32 v14, v14, v10, v19
v_cvt_pk_fp8_f32 v15, v13, v14
	;;#ASMEND
	v_mul_f32_e32 v7, v7, v2
	v_mul_f32_e32 v8, v8, v2
	;; [unrolled: 1-line block ×6, first 2 shown]
	;;#ASMSTART
	v_med3_f32 v11, v11, v10, v19
v_med3_f32 v12, v12, v10, v19
v_cvt_pk_fp8_f32 v2, v11, v12
	;;#ASMEND
	s_mul_hi_u32 s3, s17, s34
	s_mul_i32 s1, s1, s34
	;;#ASMSTART
	v_med3_f32 v7, v7, v10, v19
v_med3_f32 v8, v8, v10, v19
v_cvt_pk_fp8_f32 v11, v7, v8
	;;#ASMEND
	s_and_b32 s2, s0, -4
	s_mul_i32 s0, s17, s34
	;;#ASMSTART
	v_med3_f32 v5, v5, v10, v19
v_med3_f32 v6, v6, v10, v19
v_cvt_pk_fp8_f32 v7, v5, v6
	;;#ASMEND
	s_add_i32 s3, s3, s1
	;;#ASMSTART
	v_med3_f32 v3, v3, v10, v19
v_med3_f32 v4, v4, v10, v19
v_cvt_pk_fp8_f32 v5, v3, v4
	;;#ASMEND
	s_add_u32 s0, s4, s0
	v_perm_b32 v1, v1, v15, 0x1000504
	v_perm_b32 v2, v2, v11, 0x1000504
	;; [unrolled: 1-line block ×3, first 2 shown]
	s_addc_u32 s1, s5, s3
	s_mov_b32 s3, -1
	s_and_b32 s1, s1, 0xffff
	buffer_store_b128 v[0:3], v9, s[0:3], 0 offen
	;;#ASMSTART
	s_nop 0
	;;#ASMEND
.LBB27_44:
	s_nop 0
	s_sendmsg sendmsg(MSG_DEALLOC_VGPRS)
	s_endpgm
.LBB27_45:
                                        ; implicit-def: $vgpr1_vgpr2
	s_branch .LBB27_32
	.section	.rodata,"a",@progbits
	.p2align	6, 0x0
	.amdhsa_kernel _ZN5aiter24add_rmsnorm_quant_kernelIDF16_DB8_Li512ELi16ELb1ELb1ELb0ELi1EEEvPT0_PT_PfS5_S5_S5_diiiiiiib
		.amdhsa_group_segment_fixed_size 128
		.amdhsa_private_segment_fixed_size 0
		.amdhsa_kernarg_size 88
		.amdhsa_user_sgpr_count 15
		.amdhsa_user_sgpr_dispatch_ptr 0
		.amdhsa_user_sgpr_queue_ptr 0
		.amdhsa_user_sgpr_kernarg_segment_ptr 1
		.amdhsa_user_sgpr_dispatch_id 0
		.amdhsa_user_sgpr_private_segment_size 0
		.amdhsa_wavefront_size32 1
		.amdhsa_uses_dynamic_stack 0
		.amdhsa_enable_private_segment 0
		.amdhsa_system_sgpr_workgroup_id_x 1
		.amdhsa_system_sgpr_workgroup_id_y 0
		.amdhsa_system_sgpr_workgroup_id_z 0
		.amdhsa_system_sgpr_workgroup_info 0
		.amdhsa_system_vgpr_workitem_id 0
		.amdhsa_next_free_vgpr 46
		.amdhsa_next_free_sgpr 36
		.amdhsa_reserve_vcc 1
		.amdhsa_float_round_mode_32 0
		.amdhsa_float_round_mode_16_64 0
		.amdhsa_float_denorm_mode_32 3
		.amdhsa_float_denorm_mode_16_64 3
		.amdhsa_dx10_clamp 1
		.amdhsa_ieee_mode 1
		.amdhsa_fp16_overflow 0
		.amdhsa_workgroup_processor_mode 1
		.amdhsa_memory_ordered 1
		.amdhsa_forward_progress 0
		.amdhsa_shared_vgpr_count 0
		.amdhsa_exception_fp_ieee_invalid_op 0
		.amdhsa_exception_fp_denorm_src 0
		.amdhsa_exception_fp_ieee_div_zero 0
		.amdhsa_exception_fp_ieee_overflow 0
		.amdhsa_exception_fp_ieee_underflow 0
		.amdhsa_exception_fp_ieee_inexact 0
		.amdhsa_exception_int_div_zero 0
	.end_amdhsa_kernel
	.section	.text._ZN5aiter24add_rmsnorm_quant_kernelIDF16_DB8_Li512ELi16ELb1ELb1ELb0ELi1EEEvPT0_PT_PfS5_S5_S5_diiiiiiib,"axG",@progbits,_ZN5aiter24add_rmsnorm_quant_kernelIDF16_DB8_Li512ELi16ELb1ELb1ELb0ELi1EEEvPT0_PT_PfS5_S5_S5_diiiiiiib,comdat
.Lfunc_end27:
	.size	_ZN5aiter24add_rmsnorm_quant_kernelIDF16_DB8_Li512ELi16ELb1ELb1ELb0ELi1EEEvPT0_PT_PfS5_S5_S5_diiiiiiib, .Lfunc_end27-_ZN5aiter24add_rmsnorm_quant_kernelIDF16_DB8_Li512ELi16ELb1ELb1ELb0ELi1EEEvPT0_PT_PfS5_S5_S5_diiiiiiib
                                        ; -- End function
	.section	.AMDGPU.csdata,"",@progbits
; Kernel info:
; codeLenInByte = 4480
; NumSgprs: 38
; NumVgprs: 46
; ScratchSize: 0
; MemoryBound: 0
; FloatMode: 240
; IeeeMode: 1
; LDSByteSize: 128 bytes/workgroup (compile time only)
; SGPRBlocks: 4
; VGPRBlocks: 5
; NumSGPRsForWavesPerEU: 38
; NumVGPRsForWavesPerEU: 46
; Occupancy: 16
; WaveLimiterHint : 0
; COMPUTE_PGM_RSRC2:SCRATCH_EN: 0
; COMPUTE_PGM_RSRC2:USER_SGPR: 15
; COMPUTE_PGM_RSRC2:TRAP_HANDLER: 0
; COMPUTE_PGM_RSRC2:TGID_X_EN: 1
; COMPUTE_PGM_RSRC2:TGID_Y_EN: 0
; COMPUTE_PGM_RSRC2:TGID_Z_EN: 0
; COMPUTE_PGM_RSRC2:TIDIG_COMP_CNT: 0
	.section	.text._ZN5aiter24add_rmsnorm_quant_kernelItDB8_Li512ELi16ELb1ELb1ELb0ELi1EEEvPT0_PT_PfS5_S5_S5_diiiiiiib,"axG",@progbits,_ZN5aiter24add_rmsnorm_quant_kernelItDB8_Li512ELi16ELb1ELb1ELb0ELi1EEEvPT0_PT_PfS5_S5_S5_diiiiiiib,comdat
	.protected	_ZN5aiter24add_rmsnorm_quant_kernelItDB8_Li512ELi16ELb1ELb1ELb0ELi1EEEvPT0_PT_PfS5_S5_S5_diiiiiiib ; -- Begin function _ZN5aiter24add_rmsnorm_quant_kernelItDB8_Li512ELi16ELb1ELb1ELb0ELi1EEEvPT0_PT_PfS5_S5_S5_diiiiiiib
	.globl	_ZN5aiter24add_rmsnorm_quant_kernelItDB8_Li512ELi16ELb1ELb1ELb0ELi1EEEvPT0_PT_PfS5_S5_S5_diiiiiiib
	.p2align	8
	.type	_ZN5aiter24add_rmsnorm_quant_kernelItDB8_Li512ELi16ELb1ELb1ELb0ELi1EEEvPT0_PT_PfS5_S5_S5_diiiiiiib,@function
_ZN5aiter24add_rmsnorm_quant_kernelItDB8_Li512ELi16ELb1ELb1ELb0ELi1EEEvPT0_PT_PfS5_S5_S5_diiiiiiib: ; @_ZN5aiter24add_rmsnorm_quant_kernelItDB8_Li512ELi16ELb1ELb1ELb0ELi1EEEvPT0_PT_PfS5_S5_S5_diiiiiiib
; %bb.0:
	s_mov_b32 s34, s15
	s_load_b256 s[12:19], s[0:1], 0x38
	s_mov_b32 s35, 0
	s_waitcnt lgkmcnt(0)
	s_ashr_i32 s3, s12, 31
	s_mov_b32 s2, s12
	s_delay_alu instid0(SALU_CYCLE_1) | instskip(NEXT) | instid1(VALU_DEP_1)
	v_cmp_ge_i64_e64 s2, s[34:35], s[2:3]
	s_and_b32 vcc_lo, exec_lo, s2
	s_cbranch_vccnz .LBB28_44
; %bb.1:
	s_load_b256 s[4:11], s[0:1], 0x0
	s_ashr_i32 s2, s14, 31
	s_mul_hi_u32 s3, s14, s34
	s_mul_i32 s20, s2, s34
	s_mul_i32 s2, s14, s34
	s_add_i32 s3, s3, s20
	s_load_b256 s[20:27], s[0:1], 0x20
	s_lshl_b64 s[0:1], s[2:3], 1
	v_lshlrev_b32_e32 v35, 5, v0
	s_mov_b32 s31, -1
	s_waitcnt lgkmcnt(0)
	s_add_u32 s28, s10, s0
	s_addc_u32 s0, s11, s1
	s_add_i32 s1, s13, 1
	s_and_b32 s29, s0, 0xffff
	s_lshr_b32 s2, s1, 31
	s_ashr_i32 s0, s15, 31
	s_add_i32 s1, s1, s2
	s_mul_i32 s0, s0, s34
	s_lshl_b32 s1, s1, 1
	s_mul_i32 s2, s15, s34
	s_and_b32 s30, s1, -4
	s_mul_hi_u32 s1, s15, s34
	s_clause 0x1
	buffer_load_b128 v[9:12], v35, s[28:31], 0 offen
	buffer_load_b128 v[13:16], v35, s[28:31], 16 offen
	s_add_i32 s3, s1, s0
	s_and_b32 s1, s23, 0xffff
	s_lshl_b64 s[2:3], s[2:3], 1
	s_delay_alu instid0(SALU_CYCLE_1)
	s_add_u32 s28, s20, s2
	s_addc_u32 s0, s21, s3
	s_mov_b32 s3, s31
	s_and_b32 s29, s0, 0xffff
	s_clause 0x1
	buffer_load_b128 v[17:20], v35, s[28:31], 0 offen
	buffer_load_b128 v[21:24], v35, s[28:31], 16 offen
	s_mov_b32 s0, s22
	s_mov_b32 s2, s30
	s_waitcnt vmcnt(3)
	v_lshrrev_b32_e32 v25, 16, v9
	v_lshrrev_b32_e32 v26, 16, v10
	s_waitcnt vmcnt(2)
	v_lshrrev_b32_e32 v33, 16, v14
	v_and_b32_e32 v34, 0xffff, v14
	v_lshrrev_b32_e32 v36, 16, v15
	v_and_b32_e32 v37, 0xffff, v15
	v_lshrrev_b32_e32 v27, 16, v11
	v_lshrrev_b32_e32 v29, 16, v12
	v_and_b32_e32 v30, 0xffff, v12
	v_lshrrev_b32_e32 v31, 16, v13
	s_waitcnt vmcnt(1)
	v_and_b32_e32 v14, 0xffff, v18
	v_lshrrev_b32_e32 v15, 16, v18
	v_and_b32_e32 v32, 0xffff, v13
	v_lshrrev_b32_e32 v38, 16, v16
	v_cvt_f32_u32_e32 v12, v25
	v_and_b32_e32 v13, 0xffff, v17
	v_and_b32_e32 v25, 0xffff, v16
	v_cvt_f32_u32_e32 v14, v14
	v_and_b32_e32 v28, 0xffff, v11
	v_lshrrev_b32_e32 v11, 16, v17
	v_cvt_f32_u32_e32 v16, v26
	v_cvt_f32_u32_e32 v15, v15
	v_and_b32_e32 v9, 0xffff, v9
	v_cvt_f32_u32_e32 v13, v13
	v_cvt_f32_u32_e32 v11, v11
	v_and_b32_e32 v10, 0xffff, v10
	v_and_b32_e32 v17, 0xffff, v19
	v_cvt_f32_u32_e32 v9, v9
	v_lshrrev_b32_e32 v18, 16, v19
	v_add_f32_e32 v11, v12, v11
	v_cvt_f32_u32_e32 v10, v10
	v_cvt_f32_u32_e32 v17, v17
	v_add_f32_e32 v12, v9, v13
	s_clause 0x1
	buffer_load_b128 v[5:8], v35, s[0:3], 0 offen
	buffer_load_b128 v[1:4], v35, s[0:3], 16 offen
	v_mul_f32_e32 v9, v11, v11
	v_add_f32_e32 v13, v10, v14
	v_cvt_f32_u32_e32 v10, v28
	v_add_f32_e32 v14, v16, v15
	v_cvt_f32_u32_e32 v16, v27
	v_fmac_f32_e32 v9, v12, v12
	v_cvt_f32_u32_e32 v18, v18
	s_waitcnt vmcnt(2)
	v_and_b32_e32 v28, 0xffff, v23
	v_lshrrev_b32_e32 v23, 16, v23
	v_add_f32_e32 v15, v10, v17
	v_fmac_f32_e32 v9, v13, v13
	v_lshrrev_b32_e32 v17, 16, v20
	v_add_f32_e32 v16, v16, v18
	v_cvt_f32_u32_e32 v18, v29
	v_cvt_f32_u32_e32 v29, v23
	v_and_b32_e32 v19, 0xffff, v20
	v_dual_fmac_f32 v9, v14, v14 :: v_dual_and_b32 v20, 0xffff, v21
	v_cvt_f32_u32_e32 v10, v30
	v_cvt_f32_u32_e32 v26, v17
	s_delay_alu instid0(VALU_DEP_4) | instskip(NEXT) | instid1(VALU_DEP_4)
	v_cvt_f32_u32_e32 v19, v19
	v_fmac_f32_e32 v9, v15, v15
	v_cvt_f32_u32_e32 v20, v20
	s_ashr_i32 s0, s16, 31
	v_add_f32_e32 v18, v18, v26
	v_dual_add_f32 v17, v10, v19 :: v_dual_and_b32 v26, 0xffff, v22
	v_cvt_f32_u32_e32 v10, v32
	v_lshrrev_b32_e32 v19, 16, v21
	v_cvt_f32_u32_e32 v21, v31
	v_lshrrev_b32_e32 v22, 16, v22
	v_cvt_f32_u32_e32 v26, v26
	v_fmac_f32_e32 v9, v16, v16
	v_cvt_f32_u32_e32 v27, v19
	v_add_f32_e32 v19, v10, v20
	v_cvt_f32_u32_e32 v10, v34
	v_cvt_f32_u32_e32 v22, v22
	s_mul_hi_u32 s1, s16, s34
	v_add_f32_e32 v20, v21, v27
	v_cvt_f32_u32_e32 v27, v33
	v_add_f32_e32 v21, v10, v26
	v_cvt_f32_u32_e32 v10, v37
	v_cvt_f32_u32_e32 v26, v28
	v_and_b32_e32 v28, 0xffff, v24
	v_add_f32_e32 v22, v27, v22
	v_cvt_f32_u32_e32 v27, v36
	s_delay_alu instid0(VALU_DEP_4)
	v_dual_add_f32 v23, v10, v26 :: v_dual_and_b32 v36, 31, v0
	v_cvt_f32_u32_e32 v10, v25
	v_lshrrev_b32_e32 v25, 16, v24
	v_cvt_f32_u32_e32 v26, v28
	v_add_f32_e32 v24, v27, v29
	v_cvt_f32_u32_e32 v27, v38
	s_mul_i32 s2, s0, s34
	v_cvt_f32_u32_e32 v28, v25
	v_fmac_f32_e32 v9, v17, v17
	v_add_f32_e32 v25, v10, v26
	s_mul_i32 s0, s16, s34
	s_add_i32 s1, s1, s2
	s_delay_alu instid0(VALU_DEP_2)
	v_dual_add_f32 v26, v27, v28 :: v_dual_fmac_f32 v9, v18, v18
	s_lshl_b64 s[0:1], s[0:1], 1
	v_perm_b32 v30, v18, v17, 0x7060302
	s_add_u32 s28, s6, s0
	s_addc_u32 s0, s7, s1
	v_fmac_f32_e32 v9, v19, v19
	s_and_b32 s29, s0, 0xffff
	v_perm_b32 v29, v16, v15, 0x7060302
	v_perm_b32 v28, v14, v13, 0x7060302
	;; [unrolled: 1-line block ×3, first 2 shown]
	v_fmac_f32_e32 v9, v20, v20
	v_perm_b32 v34, v26, v25, 0x7060302
	v_perm_b32 v33, v24, v23, 0x7060302
	;; [unrolled: 1-line block ×4, first 2 shown]
	v_fmac_f32_e32 v9, v21, v21
	v_cmp_eq_u32_e64 s0, 31, v36
	buffer_store_b128 v[27:30], v35, s[28:31], 0 offen
	;;#ASMSTART
	s_nop 0
	;;#ASMEND
	buffer_store_b128 v[31:34], v35, s[28:31], 16 offen
	v_fmac_f32_e32 v9, v22, v22
	;;#ASMSTART
	s_nop 0
	;;#ASMEND
	s_delay_alu instid0(VALU_DEP_1) | instskip(NEXT) | instid1(VALU_DEP_1)
	v_fmac_f32_e32 v9, v23, v23
	v_fmac_f32_e32 v9, v24, v24
	s_delay_alu instid0(VALU_DEP_1) | instskip(NEXT) | instid1(VALU_DEP_1)
	v_fmac_f32_e32 v9, v25, v25
	v_fmac_f32_e32 v9, v26, v26
	s_delay_alu instid0(VALU_DEP_1) | instskip(NEXT) | instid1(VALU_DEP_1)
	v_mov_b32_dpp v10, v9 quad_perm:[1,0,3,2] row_mask:0xf bank_mask:0xf
	v_add_f32_e32 v9, v9, v10
	s_delay_alu instid0(VALU_DEP_1) | instskip(NEXT) | instid1(VALU_DEP_1)
	v_mov_b32_dpp v10, v9 quad_perm:[2,3,0,1] row_mask:0xf bank_mask:0xf
	v_add_f32_e32 v9, v9, v10
	s_delay_alu instid0(VALU_DEP_1) | instskip(NEXT) | instid1(VALU_DEP_1)
	v_mov_b32_dpp v10, v9 row_xmask:7 row_mask:0xf bank_mask:0xf
	v_add_f32_e32 v9, v9, v10
	s_delay_alu instid0(VALU_DEP_1)
	v_mov_b32_dpp v10, v9 row_xmask:15 row_mask:0xf bank_mask:0xf
	s_and_saveexec_b32 s1, s0
	s_cbranch_execz .LBB28_3
; %bb.2:
	s_delay_alu instid0(VALU_DEP_1) | instskip(SKIP_2) | instid1(VALU_DEP_2)
	v_add_f32_e32 v9, v9, v10
	s_mov_b32 s2, 0x76543210
	v_lshrrev_b32_e32 v10, 3, v0
	v_permlanex16_b32 v27, v9, s2, 0xfedcba98 op_sel:[1,1]
	s_delay_alu instid0(VALU_DEP_1)
	v_dual_add_f32 v9, v9, v27 :: v_dual_and_b32 v10, 0x7c, v10
	ds_store_b32 v10, v9 offset:64
.LBB28_3:
	s_or_b32 exec_lo, exec_lo, s1
	v_and_b32_e32 v9, 15, v0
	s_waitcnt vmcnt(0) lgkmcnt(0)
	s_waitcnt_vscnt null, 0x0
	s_barrier
	buffer_gl0_inv
	v_cvt_f32_i32_e32 v28, s13
	v_lshlrev_b32_e32 v10, 2, v9
	s_cmp_lg_u32 s18, 0
	v_mov_b32_e32 v36, 0x2edbe6ff
	ds_load_b32 v9, v10 offset:64
	s_waitcnt lgkmcnt(0)
	v_mov_b32_dpp v27, v9 quad_perm:[1,0,3,2] row_mask:0xf bank_mask:0xf
	s_delay_alu instid0(VALU_DEP_1) | instskip(NEXT) | instid1(VALU_DEP_1)
	v_add_f32_e32 v9, v9, v27
	v_mov_b32_dpp v27, v9 quad_perm:[2,3,0,1] row_mask:0xf bank_mask:0xf
	s_delay_alu instid0(VALU_DEP_1) | instskip(NEXT) | instid1(VALU_DEP_1)
	v_add_f32_e32 v9, v9, v27
	v_mov_b32_dpp v27, v9 row_xmask:7 row_mask:0xf bank_mask:0xf
	s_delay_alu instid0(VALU_DEP_1) | instskip(NEXT) | instid1(VALU_DEP_1)
	v_add_f32_e32 v9, v9, v27
	v_mov_b32_dpp v27, v9 row_xmask:15 row_mask:0xf bank_mask:0xf
	s_delay_alu instid0(VALU_DEP_1) | instskip(NEXT) | instid1(VALU_DEP_1)
	v_add_f32_e32 v9, v9, v27
	v_div_scale_f32 v27, null, v28, v28, v9
	v_div_scale_f32 v31, vcc_lo, v9, v28, v9
	s_delay_alu instid0(VALU_DEP_2) | instskip(SKIP_2) | instid1(VALU_DEP_1)
	v_rcp_f32_e32 v29, v27
	s_waitcnt_depctr 0xfff
	v_fma_f32 v30, -v27, v29, 1.0
	v_fmac_f32_e32 v29, v30, v29
	s_delay_alu instid0(VALU_DEP_1) | instskip(NEXT) | instid1(VALU_DEP_1)
	v_mul_f32_e32 v30, v31, v29
	v_fma_f32 v32, -v27, v30, v31
	s_delay_alu instid0(VALU_DEP_1) | instskip(SKIP_2) | instid1(VALU_DEP_3)
	v_fmac_f32_e32 v30, v32, v29
	v_and_b32_e32 v32, 0xffff, v1
	v_lshrrev_b32_e32 v1, 16, v1
	v_fma_f32 v27, -v27, v30, v31
	s_delay_alu instid0(VALU_DEP_3) | instskip(NEXT) | instid1(VALU_DEP_3)
	v_cvt_f32_u32_e32 v32, v32
	v_cvt_f32_u32_e32 v1, v1
	s_delay_alu instid0(VALU_DEP_3) | instskip(SKIP_2) | instid1(VALU_DEP_3)
	v_div_fmas_f32 v27, v27, v29, v30
	v_and_b32_e32 v30, 0xffff, v7
	v_lshrrev_b32_e32 v7, 16, v7
	v_div_fixup_f32 v9, v27, v28, v9
	s_delay_alu instid0(VALU_DEP_3) | instskip(NEXT) | instid1(VALU_DEP_3)
	v_cvt_f32_u32_e32 v30, v30
	v_cvt_f32_u32_e32 v7, v7
	s_delay_alu instid0(VALU_DEP_3) | instskip(SKIP_1) | instid1(VALU_DEP_2)
	v_cvt_f64_f32_e32 v[27:28], v9
	v_lshlrev_b32_e32 v9, 4, v0
	v_add_f64 v[27:28], v[27:28], s[24:25]
	s_delay_alu instid0(VALU_DEP_1) | instskip(SKIP_2) | instid1(VALU_DEP_2)
	v_cvt_f32_f64_e32 v27, v[27:28]
	v_and_b32_e32 v28, 0xffff, v5
	v_lshrrev_b32_e32 v5, 16, v5
	v_cvt_f32_u32_e32 v28, v28
	s_delay_alu instid0(VALU_DEP_2) | instskip(SKIP_4) | instid1(VALU_DEP_4)
	v_cvt_f32_u32_e32 v5, v5
	v_mul_f32_e32 v33, 0x4b800000, v27
	v_cmp_gt_f32_e32 vcc_lo, 0x800000, v27
	v_and_b32_e32 v34, 0xffff, v2
	v_lshrrev_b32_e32 v2, 16, v2
	v_cndmask_b32_e32 v27, v27, v33, vcc_lo
	s_delay_alu instid0(VALU_DEP_3) | instskip(NEXT) | instid1(VALU_DEP_3)
	v_cvt_f32_u32_e32 v34, v34
	v_cvt_f32_u32_e32 v2, v2
	s_delay_alu instid0(VALU_DEP_3) | instskip(SKIP_2) | instid1(VALU_DEP_1)
	v_rsq_f32_e32 v27, v27
	s_waitcnt_depctr 0xfff
	v_mul_f32_e32 v37, 0x45800000, v27
	v_cndmask_b32_e32 v27, v27, v37, vcc_lo
	v_and_b32_e32 v35, 0xffff, v4
	v_lshrrev_b32_e32 v4, 16, v4
	s_delay_alu instid0(VALU_DEP_3) | instskip(NEXT) | instid1(VALU_DEP_3)
	v_mul_f32_e32 v16, v16, v27
	v_cvt_f32_u32_e32 v35, v35
	s_delay_alu instid0(VALU_DEP_3) | instskip(NEXT) | instid1(VALU_DEP_3)
	v_cvt_f32_u32_e32 v4, v4
	v_dual_mul_f32 v16, v16, v7 :: v_dual_and_b32 v29, 0xffff, v6
	v_mul_f32_e32 v12, v12, v27
	v_lshrrev_b32_e32 v6, 16, v6
	v_dual_mul_f32 v14, v14, v27 :: v_dual_and_b32 v31, 0xffff, v8
	v_lshrrev_b32_e32 v8, 16, v8
	v_mul_f32_e32 v21, v21, v27
	v_mul_f32_e32 v26, v26, v27
	v_cvt_f32_u32_e32 v6, v6
	v_mul_f32_e32 v15, v15, v27
	v_cvt_f32_u32_e32 v8, v8
	v_mul_f32_e32 v38, v18, v27
	v_mul_f32_e32 v4, v26, v4
	s_delay_alu instid0(VALU_DEP_4)
	v_dual_mul_f32 v22, v22, v27 :: v_dual_mul_f32 v15, v15, v30
	v_dual_mul_f32 v18, v14, v6 :: v_dual_and_b32 v33, 0xffff, v3
	v_cvt_f32_u32_e32 v29, v29
	v_mul_f32_e32 v13, v13, v27
	v_mul_f32_e32 v39, v19, v27
	v_mul_f32_e32 v19, v12, v28
	v_mul_f32_e32 v14, v38, v8
	v_mul_f32_e32 v8, v22, v2
	v_and_b32_e32 v22, 0x7fffffff, v18
	v_mul_f32_e32 v40, v20, v27
	v_mul_f32_e32 v11, v11, v27
	v_lshrrev_b32_e32 v3, 16, v3
	v_cvt_f32_u32_e32 v31, v31
	v_cvt_f32_u32_e32 v33, v33
	v_mul_f32_e32 v12, v40, v1
	v_dual_mul_f32 v20, v11, v5 :: v_dual_mul_f32 v37, v17, v27
	v_cvt_f32_u32_e32 v3, v3
	v_dual_mul_f32 v23, v23, v27 :: v_dual_and_b32 v26, 0x7fffffff, v14
	v_dual_mul_f32 v24, v24, v27 :: v_dual_mul_f32 v11, v39, v32
	v_dual_mul_f32 v25, v25, v27 :: v_dual_and_b32 v28, 0x7fffffff, v12
	v_dual_mul_f32 v17, v13, v29 :: v_dual_and_b32 v2, 0x7fffffff, v20
	;; [unrolled: 1-line block ×3, first 2 shown]
	v_and_b32_e32 v1, 0x7fffffff, v19
	v_dual_mul_f32 v5, v23, v33 :: v_dual_mul_f32 v6, v24, v3
	v_dual_mul_f32 v7, v21, v34 :: v_dual_and_b32 v24, 0x7fffffff, v16
	;;#ASMSTART
	v_max3_f32 v1, v36, v1, v2

	;;#ASMEND
	s_delay_alu instid0(VALU_DEP_2)
	v_dual_mul_f32 v3, v25, v35 :: v_dual_and_b32 v32, 0x7fffffff, v6
	v_and_b32_e32 v21, 0x7fffffff, v17
	;;#ASMSTART
	v_max3_f32 v1, v1, v21, v22

	;;#ASMEND
	v_and_b32_e32 v23, 0x7fffffff, v15
	;;#ASMSTART
	v_max3_f32 v1, v1, v23, v24

	;;#ASMEND
	v_and_b32_e32 v25, 0x7fffffff, v13
	;;#ASMSTART
	v_max3_f32 v1, v1, v25, v26

	;;#ASMEND
	v_and_b32_e32 v27, 0x7fffffff, v11
	;;#ASMSTART
	v_max3_f32 v1, v1, v27, v28

	;;#ASMEND
	v_and_b32_e32 v29, 0x7fffffff, v7
	;;#ASMSTART
	v_max3_f32 v1, v1, v29, v30

	;;#ASMEND
	v_and_b32_e32 v31, 0x7fffffff, v5
	v_and_b32_e32 v33, 0x7fffffff, v3
	v_and_b32_e32 v34, 0x7fffffff, v4
	;;#ASMSTART
	v_max3_f32 v1, v1, v31, v32

	;;#ASMEND
	;;#ASMSTART
	v_max3_f32 v21, v1, v33, v34

	;;#ASMEND
	s_cbranch_scc0 .LBB28_10
; %bb.4:
	s_ashr_i32 s7, s18, 31
	s_delay_alu instid0(SALU_CYCLE_1) | instskip(NEXT) | instid1(SALU_CYCLE_1)
	s_lshr_b32 s1, s7, 28
	s_add_i32 s1, s18, s1
	s_delay_alu instid0(SALU_CYCLE_1) | instskip(NEXT) | instid1(SALU_CYCLE_1)
	s_ashr_i32 s1, s1, 4
	s_cmp_lt_i32 s1, 8
	s_cbranch_scc1 .LBB28_11
; %bb.5:
	s_cmp_lt_i32 s1, 16
	s_cbranch_scc1 .LBB28_12
; %bb.6:
	s_cmp_lt_i32 s1, 32
	s_cbranch_scc1 .LBB28_13
; %bb.7:
	v_mov_b32_e32 v1, v21
	s_cmp_eq_u32 s1, 32
	s_cbranch_scc0 .LBB28_9
; %bb.8:
	s_delay_alu instid0(VALU_DEP_1) | instskip(SKIP_1) | instid1(VALU_DEP_1)
	v_mov_b32_dpp v1, v21 quad_perm:[1,0,3,2] row_mask:0xf bank_mask:0xf
	s_mov_b32 s2, 0x76543210
	v_cmp_gt_f32_e32 vcc_lo, v21, v1
	v_cndmask_b32_e32 v1, v1, v21, vcc_lo
	s_delay_alu instid0(VALU_DEP_1) | instskip(NEXT) | instid1(VALU_DEP_1)
	v_mov_b32_dpp v2, v1 quad_perm:[2,3,0,1] row_mask:0xf bank_mask:0xf
	v_cmp_gt_f32_e32 vcc_lo, v1, v2
	v_cndmask_b32_e32 v1, v2, v1, vcc_lo
	s_delay_alu instid0(VALU_DEP_1) | instskip(NEXT) | instid1(VALU_DEP_1)
	v_mov_b32_dpp v2, v1 row_xmask:7 row_mask:0xf bank_mask:0xf
	v_cmp_gt_f32_e32 vcc_lo, v1, v2
	v_cndmask_b32_e32 v1, v2, v1, vcc_lo
	s_delay_alu instid0(VALU_DEP_1) | instskip(NEXT) | instid1(VALU_DEP_1)
	v_mov_b32_dpp v2, v1 row_xmask:15 row_mask:0xf bank_mask:0xf
	v_cmp_gt_f32_e32 vcc_lo, v1, v2
	v_cndmask_b32_e32 v1, v2, v1, vcc_lo
	s_delay_alu instid0(VALU_DEP_1) | instskip(NEXT) | instid1(VALU_DEP_1)
	v_permlanex16_b32 v2, v1, s2, 0xfedcba98 op_sel:[1,1]
	v_cmp_gt_f32_e32 vcc_lo, v1, v2
	v_cndmask_b32_e32 v1, v2, v1, vcc_lo
.LBB28_9:
	s_mov_b32 s2, 0
	s_branch .LBB28_14
.LBB28_10:
	s_mov_b32 s1, 0
                                        ; implicit-def: $vgpr22
                                        ; implicit-def: $vgpr1_vgpr2
	s_and_b32 vcc_lo, exec_lo, s31
	s_cbranch_vccnz .LBB28_38
	s_branch .LBB28_41
.LBB28_11:
                                        ; implicit-def: $vgpr1
	s_branch .LBB28_21
.LBB28_12:
                                        ; implicit-def: $vgpr1
	s_branch .LBB28_18
.LBB28_13:
	s_mov_b32 s2, -1
                                        ; implicit-def: $vgpr1
.LBB28_14:
	s_delay_alu instid0(SALU_CYCLE_1)
	s_and_not1_b32 vcc_lo, exec_lo, s2
	s_cbranch_vccnz .LBB28_17
; %bb.15:
	v_mov_b32_e32 v1, v21
	s_cmp_eq_u32 s1, 16
	s_cbranch_scc0 .LBB28_17
; %bb.16:
	s_delay_alu instid0(VALU_DEP_1) | instskip(NEXT) | instid1(VALU_DEP_1)
	v_mov_b32_dpp v1, v21 quad_perm:[1,0,3,2] row_mask:0xf bank_mask:0xf
	v_cmp_gt_f32_e32 vcc_lo, v21, v1
	v_cndmask_b32_e32 v1, v1, v21, vcc_lo
	s_delay_alu instid0(VALU_DEP_1) | instskip(NEXT) | instid1(VALU_DEP_1)
	v_mov_b32_dpp v2, v1 quad_perm:[2,3,0,1] row_mask:0xf bank_mask:0xf
	v_cmp_gt_f32_e32 vcc_lo, v1, v2
	v_cndmask_b32_e32 v1, v2, v1, vcc_lo
	s_delay_alu instid0(VALU_DEP_1) | instskip(NEXT) | instid1(VALU_DEP_1)
	v_mov_b32_dpp v2, v1 row_half_mirror row_mask:0xf bank_mask:0xf
	v_cmp_gt_f32_e32 vcc_lo, v1, v2
	v_cndmask_b32_e32 v1, v2, v1, vcc_lo
	s_delay_alu instid0(VALU_DEP_1) | instskip(NEXT) | instid1(VALU_DEP_1)
	v_mov_b32_dpp v2, v1 row_mirror row_mask:0xf bank_mask:0xf
	v_cmp_gt_f32_e32 vcc_lo, v1, v2
	v_cndmask_b32_e32 v1, v2, v1, vcc_lo
.LBB28_17:
	s_cbranch_execnz .LBB28_20
.LBB28_18:
	v_mov_b32_e32 v1, v21
	s_cmp_eq_u32 s1, 8
	s_cbranch_scc0 .LBB28_20
; %bb.19:
	s_delay_alu instid0(VALU_DEP_1) | instskip(NEXT) | instid1(VALU_DEP_1)
	v_mov_b32_dpp v1, v21 quad_perm:[1,0,3,2] row_mask:0xf bank_mask:0xf
	v_cmp_gt_f32_e32 vcc_lo, v21, v1
	v_cndmask_b32_e32 v1, v1, v21, vcc_lo
	s_delay_alu instid0(VALU_DEP_1) | instskip(NEXT) | instid1(VALU_DEP_1)
	v_mov_b32_dpp v2, v1 quad_perm:[2,3,0,1] row_mask:0xf bank_mask:0xf
	v_cmp_gt_f32_e32 vcc_lo, v1, v2
	v_cndmask_b32_e32 v1, v2, v1, vcc_lo
	s_delay_alu instid0(VALU_DEP_1) | instskip(NEXT) | instid1(VALU_DEP_1)
	v_mov_b32_dpp v2, v1 row_half_mirror row_mask:0xf bank_mask:0xf
	v_cmp_gt_f32_e32 vcc_lo, v1, v2
	v_cndmask_b32_e32 v1, v2, v1, vcc_lo
.LBB28_20:
	s_cbranch_execnz .LBB28_28
.LBB28_21:
	s_cmp_lt_i32 s1, 4
	s_cbranch_scc1 .LBB28_24
; %bb.22:
	v_mov_b32_e32 v1, v21
	s_cmp_eq_u32 s1, 4
	s_cbranch_scc0 .LBB28_25
; %bb.23:
	s_delay_alu instid0(VALU_DEP_1) | instskip(NEXT) | instid1(VALU_DEP_1)
	v_mov_b32_dpp v1, v21 quad_perm:[1,0,3,2] row_mask:0xf bank_mask:0xf
	v_cmp_gt_f32_e32 vcc_lo, v21, v1
	v_cndmask_b32_e32 v1, v1, v21, vcc_lo
	s_delay_alu instid0(VALU_DEP_1) | instskip(NEXT) | instid1(VALU_DEP_1)
	v_mov_b32_dpp v2, v1 quad_perm:[2,3,0,1] row_mask:0xf bank_mask:0xf
	v_cmp_gt_f32_e32 vcc_lo, v1, v2
	v_cndmask_b32_e32 v1, v2, v1, vcc_lo
	s_cbranch_execz .LBB28_26
	s_branch .LBB28_28
.LBB28_24:
                                        ; implicit-def: $vgpr1
	s_branch .LBB28_26
.LBB28_25:
	s_cbranch_execnz .LBB28_28
.LBB28_26:
	v_mov_b32_e32 v1, v21
	s_cmp_lg_u32 s1, 2
	s_cbranch_scc1 .LBB28_28
; %bb.27:
	s_delay_alu instid0(VALU_DEP_1) | instskip(NEXT) | instid1(VALU_DEP_1)
	v_mov_b32_dpp v1, v21 quad_perm:[1,0,3,2] row_mask:0xf bank_mask:0xf
	v_cmp_gt_f32_e32 vcc_lo, v21, v1
	v_cndmask_b32_e32 v1, v1, v21, vcc_lo
.LBB28_28:
	v_cvt_f32_u32_e32 v2, s1
	s_sub_i32 s2, 0, s1
	s_mov_b32 s31, 0
	s_delay_alu instid0(VALU_DEP_1) | instskip(SKIP_2) | instid1(VALU_DEP_1)
	v_rcp_iflag_f32_e32 v2, v2
	s_waitcnt_depctr 0xfff
	v_mul_f32_e32 v2, 0x4f7ffffe, v2
	v_cvt_u32_f32_e32 v2, v2
	s_delay_alu instid0(VALU_DEP_1) | instskip(NEXT) | instid1(VALU_DEP_1)
	v_mul_lo_u32 v22, s2, v2
	v_mul_hi_u32 v22, v2, v22
	s_delay_alu instid0(VALU_DEP_1) | instskip(NEXT) | instid1(VALU_DEP_1)
	v_add_nc_u32_e32 v2, v2, v22
	v_mul_hi_u32 v2, v0, v2
	s_delay_alu instid0(VALU_DEP_1) | instskip(NEXT) | instid1(VALU_DEP_1)
	v_mul_lo_u32 v22, v2, s1
	v_sub_nc_u32_e32 v22, v0, v22
	s_delay_alu instid0(VALU_DEP_1) | instskip(SKIP_1) | instid1(VALU_DEP_2)
	v_subrev_nc_u32_e32 v24, s1, v22
	v_cmp_le_u32_e32 vcc_lo, s1, v22
	v_dual_cndmask_b32 v22, v22, v24 :: v_dual_add_nc_u32 v23, 1, v2
	s_delay_alu instid0(VALU_DEP_1) | instskip(NEXT) | instid1(VALU_DEP_2)
	v_cndmask_b32_e32 v2, v2, v23, vcc_lo
	v_cmp_le_u32_e32 vcc_lo, s1, v22
	s_delay_alu instid0(VALU_DEP_2) | instskip(NEXT) | instid1(VALU_DEP_1)
	v_dual_mul_f32 v22, 0x3b124925, v1 :: v_dual_add_nc_u32 v23, 1, v2
	v_cndmask_b32_e32 v23, v2, v23, vcc_lo
	v_cmp_gt_u32_e32 vcc_lo, s13, v9
	s_delay_alu instid0(VALU_DEP_2) | instskip(NEXT) | instid1(VALU_DEP_1)
	v_mul_lo_u32 v2, v23, s1
	v_sub_nc_u32_e32 v2, v0, v2
	s_delay_alu instid0(VALU_DEP_1) | instskip(NEXT) | instid1(VALU_DEP_1)
	v_cmp_eq_u32_e64 s1, 0, v2
                                        ; implicit-def: $vgpr1_vgpr2
	s_and_b32 s2, s1, vcc_lo
	s_mov_b32 s1, 0
	s_and_saveexec_b32 s3, s2
	s_delay_alu instid0(SALU_CYCLE_1)
	s_xor_b32 s14, exec_lo, s3
	s_cbranch_execz .LBB28_37
; %bb.29:
	s_bitcmp0_b32 s19, 0
	s_mov_b32 s6, 0
	s_cbranch_scc0 .LBB28_34
; %bb.30:
	s_ashr_i32 s1, s13, 31
	s_mul_hi_u32 s3, s13, s34
	s_mul_i32 s1, s1, s34
	s_mul_i32 s2, s13, s34
	s_add_i32 s3, s3, s1
	s_mov_b32 s19, s7
	s_delay_alu instid0(SALU_CYCLE_1) | instskip(NEXT) | instid1(SALU_CYCLE_1)
	s_or_b64 s[10:11], s[2:3], s[18:19]
	s_mov_b32 s7, s11
	s_delay_alu instid0(SALU_CYCLE_1)
	s_cmp_lg_u64 s[6:7], 0
	s_cbranch_scc0 .LBB28_45
; %bb.31:
	s_add_u32 s10, s18, s19
	s_mov_b32 s6, s19
	s_mov_b32 s7, s19
	s_addc_u32 s11, s19, s19
	s_delay_alu instid0(SALU_CYCLE_1) | instskip(NEXT) | instid1(SALU_CYCLE_1)
	s_xor_b64 s[10:11], s[10:11], s[6:7]
	v_cvt_f32_u32_e32 v1, s10
	v_cvt_f32_u32_e32 v2, s11
	s_sub_u32 s16, 0, s10
	s_subb_u32 s19, 0, s11
	s_delay_alu instid0(VALU_DEP_1) | instskip(NEXT) | instid1(VALU_DEP_1)
	v_fmamk_f32 v1, v2, 0x4f800000, v1
	v_rcp_f32_e32 v1, v1
	s_waitcnt_depctr 0xfff
	v_mul_f32_e32 v1, 0x5f7ffffc, v1
	s_delay_alu instid0(VALU_DEP_1) | instskip(NEXT) | instid1(VALU_DEP_1)
	v_mul_f32_e32 v2, 0x2f800000, v1
	v_trunc_f32_e32 v2, v2
	s_delay_alu instid0(VALU_DEP_1) | instskip(SKIP_1) | instid1(VALU_DEP_2)
	v_fmamk_f32 v1, v2, 0xcf800000, v1
	v_cvt_u32_f32_e32 v2, v2
	v_cvt_u32_f32_e32 v1, v1
	s_delay_alu instid0(VALU_DEP_2) | instskip(NEXT) | instid1(VALU_DEP_2)
	v_readfirstlane_b32 s1, v2
	v_readfirstlane_b32 s15, v1
	s_delay_alu instid0(VALU_DEP_2) | instskip(NEXT) | instid1(VALU_DEP_1)
	s_mul_i32 s20, s16, s1
	s_mul_hi_u32 s22, s16, s15
	s_mul_i32 s21, s19, s15
	s_add_i32 s20, s22, s20
	s_mul_i32 s23, s16, s15
	s_add_i32 s20, s20, s21
	s_mul_hi_u32 s22, s15, s23
	s_mul_hi_u32 s24, s1, s23
	s_mul_i32 s21, s1, s23
	s_mul_hi_u32 s23, s15, s20
	s_mul_i32 s15, s15, s20
	s_mul_hi_u32 s25, s1, s20
	s_add_u32 s15, s22, s15
	s_addc_u32 s22, 0, s23
	s_add_u32 s15, s15, s21
	s_mul_i32 s20, s1, s20
	s_addc_u32 s15, s22, s24
	s_addc_u32 s21, s25, 0
	s_add_u32 s15, s15, s20
	s_addc_u32 s20, 0, s21
	v_add_co_u32 v1, s15, v1, s15
	s_delay_alu instid0(VALU_DEP_1) | instskip(SKIP_1) | instid1(VALU_DEP_1)
	s_cmp_lg_u32 s15, 0
	s_addc_u32 s1, s1, s20
	v_readfirstlane_b32 s15, v1
	s_mul_i32 s20, s16, s1
	s_delay_alu instid0(VALU_DEP_1)
	s_mul_hi_u32 s21, s16, s15
	s_mul_i32 s19, s19, s15
	s_add_i32 s20, s21, s20
	s_mul_i32 s16, s16, s15
	s_add_i32 s20, s20, s19
	s_mul_hi_u32 s21, s1, s16
	s_mul_i32 s22, s1, s16
	s_mul_hi_u32 s16, s15, s16
	s_mul_hi_u32 s23, s15, s20
	s_mul_i32 s15, s15, s20
	s_mul_hi_u32 s19, s1, s20
	s_add_u32 s15, s16, s15
	s_addc_u32 s16, 0, s23
	s_add_u32 s15, s15, s22
	s_mul_i32 s20, s1, s20
	s_addc_u32 s15, s16, s21
	s_addc_u32 s16, s19, 0
	s_add_u32 s15, s15, s20
	s_addc_u32 s16, 0, s16
	v_add_co_u32 v1, s15, v1, s15
	s_delay_alu instid0(VALU_DEP_1) | instskip(SKIP_2) | instid1(SALU_CYCLE_1)
	s_cmp_lg_u32 s15, 0
	s_addc_u32 s1, s1, s16
	s_ashr_i32 s20, s3, 31
	s_add_u32 s22, s2, s20
	s_addc_u32 s23, s3, s20
	v_readfirstlane_b32 s3, v1
	s_mov_b32 s21, s20
	s_delay_alu instid0(SALU_CYCLE_1) | instskip(NEXT) | instid1(SALU_CYCLE_1)
	s_xor_b64 s[22:23], s[22:23], s[20:21]
	s_mul_i32 s16, s22, s1
	s_delay_alu instid0(VALU_DEP_1)
	s_mul_hi_u32 s19, s22, s3
	s_mul_hi_u32 s15, s22, s1
	;; [unrolled: 1-line block ×3, first 2 shown]
	s_mul_i32 s3, s23, s3
	s_add_u32 s16, s19, s16
	s_addc_u32 s15, 0, s15
	s_mul_hi_u32 s24, s23, s1
	s_add_u32 s3, s16, s3
	s_mul_i32 s1, s23, s1
	s_addc_u32 s3, s15, s25
	s_addc_u32 s15, s24, 0
	s_add_u32 s3, s3, s1
	s_addc_u32 s15, 0, s15
	s_mul_hi_u32 s1, s10, s3
	s_mul_i32 s19, s10, s15
	s_mul_i32 s24, s10, s3
	s_add_i32 s1, s1, s19
	v_sub_co_u32 v1, s19, s22, s24
	s_mul_i32 s16, s11, s3
	s_delay_alu instid0(SALU_CYCLE_1) | instskip(NEXT) | instid1(VALU_DEP_1)
	s_add_i32 s1, s1, s16
	v_sub_co_u32 v2, s22, v1, s10
	s_sub_i32 s16, s23, s1
	s_cmp_lg_u32 s19, 0
	s_subb_u32 s16, s16, s11
	s_cmp_lg_u32 s22, 0
	v_cmp_le_u32_e32 vcc_lo, s10, v2
	s_subb_u32 s16, s16, 0
	s_delay_alu instid0(SALU_CYCLE_1)
	s_cmp_ge_u32 s16, s11
	v_cndmask_b32_e64 v2, 0, -1, vcc_lo
	s_cselect_b32 s22, -1, 0
	s_cmp_eq_u32 s16, s11
	s_cselect_b32 vcc_lo, -1, 0
	s_add_u32 s16, s3, 1
	v_cndmask_b32_e32 v2, s22, v2, vcc_lo
	s_addc_u32 s22, s15, 0
	s_add_u32 s24, s3, 2
	s_addc_u32 s25, s15, 0
	s_cmp_lg_u32 s19, 0
	v_cmp_le_u32_e32 vcc_lo, s10, v1
	s_subb_u32 s1, s23, s1
	v_mov_b32_e32 v24, s24
	s_cmp_ge_u32 s1, s11
	v_cndmask_b32_e64 v1, 0, -1, vcc_lo
	s_cselect_b32 s10, -1, 0
	s_cmp_eq_u32 s1, s11
	v_cmp_ne_u32_e32 vcc_lo, 0, v2
	v_mov_b32_e32 v2, s25
	s_cselect_b32 s1, -1, 0
	s_xor_b64 s[6:7], s[20:21], s[6:7]
	v_cndmask_b32_e64 v1, s10, v1, s1
	v_cndmask_b32_e32 v24, s16, v24, vcc_lo
	v_cndmask_b32_e32 v2, s22, v2, vcc_lo
	s_delay_alu instid0(VALU_DEP_3) | instskip(NEXT) | instid1(VALU_DEP_2)
	v_cmp_ne_u32_e32 vcc_lo, 0, v1
	v_cndmask_b32_e32 v1, s15, v2, vcc_lo
	s_delay_alu instid0(VALU_DEP_4) | instskip(NEXT) | instid1(VALU_DEP_2)
	v_cndmask_b32_e32 v2, s3, v24, vcc_lo
	v_xor_b32_e32 v24, s7, v1
	s_delay_alu instid0(VALU_DEP_2) | instskip(NEXT) | instid1(VALU_DEP_1)
	v_xor_b32_e32 v2, s6, v2
	v_sub_co_u32 v1, vcc_lo, v2, s6
	s_delay_alu instid0(VALU_DEP_3)
	v_subrev_co_ci_u32_e32 v2, vcc_lo, s7, v24, vcc_lo
	s_cbranch_execnz .LBB28_33
.LBB28_32:
	v_cvt_f32_u32_e32 v1, s18
	s_sub_i32 s3, 0, s18
	s_delay_alu instid0(VALU_DEP_1) | instskip(SKIP_2) | instid1(VALU_DEP_1)
	v_rcp_iflag_f32_e32 v1, v1
	s_waitcnt_depctr 0xfff
	v_mul_f32_e32 v1, 0x4f7ffffe, v1
	v_cvt_u32_f32_e32 v1, v1
	s_delay_alu instid0(VALU_DEP_1) | instskip(NEXT) | instid1(VALU_DEP_1)
	v_readfirstlane_b32 s1, v1
	s_mul_i32 s3, s3, s1
	s_delay_alu instid0(SALU_CYCLE_1) | instskip(NEXT) | instid1(SALU_CYCLE_1)
	s_mul_hi_u32 s3, s1, s3
	s_add_i32 s1, s1, s3
	s_delay_alu instid0(SALU_CYCLE_1) | instskip(NEXT) | instid1(SALU_CYCLE_1)
	s_mul_hi_u32 s1, s2, s1
	s_mul_i32 s3, s1, s18
	s_delay_alu instid0(SALU_CYCLE_1)
	s_sub_i32 s2, s2, s3
	s_add_i32 s3, s1, 1
	s_sub_i32 s6, s2, s18
	s_cmp_ge_u32 s2, s18
	s_cselect_b32 s1, s3, s1
	s_cselect_b32 s2, s6, s2
	s_add_i32 s6, s1, 1
	s_cmp_ge_u32 s2, s18
	s_mov_b32 s3, 0
	s_cselect_b32 s2, s6, s1
	s_delay_alu instid0(SALU_CYCLE_1)
	v_dual_mov_b32 v1, s2 :: v_dual_mov_b32 v2, s3
.LBB28_33:
	s_delay_alu instid0(VALU_DEP_1) | instskip(NEXT) | instid1(VALU_DEP_2)
	v_add_co_u32 v1, vcc_lo, v1, v23
	v_add_co_ci_u32_e32 v2, vcc_lo, 0, v2, vcc_lo
	s_branch .LBB28_36
.LBB28_34:
                                        ; implicit-def: $vgpr1_vgpr2
	s_cbranch_execz .LBB28_36
; %bb.35:
	v_mul_lo_u32 v1, v23, s12
	s_delay_alu instid0(VALU_DEP_1) | instskip(SKIP_1) | instid1(VALU_DEP_2)
	v_ashrrev_i32_e32 v2, 31, v1
	v_add_co_u32 v1, vcc_lo, v1, s34
	v_add_co_ci_u32_e32 v2, vcc_lo, 0, v2, vcc_lo
.LBB28_36:
	s_mov_b32 s1, exec_lo
.LBB28_37:
	s_or_b32 exec_lo, exec_lo, s14
	s_delay_alu instid0(SALU_CYCLE_1)
	s_and_b32 vcc_lo, exec_lo, s31
	s_cbranch_vccz .LBB28_41
.LBB28_38:
	v_mov_b32_dpp v1, v21 quad_perm:[1,0,3,2] row_mask:0xf bank_mask:0xf
	s_delay_alu instid0(VALU_DEP_1) | instskip(SKIP_1) | instid1(VALU_DEP_1)
	v_cmp_gt_f32_e32 vcc_lo, v21, v1
	v_cndmask_b32_e32 v1, v1, v21, vcc_lo
	v_mov_b32_dpp v2, v1 quad_perm:[2,3,0,1] row_mask:0xf bank_mask:0xf
	s_delay_alu instid0(VALU_DEP_1) | instskip(SKIP_1) | instid1(VALU_DEP_1)
	v_cmp_gt_f32_e32 vcc_lo, v1, v2
	v_cndmask_b32_e32 v1, v2, v1, vcc_lo
	v_mov_b32_dpp v2, v1 row_xmask:7 row_mask:0xf bank_mask:0xf
	s_delay_alu instid0(VALU_DEP_1) | instskip(SKIP_1) | instid1(VALU_DEP_1)
	v_cmp_gt_f32_e32 vcc_lo, v1, v2
	v_cndmask_b32_e32 v1, v2, v1, vcc_lo
	v_mov_b32_dpp v2, v1 row_xmask:15 row_mask:0xf bank_mask:0xf
	s_delay_alu instid0(VALU_DEP_1)
	v_cmp_gt_f32_e32 vcc_lo, v1, v2
	s_and_saveexec_b32 s1, s0
	s_cbranch_execz .LBB28_40
; %bb.39:
	v_cndmask_b32_e32 v1, v2, v1, vcc_lo
	v_lshrrev_b32_e32 v2, 3, v0
	s_mov_b32 s0, 0x76543210
	s_delay_alu instid0(VALU_DEP_1) | instskip(NEXT) | instid1(VALU_DEP_3)
	v_and_b32_e32 v2, 0x7c, v2
	v_permlanex16_b32 v21, v1, s0, 0xfedcba98 op_sel:[1,1]
	s_delay_alu instid0(VALU_DEP_1)
	v_cmp_gt_f32_e32 vcc_lo, v1, v21
	v_cndmask_b32_e32 v1, v21, v1, vcc_lo
	ds_store_b32 v2, v1
.LBB28_40:
	s_or_b32 exec_lo, exec_lo, s1
	s_waitcnt lgkmcnt(0)
	s_barrier
	buffer_gl0_inv
	ds_load_b32 v1, v10
	v_cmp_eq_u32_e64 s1, 0, v0
	s_waitcnt lgkmcnt(0)
	v_mov_b32_dpp v2, v1 quad_perm:[1,0,3,2] row_mask:0xf bank_mask:0xf
	s_delay_alu instid0(VALU_DEP_1) | instskip(SKIP_1) | instid1(VALU_DEP_1)
	v_cmp_gt_f32_e32 vcc_lo, v1, v2
	v_cndmask_b32_e32 v1, v2, v1, vcc_lo
	v_mov_b32_dpp v2, v1 quad_perm:[2,3,0,1] row_mask:0xf bank_mask:0xf
	s_delay_alu instid0(VALU_DEP_1) | instskip(SKIP_1) | instid1(VALU_DEP_1)
	v_cmp_gt_f32_e32 vcc_lo, v1, v2
	v_cndmask_b32_e32 v1, v2, v1, vcc_lo
	v_mov_b32_dpp v2, v1 row_xmask:7 row_mask:0xf bank_mask:0xf
	s_delay_alu instid0(VALU_DEP_1) | instskip(SKIP_1) | instid1(VALU_DEP_1)
	v_cmp_gt_f32_e32 vcc_lo, v1, v2
	v_cndmask_b32_e32 v1, v2, v1, vcc_lo
	v_mov_b32_dpp v2, v1 row_xmask:15 row_mask:0xf bank_mask:0xf
	s_delay_alu instid0(VALU_DEP_1) | instskip(SKIP_1) | instid1(VALU_DEP_1)
	v_cmp_gt_f32_e32 vcc_lo, v1, v2
	v_cndmask_b32_e32 v1, v2, v1, vcc_lo
	v_dual_mul_f32 v22, 0x3b124925, v1 :: v_dual_mov_b32 v1, s34
	v_mov_b32_e32 v2, s35
.LBB28_41:
	s_and_saveexec_b32 s0, s1
	s_cbranch_execz .LBB28_43
; %bb.42:
	s_delay_alu instid0(VALU_DEP_1) | instskip(NEXT) | instid1(VALU_DEP_1)
	v_lshlrev_b64 v[0:1], 2, v[1:2]
	v_add_co_u32 v0, vcc_lo, s8, v0
	s_delay_alu instid0(VALU_DEP_2)
	v_add_co_ci_u32_e32 v1, vcc_lo, s9, v1, vcc_lo
	global_store_b32 v[0:1], v22, off
.LBB28_43:
	s_or_b32 exec_lo, exec_lo, s0
	;;#ASMSTART
	v_rcp_f32 v2, v22
	;;#ASMEND
	v_dual_mul_f32 v0, v19, v2 :: v_dual_mov_b32 v19, 0x43e00000
	v_dual_mul_f32 v1, v20, v2 :: v_dual_mov_b32 v10, 0xc3e00000
	v_mul_f32_e32 v17, v17, v2
	v_mul_f32_e32 v18, v18, v2
	;;#ASMSTART
	v_med3_f32 v0, v0, v10, v19
v_med3_f32 v1, v1, v10, v19
v_cvt_pk_fp8_f32 v20, v0, v1
	;;#ASMEND
	s_add_i32 s0, s13, 3
	;;#ASMSTART
	v_med3_f32 v17, v17, v10, v19
v_med3_f32 v18, v18, v10, v19
v_cvt_pk_fp8_f32 v0, v17, v18
	;;#ASMEND
	v_perm_b32 v1, v0, v20, 0x5040100
	s_ashr_i32 s2, s0, 31
	v_mul_f32_e32 v15, v15, v2
	s_lshr_b32 s2, s2, 30
	v_mul_f32_e32 v16, v16, v2
	s_ashr_i32 s1, s17, 31
	v_mul_f32_e32 v13, v13, v2
	v_mul_f32_e32 v14, v14, v2
	v_perm_b32 v0, v1, v0, 0x1060504
	;;#ASMSTART
	v_med3_f32 v15, v15, v10, v19
v_med3_f32 v16, v16, v10, v19
v_cvt_pk_fp8_f32 v1, v15, v16
	;;#ASMEND
	v_mul_f32_e32 v11, v11, v2
	v_mul_f32_e32 v12, v12, v2
	s_add_i32 s0, s0, s2
	;;#ASMSTART
	v_med3_f32 v13, v13, v10, v19
v_med3_f32 v14, v14, v10, v19
v_cvt_pk_fp8_f32 v15, v13, v14
	;;#ASMEND
	v_mul_f32_e32 v7, v7, v2
	v_mul_f32_e32 v8, v8, v2
	;; [unrolled: 1-line block ×6, first 2 shown]
	;;#ASMSTART
	v_med3_f32 v11, v11, v10, v19
v_med3_f32 v12, v12, v10, v19
v_cvt_pk_fp8_f32 v2, v11, v12
	;;#ASMEND
	s_mul_hi_u32 s3, s17, s34
	s_mul_i32 s1, s1, s34
	;;#ASMSTART
	v_med3_f32 v7, v7, v10, v19
v_med3_f32 v8, v8, v10, v19
v_cvt_pk_fp8_f32 v11, v7, v8
	;;#ASMEND
	s_and_b32 s2, s0, -4
	s_mul_i32 s0, s17, s34
	;;#ASMSTART
	v_med3_f32 v5, v5, v10, v19
v_med3_f32 v6, v6, v10, v19
v_cvt_pk_fp8_f32 v7, v5, v6
	;;#ASMEND
	s_add_i32 s3, s3, s1
	;;#ASMSTART
	v_med3_f32 v3, v3, v10, v19
v_med3_f32 v4, v4, v10, v19
v_cvt_pk_fp8_f32 v5, v3, v4
	;;#ASMEND
	s_add_u32 s0, s4, s0
	v_perm_b32 v1, v1, v15, 0x1000504
	v_perm_b32 v2, v2, v11, 0x1000504
	;; [unrolled: 1-line block ×3, first 2 shown]
	s_addc_u32 s1, s5, s3
	s_mov_b32 s3, -1
	s_and_b32 s1, s1, 0xffff
	buffer_store_b128 v[0:3], v9, s[0:3], 0 offen
	;;#ASMSTART
	s_nop 0
	;;#ASMEND
.LBB28_44:
	s_nop 0
	s_sendmsg sendmsg(MSG_DEALLOC_VGPRS)
	s_endpgm
.LBB28_45:
                                        ; implicit-def: $vgpr1_vgpr2
	s_branch .LBB28_32
	.section	.rodata,"a",@progbits
	.p2align	6, 0x0
	.amdhsa_kernel _ZN5aiter24add_rmsnorm_quant_kernelItDB8_Li512ELi16ELb1ELb1ELb0ELi1EEEvPT0_PT_PfS5_S5_S5_diiiiiiib
		.amdhsa_group_segment_fixed_size 128
		.amdhsa_private_segment_fixed_size 0
		.amdhsa_kernarg_size 88
		.amdhsa_user_sgpr_count 15
		.amdhsa_user_sgpr_dispatch_ptr 0
		.amdhsa_user_sgpr_queue_ptr 0
		.amdhsa_user_sgpr_kernarg_segment_ptr 1
		.amdhsa_user_sgpr_dispatch_id 0
		.amdhsa_user_sgpr_private_segment_size 0
		.amdhsa_wavefront_size32 1
		.amdhsa_uses_dynamic_stack 0
		.amdhsa_enable_private_segment 0
		.amdhsa_system_sgpr_workgroup_id_x 1
		.amdhsa_system_sgpr_workgroup_id_y 0
		.amdhsa_system_sgpr_workgroup_id_z 0
		.amdhsa_system_sgpr_workgroup_info 0
		.amdhsa_system_vgpr_workitem_id 0
		.amdhsa_next_free_vgpr 41
		.amdhsa_next_free_sgpr 36
		.amdhsa_reserve_vcc 1
		.amdhsa_float_round_mode_32 0
		.amdhsa_float_round_mode_16_64 0
		.amdhsa_float_denorm_mode_32 3
		.amdhsa_float_denorm_mode_16_64 3
		.amdhsa_dx10_clamp 1
		.amdhsa_ieee_mode 1
		.amdhsa_fp16_overflow 0
		.amdhsa_workgroup_processor_mode 1
		.amdhsa_memory_ordered 1
		.amdhsa_forward_progress 0
		.amdhsa_shared_vgpr_count 0
		.amdhsa_exception_fp_ieee_invalid_op 0
		.amdhsa_exception_fp_denorm_src 0
		.amdhsa_exception_fp_ieee_div_zero 0
		.amdhsa_exception_fp_ieee_overflow 0
		.amdhsa_exception_fp_ieee_underflow 0
		.amdhsa_exception_fp_ieee_inexact 0
		.amdhsa_exception_int_div_zero 0
	.end_amdhsa_kernel
	.section	.text._ZN5aiter24add_rmsnorm_quant_kernelItDB8_Li512ELi16ELb1ELb1ELb0ELi1EEEvPT0_PT_PfS5_S5_S5_diiiiiiib,"axG",@progbits,_ZN5aiter24add_rmsnorm_quant_kernelItDB8_Li512ELi16ELb1ELb1ELb0ELi1EEEvPT0_PT_PfS5_S5_S5_diiiiiiib,comdat
.Lfunc_end28:
	.size	_ZN5aiter24add_rmsnorm_quant_kernelItDB8_Li512ELi16ELb1ELb1ELb0ELi1EEEvPT0_PT_PfS5_S5_S5_diiiiiiib, .Lfunc_end28-_ZN5aiter24add_rmsnorm_quant_kernelItDB8_Li512ELi16ELb1ELb1ELb0ELi1EEEvPT0_PT_PfS5_S5_S5_diiiiiiib
                                        ; -- End function
	.section	.AMDGPU.csdata,"",@progbits
; Kernel info:
; codeLenInByte = 4648
; NumSgprs: 38
; NumVgprs: 41
; ScratchSize: 0
; MemoryBound: 0
; FloatMode: 240
; IeeeMode: 1
; LDSByteSize: 128 bytes/workgroup (compile time only)
; SGPRBlocks: 4
; VGPRBlocks: 5
; NumSGPRsForWavesPerEU: 38
; NumVGPRsForWavesPerEU: 41
; Occupancy: 16
; WaveLimiterHint : 0
; COMPUTE_PGM_RSRC2:SCRATCH_EN: 0
; COMPUTE_PGM_RSRC2:USER_SGPR: 15
; COMPUTE_PGM_RSRC2:TRAP_HANDLER: 0
; COMPUTE_PGM_RSRC2:TGID_X_EN: 1
; COMPUTE_PGM_RSRC2:TGID_Y_EN: 0
; COMPUTE_PGM_RSRC2:TGID_Z_EN: 0
; COMPUTE_PGM_RSRC2:TIDIG_COMP_CNT: 0
	.section	.text._ZN5aiter24add_rmsnorm_quant_kernelIDF16_DB8_Li1024ELi8ELb1ELb1ELb1ELi1EEEvPT0_PT_PfS5_S5_S5_diiiiiiib,"axG",@progbits,_ZN5aiter24add_rmsnorm_quant_kernelIDF16_DB8_Li1024ELi8ELb1ELb1ELb1ELi1EEEvPT0_PT_PfS5_S5_S5_diiiiiiib,comdat
	.protected	_ZN5aiter24add_rmsnorm_quant_kernelIDF16_DB8_Li1024ELi8ELb1ELb1ELb1ELi1EEEvPT0_PT_PfS5_S5_S5_diiiiiiib ; -- Begin function _ZN5aiter24add_rmsnorm_quant_kernelIDF16_DB8_Li1024ELi8ELb1ELb1ELb1ELi1EEEvPT0_PT_PfS5_S5_S5_diiiiiiib
	.globl	_ZN5aiter24add_rmsnorm_quant_kernelIDF16_DB8_Li1024ELi8ELb1ELb1ELb1ELi1EEEvPT0_PT_PfS5_S5_S5_diiiiiiib
	.p2align	8
	.type	_ZN5aiter24add_rmsnorm_quant_kernelIDF16_DB8_Li1024ELi8ELb1ELb1ELb1ELi1EEEvPT0_PT_PfS5_S5_S5_diiiiiiib,@function
_ZN5aiter24add_rmsnorm_quant_kernelIDF16_DB8_Li1024ELi8ELb1ELb1ELb1ELi1EEEvPT0_PT_PfS5_S5_S5_diiiiiiib: ; @_ZN5aiter24add_rmsnorm_quant_kernelIDF16_DB8_Li1024ELi8ELb1ELb1ELb1ELi1EEEvPT0_PT_PfS5_S5_S5_diiiiiiib
; %bb.0:
	s_mov_b32 s2, s15
	s_load_b256 s[12:19], s[0:1], 0x38
	s_mov_b32 s3, 0
	s_waitcnt lgkmcnt(0)
	s_ashr_i32 s5, s12, 31
	s_mov_b32 s4, s12
	s_delay_alu instid0(SALU_CYCLE_1) | instskip(NEXT) | instid1(VALU_DEP_1)
	v_cmp_ge_i64_e64 s4, s[2:3], s[4:5]
	s_and_b32 vcc_lo, exec_lo, s4
	s_cbranch_vccnz .LBB29_44
; %bb.1:
	s_clause 0x1
	s_load_b256 s[4:11], s[0:1], 0x0
	s_load_b256 s[20:27], s[0:1], 0x20
	s_ashr_i32 s1, s14, 31
	s_waitcnt lgkmcnt(0)
	s_mul_hi_u32 s26, s14, s2
	s_mul_i32 s1, s1, s2
	s_mul_i32 s0, s14, s2
	s_add_i32 s1, s26, s1
	s_mul_hi_u32 s26, s15, s2
	s_lshl_b64 s[0:1], s[0:1], 1
	v_lshlrev_b32_e32 v20, 4, v0
	s_mul_i32 s14, s15, s2
	s_mov_b32 s31, -1
	s_delay_alu instid0(SALU_CYCLE_1)
	s_mov_b32 s39, s31
	s_add_u32 s28, s10, s0
	s_addc_u32 s0, s11, s1
	s_add_i32 s1, s13, 1
	s_ashr_i32 s10, s15, 31
	s_lshr_b32 s11, s1, 31
	s_mul_i32 s10, s10, s2
	s_add_i32 s1, s1, s11
	s_and_b32 s29, s0, 0xffff
	s_lshl_b32 s0, s1, 1
	s_add_i32 s15, s26, s10
	s_and_b32 s30, s0, -4
	s_lshl_b64 s[0:1], s[14:15], 1
	s_and_b32 s37, s23, 0xffff
	buffer_load_b128 v[9:12], v20, s[28:31], 0 offen glc slc
	s_add_u32 s28, s20, s0
	s_addc_u32 s0, s21, s1
	s_mov_b32 s36, s22
	s_and_b32 s29, s0, 0xffff
	s_mov_b32 s38, s30
	buffer_load_b128 v[13:16], v20, s[28:31], 0 offen glc slc
	s_ashr_i32 s0, s16, 31
	s_mul_hi_u32 s1, s16, s2
	s_mul_i32 s10, s0, s2
	s_mul_i32 s0, s16, s2
	s_add_i32 s1, s1, s10
	s_delay_alu instid0(SALU_CYCLE_1) | instskip(NEXT) | instid1(SALU_CYCLE_1)
	s_lshl_b64 s[0:1], s[0:1], 1
	s_add_u32 s28, s6, s0
	s_addc_u32 s0, s7, s1
	s_mov_b32 s1, 0x76543210
	s_and_b32 s29, s0, 0xffff
	s_waitcnt vmcnt(1)
	v_lshrrev_b32_e32 v5, 16, v9
	v_cvt_f32_f16_e32 v7, v9
	v_cvt_f32_f16_e32 v9, v10
	s_delay_alu instid0(VALU_DEP_3)
	v_cvt_f32_f16_e32 v5, v5
	s_waitcnt vmcnt(0)
	v_lshrrev_b32_e32 v6, 16, v13
	v_cvt_f32_f16_e32 v8, v13
	v_lshrrev_b32_e32 v13, 16, v14
	v_cvt_f32_f16_e32 v17, v15
	v_lshrrev_b32_e32 v15, 16, v15
	v_cvt_f32_f16_e32 v6, v6
	v_add_f32_e32 v8, v7, v8
	v_cvt_f32_f16_e32 v13, v13
	s_delay_alu instid0(VALU_DEP_4) | instskip(NEXT) | instid1(VALU_DEP_4)
	v_cvt_f32_f16_e32 v15, v15
	v_add_f32_e32 v6, v5, v6
	v_lshrrev_b32_e32 v5, 16, v10
	v_cvt_f32_f16_e32 v10, v14
	v_cvt_f32_f16_e32 v14, v11
	v_lshrrev_b32_e32 v11, 16, v11
	v_mul_f32_e32 v7, v6, v6
	buffer_load_b128 v[1:4], v20, s[36:39], 0 offen
	v_cvt_f32_f16_e32 v5, v5
	v_add_f32_e32 v9, v9, v10
	v_fmac_f32_e32 v7, v8, v8
	v_cvt_f16_f32_e32 v24, v6
	s_delay_alu instid0(VALU_DEP_4)
	v_add_f32_e32 v10, v5, v13
	v_cvt_f32_f16_e32 v13, v11
	v_add_f32_e32 v11, v14, v17
	v_lshrrev_b32_e32 v14, 16, v12
	v_cvt_f32_f16_e32 v17, v16
	v_lshrrev_b32_e32 v16, 16, v16
	v_cvt_f32_f16_e32 v5, v12
	v_add_f32_e32 v12, v13, v15
	v_cvt_f32_f16_e32 v14, v14
	s_delay_alu instid0(VALU_DEP_4)
	v_cvt_f32_f16_e32 v15, v16
	v_fmac_f32_e32 v7, v9, v9
	v_add_f32_e32 v13, v5, v17
	v_cvt_f16_f32_e32 v16, v8
	v_cvt_f16_f32_e32 v17, v11
	v_add_f32_e32 v14, v14, v15
	v_fmac_f32_e32 v7, v10, v10
	v_cvt_f16_f32_e32 v18, v13
	v_cvt_f16_f32_e32 v22, v12
	v_pack_b32_f16 v16, v16, v24
	v_cvt_f16_f32_e32 v19, v14
	v_fmac_f32_e32 v7, v11, v11
	v_cvt_f16_f32_e32 v23, v10
	s_delay_alu instid0(VALU_DEP_3) | instskip(NEXT) | instid1(VALU_DEP_3)
	v_pack_b32_f16 v19, v18, v19
	v_fmac_f32_e32 v7, v12, v12
	v_pack_b32_f16 v18, v17, v22
	s_delay_alu instid0(VALU_DEP_2) | instskip(NEXT) | instid1(VALU_DEP_1)
	v_fmac_f32_e32 v7, v13, v13
	v_fmac_f32_e32 v7, v14, v14
	s_delay_alu instid0(VALU_DEP_1) | instskip(NEXT) | instid1(VALU_DEP_1)
	v_mov_b32_dpp v5, v7 quad_perm:[1,0,3,2] row_mask:0xf bank_mask:0xf
	v_add_f32_e32 v7, v7, v5
	v_and_b32_e32 v5, 31, v0
	s_delay_alu instid0(VALU_DEP_2) | instskip(NEXT) | instid1(VALU_DEP_2)
	v_mov_b32_dpp v15, v7 quad_perm:[2,3,0,1] row_mask:0xf bank_mask:0xf
	v_cmp_eq_u32_e64 s0, 31, v5
	s_delay_alu instid0(VALU_DEP_2) | instskip(SKIP_1) | instid1(VALU_DEP_2)
	v_add_f32_e32 v7, v7, v15
	v_cvt_f16_f32_e32 v15, v9
	v_mov_b32_dpp v21, v7 row_xmask:7 row_mask:0xf bank_mask:0xf
	s_delay_alu instid0(VALU_DEP_2) | instskip(NEXT) | instid1(VALU_DEP_2)
	v_pack_b32_f16 v17, v15, v23
	v_add_f32_e32 v7, v7, v21
	buffer_store_b128 v[16:19], v20, s[28:31], 0 offen glc slc
	;;#ASMSTART
	s_nop 0
	;;#ASMEND
	v_mov_b32_dpp v15, v7 row_xmask:15 row_mask:0xf bank_mask:0xf
	s_and_saveexec_b32 s6, s0
	s_cbranch_execz .LBB29_3
; %bb.2:
	s_delay_alu instid0(VALU_DEP_1) | instskip(SKIP_1) | instid1(VALU_DEP_2)
	v_add_f32_e32 v7, v7, v15
	v_lshrrev_b32_e32 v15, 3, v0
	v_permlanex16_b32 v16, v7, s1, 0xfedcba98 op_sel:[1,1]
	s_delay_alu instid0(VALU_DEP_2) | instskip(NEXT) | instid1(VALU_DEP_2)
	v_and_b32_e32 v15, 0x7c, v15
	v_add_f32_e32 v7, v7, v16
	ds_store_b32 v15, v7 offset:128
.LBB29_3:
	s_or_b32 exec_lo, exec_lo, s6
	v_lshlrev_b32_e32 v7, 2, v5
	s_waitcnt vmcnt(0) lgkmcnt(0)
	s_waitcnt_vscnt null, 0x0
	s_barrier
	buffer_gl0_inv
	v_cvt_f32_i32_e32 v16, s13
	ds_load_b32 v5, v7 offset:128
	s_cmp_lg_u32 s18, 0
	s_waitcnt lgkmcnt(0)
	v_mov_b32_dpp v15, v5 quad_perm:[1,0,3,2] row_mask:0xf bank_mask:0xf
	s_delay_alu instid0(VALU_DEP_1) | instskip(NEXT) | instid1(VALU_DEP_1)
	v_add_f32_e32 v5, v5, v15
	v_mov_b32_dpp v15, v5 quad_perm:[2,3,0,1] row_mask:0xf bank_mask:0xf
	s_delay_alu instid0(VALU_DEP_1) | instskip(NEXT) | instid1(VALU_DEP_1)
	v_add_f32_e32 v5, v5, v15
	v_mov_b32_dpp v15, v5 row_xmask:7 row_mask:0xf bank_mask:0xf
	s_delay_alu instid0(VALU_DEP_1) | instskip(NEXT) | instid1(VALU_DEP_1)
	v_add_f32_e32 v5, v5, v15
	v_mov_b32_dpp v15, v5 row_xmask:15 row_mask:0xf bank_mask:0xf
	s_delay_alu instid0(VALU_DEP_1) | instskip(NEXT) | instid1(VALU_DEP_1)
	v_add_f32_e32 v5, v5, v15
	v_permlanex16_b32 v15, v5, s1, 0xfedcba98 op_sel:[1,1]
	s_delay_alu instid0(VALU_DEP_1) | instskip(NEXT) | instid1(VALU_DEP_1)
	v_add_f32_e32 v5, v5, v15
	v_div_scale_f32 v15, null, v16, v16, v5
	v_div_scale_f32 v19, vcc_lo, v5, v16, v5
	s_delay_alu instid0(VALU_DEP_2) | instskip(SKIP_2) | instid1(VALU_DEP_1)
	v_rcp_f32_e32 v17, v15
	s_waitcnt_depctr 0xfff
	v_fma_f32 v18, -v15, v17, 1.0
	v_fmac_f32_e32 v17, v18, v17
	s_delay_alu instid0(VALU_DEP_1) | instskip(NEXT) | instid1(VALU_DEP_1)
	v_mul_f32_e32 v18, v19, v17
	v_fma_f32 v20, -v15, v18, v19
	s_delay_alu instid0(VALU_DEP_1) | instskip(SKIP_2) | instid1(VALU_DEP_3)
	v_fmac_f32_e32 v18, v20, v17
	v_cvt_f32_f16_e32 v20, v4
	v_lshrrev_b32_e32 v4, 16, v4
	v_fma_f32 v15, -v15, v18, v19
	s_delay_alu instid0(VALU_DEP_1)
	v_div_fmas_f32 v15, v15, v17, v18
	v_cvt_f32_f16_e32 v18, v3
	v_lshrrev_b32_e32 v3, 16, v3
	v_cvt_f32_f16_e32 v17, v2
	v_lshrrev_b32_e32 v2, 16, v2
	v_div_fixup_f32 v5, v15, v16, v5
	s_delay_alu instid0(VALU_DEP_4) | instskip(NEXT) | instid1(VALU_DEP_3)
	v_cvt_f32_f16_e32 v3, v3
	v_cvt_f32_f16_e32 v2, v2
	s_delay_alu instid0(VALU_DEP_3) | instskip(NEXT) | instid1(VALU_DEP_1)
	v_cvt_f64_f32_e32 v[15:16], v5
	v_add_f64 v[15:16], v[15:16], s[24:25]
	s_delay_alu instid0(VALU_DEP_1) | instskip(SKIP_2) | instid1(VALU_DEP_1)
	v_cvt_f32_f64_e32 v5, v[15:16]
	v_cvt_f32_f16_e32 v16, v1
	v_lshrrev_b32_e32 v1, 16, v1
	v_cvt_f32_f16_e32 v1, v1
	s_delay_alu instid0(VALU_DEP_4) | instskip(SKIP_1) | instid1(VALU_DEP_2)
	v_mul_f32_e32 v15, 0x4b800000, v5
	v_cmp_gt_f32_e32 vcc_lo, 0x800000, v5
	v_cndmask_b32_e32 v5, v5, v15, vcc_lo
	s_delay_alu instid0(VALU_DEP_1) | instskip(SKIP_2) | instid1(VALU_DEP_1)
	v_rsq_f32_e32 v15, v5
	s_waitcnt_depctr 0xfff
	v_mul_f32_e32 v19, 0x45800000, v15
	v_cndmask_b32_e32 v15, v15, v19, vcc_lo
	v_mov_b32_e32 v21, 0x2edbe6ff
	v_lshlrev_b32_e32 v5, 3, v0
	v_cvt_f32_f16_e32 v19, v4
	s_delay_alu instid0(VALU_DEP_4) | instskip(SKIP_3) | instid1(VALU_DEP_4)
	v_mul_f32_e32 v6, v6, v15
	v_mul_f32_e32 v10, v10, v15
	v_mul_f32_e32 v23, v12, v15
	v_mul_f32_e32 v14, v14, v15
	v_mul_f32_e32 v12, v6, v1
	s_delay_alu instid0(VALU_DEP_4) | instskip(NEXT) | instid1(VALU_DEP_4)
	v_mul_f32_e32 v10, v10, v2
	v_mul_f32_e32 v6, v23, v3
	s_delay_alu instid0(VALU_DEP_3) | instskip(NEXT) | instid1(VALU_DEP_3)
	v_dual_mul_f32 v3, v14, v19 :: v_dual_and_b32 v2, 0x7fffffff, v12
	v_and_b32_e32 v14, 0x7fffffff, v10
	v_mul_f32_e32 v4, v8, v15
	v_mul_f32_e32 v8, v9, v15
	;; [unrolled: 1-line block ×4, first 2 shown]
	s_delay_alu instid0(VALU_DEP_4) | instskip(NEXT) | instid1(VALU_DEP_3)
	v_mul_f32_e32 v11, v4, v16
	v_dual_mul_f32 v9, v8, v17 :: v_dual_mul_f32 v8, v22, v18
	s_delay_alu instid0(VALU_DEP_3) | instskip(SKIP_1) | instid1(VALU_DEP_4)
	v_mul_f32_e32 v4, v13, v20
	v_and_b32_e32 v16, 0x7fffffff, v6
	v_and_b32_e32 v1, 0x7fffffff, v11
	;;#ASMSTART
	v_max3_f32 v1, v21, v1, v2

	;;#ASMEND
	v_and_b32_e32 v13, 0x7fffffff, v9
	;;#ASMSTART
	v_max3_f32 v1, v1, v13, v14

	;;#ASMEND
	v_and_b32_e32 v15, 0x7fffffff, v8
	v_and_b32_e32 v17, 0x7fffffff, v4
	;; [unrolled: 1-line block ×3, first 2 shown]
	;;#ASMSTART
	v_max3_f32 v1, v1, v15, v16

	;;#ASMEND
	;;#ASMSTART
	v_max3_f32 v13, v1, v17, v18

	;;#ASMEND
	s_cbranch_scc0 .LBB29_10
; %bb.4:
	s_ashr_i32 s11, s18, 31
	s_delay_alu instid0(SALU_CYCLE_1) | instskip(NEXT) | instid1(SALU_CYCLE_1)
	s_lshr_b32 s1, s11, 29
	s_add_i32 s1, s18, s1
	s_delay_alu instid0(SALU_CYCLE_1) | instskip(NEXT) | instid1(SALU_CYCLE_1)
	s_ashr_i32 s1, s1, 3
	s_cmp_lt_i32 s1, 8
	s_cbranch_scc1 .LBB29_11
; %bb.5:
	s_cmp_lt_i32 s1, 16
	s_cbranch_scc1 .LBB29_12
; %bb.6:
	;; [unrolled: 3-line block ×3, first 2 shown]
	v_mov_b32_e32 v1, v13
	s_cmp_eq_u32 s1, 32
	s_cbranch_scc0 .LBB29_9
; %bb.8:
	s_delay_alu instid0(VALU_DEP_1) | instskip(SKIP_1) | instid1(VALU_DEP_1)
	v_mov_b32_dpp v1, v13 quad_perm:[1,0,3,2] row_mask:0xf bank_mask:0xf
	s_mov_b32 s6, 0x76543210
	v_cmp_gt_f32_e32 vcc_lo, v13, v1
	v_cndmask_b32_e32 v1, v1, v13, vcc_lo
	s_delay_alu instid0(VALU_DEP_1) | instskip(NEXT) | instid1(VALU_DEP_1)
	v_mov_b32_dpp v2, v1 quad_perm:[2,3,0,1] row_mask:0xf bank_mask:0xf
	v_cmp_gt_f32_e32 vcc_lo, v1, v2
	v_cndmask_b32_e32 v1, v2, v1, vcc_lo
	s_delay_alu instid0(VALU_DEP_1) | instskip(NEXT) | instid1(VALU_DEP_1)
	v_mov_b32_dpp v2, v1 row_xmask:7 row_mask:0xf bank_mask:0xf
	v_cmp_gt_f32_e32 vcc_lo, v1, v2
	v_cndmask_b32_e32 v1, v2, v1, vcc_lo
	s_delay_alu instid0(VALU_DEP_1) | instskip(NEXT) | instid1(VALU_DEP_1)
	v_mov_b32_dpp v2, v1 row_xmask:15 row_mask:0xf bank_mask:0xf
	v_cmp_gt_f32_e32 vcc_lo, v1, v2
	v_cndmask_b32_e32 v1, v2, v1, vcc_lo
	s_delay_alu instid0(VALU_DEP_1) | instskip(NEXT) | instid1(VALU_DEP_1)
	v_permlanex16_b32 v2, v1, s6, 0xfedcba98 op_sel:[1,1]
	v_cmp_gt_f32_e32 vcc_lo, v1, v2
	v_cndmask_b32_e32 v1, v2, v1, vcc_lo
.LBB29_9:
	s_mov_b32 s6, 0
	s_branch .LBB29_14
.LBB29_10:
	s_mov_b32 s1, 0
                                        ; implicit-def: $vgpr14
                                        ; implicit-def: $vgpr1_vgpr2
	s_and_b32 vcc_lo, exec_lo, s31
	s_cbranch_vccnz .LBB29_38
	s_branch .LBB29_41
.LBB29_11:
                                        ; implicit-def: $vgpr1
	s_branch .LBB29_21
.LBB29_12:
                                        ; implicit-def: $vgpr1
	s_branch .LBB29_18
.LBB29_13:
	s_mov_b32 s6, -1
                                        ; implicit-def: $vgpr1
.LBB29_14:
	s_delay_alu instid0(SALU_CYCLE_1)
	s_and_not1_b32 vcc_lo, exec_lo, s6
	s_cbranch_vccnz .LBB29_17
; %bb.15:
	v_mov_b32_e32 v1, v13
	s_cmp_eq_u32 s1, 16
	s_cbranch_scc0 .LBB29_17
; %bb.16:
	s_delay_alu instid0(VALU_DEP_1) | instskip(NEXT) | instid1(VALU_DEP_1)
	v_mov_b32_dpp v1, v13 quad_perm:[1,0,3,2] row_mask:0xf bank_mask:0xf
	v_cmp_gt_f32_e32 vcc_lo, v13, v1
	v_cndmask_b32_e32 v1, v1, v13, vcc_lo
	s_delay_alu instid0(VALU_DEP_1) | instskip(NEXT) | instid1(VALU_DEP_1)
	v_mov_b32_dpp v2, v1 quad_perm:[2,3,0,1] row_mask:0xf bank_mask:0xf
	v_cmp_gt_f32_e32 vcc_lo, v1, v2
	v_cndmask_b32_e32 v1, v2, v1, vcc_lo
	s_delay_alu instid0(VALU_DEP_1) | instskip(NEXT) | instid1(VALU_DEP_1)
	v_mov_b32_dpp v2, v1 row_half_mirror row_mask:0xf bank_mask:0xf
	v_cmp_gt_f32_e32 vcc_lo, v1, v2
	v_cndmask_b32_e32 v1, v2, v1, vcc_lo
	s_delay_alu instid0(VALU_DEP_1) | instskip(NEXT) | instid1(VALU_DEP_1)
	v_mov_b32_dpp v2, v1 row_mirror row_mask:0xf bank_mask:0xf
	v_cmp_gt_f32_e32 vcc_lo, v1, v2
	v_cndmask_b32_e32 v1, v2, v1, vcc_lo
.LBB29_17:
	s_cbranch_execnz .LBB29_20
.LBB29_18:
	v_mov_b32_e32 v1, v13
	s_cmp_eq_u32 s1, 8
	s_cbranch_scc0 .LBB29_20
; %bb.19:
	s_delay_alu instid0(VALU_DEP_1) | instskip(NEXT) | instid1(VALU_DEP_1)
	v_mov_b32_dpp v1, v13 quad_perm:[1,0,3,2] row_mask:0xf bank_mask:0xf
	v_cmp_gt_f32_e32 vcc_lo, v13, v1
	v_cndmask_b32_e32 v1, v1, v13, vcc_lo
	s_delay_alu instid0(VALU_DEP_1) | instskip(NEXT) | instid1(VALU_DEP_1)
	v_mov_b32_dpp v2, v1 quad_perm:[2,3,0,1] row_mask:0xf bank_mask:0xf
	v_cmp_gt_f32_e32 vcc_lo, v1, v2
	v_cndmask_b32_e32 v1, v2, v1, vcc_lo
	s_delay_alu instid0(VALU_DEP_1) | instskip(NEXT) | instid1(VALU_DEP_1)
	v_mov_b32_dpp v2, v1 row_half_mirror row_mask:0xf bank_mask:0xf
	v_cmp_gt_f32_e32 vcc_lo, v1, v2
	v_cndmask_b32_e32 v1, v2, v1, vcc_lo
.LBB29_20:
	s_cbranch_execnz .LBB29_28
.LBB29_21:
	s_cmp_lt_i32 s1, 4
	s_cbranch_scc1 .LBB29_24
; %bb.22:
	v_mov_b32_e32 v1, v13
	s_cmp_eq_u32 s1, 4
	s_cbranch_scc0 .LBB29_25
; %bb.23:
	s_delay_alu instid0(VALU_DEP_1) | instskip(NEXT) | instid1(VALU_DEP_1)
	v_mov_b32_dpp v1, v13 quad_perm:[1,0,3,2] row_mask:0xf bank_mask:0xf
	v_cmp_gt_f32_e32 vcc_lo, v13, v1
	v_cndmask_b32_e32 v1, v1, v13, vcc_lo
	s_delay_alu instid0(VALU_DEP_1) | instskip(NEXT) | instid1(VALU_DEP_1)
	v_mov_b32_dpp v2, v1 quad_perm:[2,3,0,1] row_mask:0xf bank_mask:0xf
	v_cmp_gt_f32_e32 vcc_lo, v1, v2
	v_cndmask_b32_e32 v1, v2, v1, vcc_lo
	s_cbranch_execz .LBB29_26
	s_branch .LBB29_28
.LBB29_24:
                                        ; implicit-def: $vgpr1
	s_branch .LBB29_26
.LBB29_25:
	s_cbranch_execnz .LBB29_28
.LBB29_26:
	v_mov_b32_e32 v1, v13
	s_cmp_lg_u32 s1, 2
	s_cbranch_scc1 .LBB29_28
; %bb.27:
	s_delay_alu instid0(VALU_DEP_1) | instskip(NEXT) | instid1(VALU_DEP_1)
	v_mov_b32_dpp v1, v13 quad_perm:[1,0,3,2] row_mask:0xf bank_mask:0xf
	v_cmp_gt_f32_e32 vcc_lo, v13, v1
	v_cndmask_b32_e32 v1, v1, v13, vcc_lo
.LBB29_28:
	v_cvt_f32_u32_e32 v2, s1
	s_sub_i32 s6, 0, s1
	s_mov_b32 s31, 0
	s_delay_alu instid0(VALU_DEP_1) | instskip(SKIP_2) | instid1(VALU_DEP_1)
	v_rcp_iflag_f32_e32 v2, v2
	s_waitcnt_depctr 0xfff
	v_mul_f32_e32 v2, 0x4f7ffffe, v2
	v_cvt_u32_f32_e32 v2, v2
	s_delay_alu instid0(VALU_DEP_1) | instskip(NEXT) | instid1(VALU_DEP_1)
	v_mul_lo_u32 v14, s6, v2
	v_mul_hi_u32 v14, v2, v14
	s_delay_alu instid0(VALU_DEP_1) | instskip(NEXT) | instid1(VALU_DEP_1)
	v_add_nc_u32_e32 v2, v2, v14
	v_mul_hi_u32 v2, v0, v2
	s_delay_alu instid0(VALU_DEP_1) | instskip(NEXT) | instid1(VALU_DEP_1)
	v_mul_lo_u32 v14, v2, s1
	v_sub_nc_u32_e32 v14, v0, v14
	s_delay_alu instid0(VALU_DEP_1) | instskip(SKIP_1) | instid1(VALU_DEP_2)
	v_subrev_nc_u32_e32 v16, s1, v14
	v_cmp_le_u32_e32 vcc_lo, s1, v14
	v_dual_cndmask_b32 v14, v14, v16 :: v_dual_add_nc_u32 v15, 1, v2
	s_delay_alu instid0(VALU_DEP_1) | instskip(NEXT) | instid1(VALU_DEP_2)
	v_cndmask_b32_e32 v2, v2, v15, vcc_lo
	v_cmp_le_u32_e32 vcc_lo, s1, v14
	s_delay_alu instid0(VALU_DEP_2) | instskip(NEXT) | instid1(VALU_DEP_1)
	v_dual_mul_f32 v14, 0x3b124925, v1 :: v_dual_add_nc_u32 v15, 1, v2
	v_cndmask_b32_e32 v15, v2, v15, vcc_lo
	v_cmp_gt_u32_e32 vcc_lo, s13, v5
	s_delay_alu instid0(VALU_DEP_2) | instskip(NEXT) | instid1(VALU_DEP_1)
	v_mul_lo_u32 v2, v15, s1
	v_sub_nc_u32_e32 v2, v0, v2
	s_delay_alu instid0(VALU_DEP_1) | instskip(NEXT) | instid1(VALU_DEP_1)
	v_cmp_eq_u32_e64 s1, 0, v2
                                        ; implicit-def: $vgpr1_vgpr2
	s_and_b32 s6, s1, vcc_lo
	s_mov_b32 s1, 0
	s_and_saveexec_b32 s7, s6
	s_delay_alu instid0(SALU_CYCLE_1)
	s_xor_b32 s16, exec_lo, s7
	s_cbranch_execz .LBB29_37
; %bb.29:
	s_bitcmp0_b32 s19, 0
	s_mov_b32 s10, 0
	s_cbranch_scc0 .LBB29_34
; %bb.30:
	s_ashr_i32 s1, s13, 31
	s_mul_hi_u32 s7, s13, s2
	s_mul_i32 s1, s1, s2
	s_mul_i32 s6, s13, s2
	s_add_i32 s7, s7, s1
	s_mov_b32 s19, s11
	s_delay_alu instid0(SALU_CYCLE_1) | instskip(NEXT) | instid1(SALU_CYCLE_1)
	s_or_b64 s[14:15], s[6:7], s[18:19]
	s_mov_b32 s11, s15
	s_delay_alu instid0(SALU_CYCLE_1)
	s_cmp_lg_u64 s[10:11], 0
	s_cbranch_scc0 .LBB29_45
; %bb.31:
	s_add_u32 s14, s18, s19
	s_mov_b32 s10, s19
	s_mov_b32 s11, s19
	s_addc_u32 s15, s19, s19
	s_delay_alu instid0(SALU_CYCLE_1) | instskip(NEXT) | instid1(SALU_CYCLE_1)
	s_xor_b64 s[14:15], s[14:15], s[10:11]
	v_cvt_f32_u32_e32 v1, s14
	v_cvt_f32_u32_e32 v2, s15
	s_sub_u32 s20, 0, s14
	s_subb_u32 s21, 0, s15
	s_delay_alu instid0(VALU_DEP_1) | instskip(NEXT) | instid1(VALU_DEP_1)
	v_fmamk_f32 v1, v2, 0x4f800000, v1
	v_rcp_f32_e32 v1, v1
	s_waitcnt_depctr 0xfff
	v_mul_f32_e32 v1, 0x5f7ffffc, v1
	s_delay_alu instid0(VALU_DEP_1) | instskip(NEXT) | instid1(VALU_DEP_1)
	v_mul_f32_e32 v2, 0x2f800000, v1
	v_trunc_f32_e32 v2, v2
	s_delay_alu instid0(VALU_DEP_1) | instskip(SKIP_1) | instid1(VALU_DEP_2)
	v_fmamk_f32 v1, v2, 0xcf800000, v1
	v_cvt_u32_f32_e32 v2, v2
	v_cvt_u32_f32_e32 v1, v1
	s_delay_alu instid0(VALU_DEP_2) | instskip(NEXT) | instid1(VALU_DEP_2)
	v_readfirstlane_b32 s1, v2
	v_readfirstlane_b32 s19, v1
	s_delay_alu instid0(VALU_DEP_2) | instskip(NEXT) | instid1(VALU_DEP_1)
	s_mul_i32 s22, s20, s1
	s_mul_hi_u32 s24, s20, s19
	s_mul_i32 s23, s21, s19
	s_add_i32 s22, s24, s22
	s_mul_i32 s25, s20, s19
	s_add_i32 s22, s22, s23
	s_mul_hi_u32 s24, s19, s25
	s_mul_hi_u32 s26, s1, s25
	s_mul_i32 s23, s1, s25
	s_mul_hi_u32 s25, s19, s22
	s_mul_i32 s19, s19, s22
	s_mul_hi_u32 s27, s1, s22
	s_add_u32 s19, s24, s19
	s_addc_u32 s24, 0, s25
	s_add_u32 s19, s19, s23
	s_mul_i32 s22, s1, s22
	s_addc_u32 s19, s24, s26
	s_addc_u32 s23, s27, 0
	s_add_u32 s19, s19, s22
	s_addc_u32 s22, 0, s23
	v_add_co_u32 v1, s19, v1, s19
	s_delay_alu instid0(VALU_DEP_1) | instskip(SKIP_1) | instid1(VALU_DEP_1)
	s_cmp_lg_u32 s19, 0
	s_addc_u32 s1, s1, s22
	v_readfirstlane_b32 s19, v1
	s_mul_i32 s22, s20, s1
	s_delay_alu instid0(VALU_DEP_1)
	s_mul_hi_u32 s23, s20, s19
	s_mul_i32 s21, s21, s19
	s_add_i32 s22, s23, s22
	s_mul_i32 s20, s20, s19
	s_add_i32 s22, s22, s21
	s_mul_hi_u32 s23, s1, s20
	s_mul_i32 s24, s1, s20
	s_mul_hi_u32 s20, s19, s20
	s_mul_hi_u32 s25, s19, s22
	s_mul_i32 s19, s19, s22
	s_mul_hi_u32 s21, s1, s22
	s_add_u32 s19, s20, s19
	s_addc_u32 s20, 0, s25
	s_add_u32 s19, s19, s24
	s_mul_i32 s22, s1, s22
	s_addc_u32 s19, s20, s23
	s_addc_u32 s20, s21, 0
	s_add_u32 s19, s19, s22
	s_addc_u32 s20, 0, s20
	v_add_co_u32 v1, s19, v1, s19
	s_delay_alu instid0(VALU_DEP_1) | instskip(SKIP_2) | instid1(SALU_CYCLE_1)
	s_cmp_lg_u32 s19, 0
	s_addc_u32 s1, s1, s20
	s_ashr_i32 s20, s7, 31
	s_add_u32 s22, s6, s20
	s_addc_u32 s23, s7, s20
	v_readfirstlane_b32 s7, v1
	s_mov_b32 s21, s20
	s_delay_alu instid0(SALU_CYCLE_1) | instskip(NEXT) | instid1(SALU_CYCLE_1)
	s_xor_b64 s[22:23], s[22:23], s[20:21]
	s_mul_i32 s24, s22, s1
	s_delay_alu instid0(VALU_DEP_1)
	s_mul_hi_u32 s25, s22, s7
	s_mul_hi_u32 s19, s22, s1
	;; [unrolled: 1-line block ×3, first 2 shown]
	s_mul_i32 s7, s23, s7
	s_add_u32 s24, s25, s24
	s_addc_u32 s19, 0, s19
	s_mul_hi_u32 s26, s23, s1
	s_add_u32 s7, s24, s7
	s_mul_i32 s1, s23, s1
	s_addc_u32 s7, s19, s27
	s_addc_u32 s19, s26, 0
	s_add_u32 s7, s7, s1
	s_addc_u32 s19, 0, s19
	s_mul_i32 s26, s14, s7
	s_mul_hi_u32 s1, s14, s7
	s_mul_i32 s25, s14, s19
	v_sub_co_u32 v1, s22, s22, s26
	s_mul_i32 s24, s15, s7
	s_add_i32 s1, s1, s25
	s_delay_alu instid0(SALU_CYCLE_1) | instskip(NEXT) | instid1(VALU_DEP_1)
	s_add_i32 s1, s1, s24
	v_sub_co_u32 v2, s25, v1, s14
	s_sub_i32 s24, s23, s1
	s_cmp_lg_u32 s22, 0
	s_subb_u32 s24, s24, s15
	s_cmp_lg_u32 s25, 0
	v_cmp_le_u32_e32 vcc_lo, s14, v2
	s_subb_u32 s24, s24, 0
	s_delay_alu instid0(SALU_CYCLE_1)
	s_cmp_ge_u32 s24, s15
	v_cndmask_b32_e64 v2, 0, -1, vcc_lo
	s_cselect_b32 s25, -1, 0
	s_cmp_eq_u32 s24, s15
	s_cselect_b32 vcc_lo, -1, 0
	s_add_u32 s24, s7, 1
	v_cndmask_b32_e32 v2, s25, v2, vcc_lo
	s_addc_u32 s25, s19, 0
	s_add_u32 s26, s7, 2
	s_addc_u32 s27, s19, 0
	s_cmp_lg_u32 s22, 0
	v_cmp_le_u32_e32 vcc_lo, s14, v1
	s_subb_u32 s1, s23, s1
	v_mov_b32_e32 v16, s26
	s_cmp_ge_u32 s1, s15
	v_cndmask_b32_e64 v1, 0, -1, vcc_lo
	s_cselect_b32 s14, -1, 0
	s_cmp_eq_u32 s1, s15
	v_cmp_ne_u32_e32 vcc_lo, 0, v2
	v_mov_b32_e32 v2, s27
	s_cselect_b32 s1, -1, 0
	s_xor_b64 s[10:11], s[20:21], s[10:11]
	v_cndmask_b32_e64 v1, s14, v1, s1
	v_cndmask_b32_e32 v16, s24, v16, vcc_lo
	v_cndmask_b32_e32 v2, s25, v2, vcc_lo
	s_delay_alu instid0(VALU_DEP_3) | instskip(NEXT) | instid1(VALU_DEP_2)
	v_cmp_ne_u32_e32 vcc_lo, 0, v1
	v_cndmask_b32_e32 v1, s19, v2, vcc_lo
	s_delay_alu instid0(VALU_DEP_4) | instskip(NEXT) | instid1(VALU_DEP_2)
	v_cndmask_b32_e32 v2, s7, v16, vcc_lo
	v_xor_b32_e32 v16, s11, v1
	s_delay_alu instid0(VALU_DEP_2) | instskip(NEXT) | instid1(VALU_DEP_1)
	v_xor_b32_e32 v2, s10, v2
	v_sub_co_u32 v1, vcc_lo, v2, s10
	s_delay_alu instid0(VALU_DEP_3)
	v_subrev_co_ci_u32_e32 v2, vcc_lo, s11, v16, vcc_lo
	s_cbranch_execnz .LBB29_33
.LBB29_32:
	v_cvt_f32_u32_e32 v1, s18
	s_sub_i32 s7, 0, s18
	s_delay_alu instid0(VALU_DEP_1) | instskip(SKIP_2) | instid1(VALU_DEP_1)
	v_rcp_iflag_f32_e32 v1, v1
	s_waitcnt_depctr 0xfff
	v_mul_f32_e32 v1, 0x4f7ffffe, v1
	v_cvt_u32_f32_e32 v1, v1
	s_delay_alu instid0(VALU_DEP_1) | instskip(NEXT) | instid1(VALU_DEP_1)
	v_readfirstlane_b32 s1, v1
	s_mul_i32 s7, s7, s1
	s_delay_alu instid0(SALU_CYCLE_1) | instskip(NEXT) | instid1(SALU_CYCLE_1)
	s_mul_hi_u32 s7, s1, s7
	s_add_i32 s1, s1, s7
	s_delay_alu instid0(SALU_CYCLE_1) | instskip(NEXT) | instid1(SALU_CYCLE_1)
	s_mul_hi_u32 s1, s6, s1
	s_mul_i32 s7, s1, s18
	s_delay_alu instid0(SALU_CYCLE_1)
	s_sub_i32 s6, s6, s7
	s_add_i32 s7, s1, 1
	s_sub_i32 s10, s6, s18
	s_cmp_ge_u32 s6, s18
	s_cselect_b32 s1, s7, s1
	s_cselect_b32 s6, s10, s6
	s_add_i32 s10, s1, 1
	s_cmp_ge_u32 s6, s18
	s_mov_b32 s7, 0
	s_cselect_b32 s6, s10, s1
	s_delay_alu instid0(SALU_CYCLE_1)
	v_dual_mov_b32 v1, s6 :: v_dual_mov_b32 v2, s7
.LBB29_33:
	s_delay_alu instid0(VALU_DEP_1) | instskip(NEXT) | instid1(VALU_DEP_2)
	v_add_co_u32 v1, vcc_lo, v1, v15
	v_add_co_ci_u32_e32 v2, vcc_lo, 0, v2, vcc_lo
	s_branch .LBB29_36
.LBB29_34:
                                        ; implicit-def: $vgpr1_vgpr2
	s_cbranch_execz .LBB29_36
; %bb.35:
	v_mul_lo_u32 v1, v15, s12
	s_delay_alu instid0(VALU_DEP_1) | instskip(SKIP_1) | instid1(VALU_DEP_2)
	v_ashrrev_i32_e32 v2, 31, v1
	v_add_co_u32 v1, vcc_lo, v1, s2
	v_add_co_ci_u32_e32 v2, vcc_lo, 0, v2, vcc_lo
.LBB29_36:
	s_mov_b32 s1, exec_lo
.LBB29_37:
	s_or_b32 exec_lo, exec_lo, s16
	s_delay_alu instid0(SALU_CYCLE_1)
	s_and_b32 vcc_lo, exec_lo, s31
	s_cbranch_vccz .LBB29_41
.LBB29_38:
	v_mov_b32_dpp v1, v13 quad_perm:[1,0,3,2] row_mask:0xf bank_mask:0xf
	s_mov_b32 s1, 0x76543210
	s_delay_alu instid0(VALU_DEP_1) | instskip(SKIP_1) | instid1(VALU_DEP_1)
	v_cmp_gt_f32_e32 vcc_lo, v13, v1
	v_cndmask_b32_e32 v1, v1, v13, vcc_lo
	v_mov_b32_dpp v2, v1 quad_perm:[2,3,0,1] row_mask:0xf bank_mask:0xf
	s_delay_alu instid0(VALU_DEP_1) | instskip(SKIP_1) | instid1(VALU_DEP_1)
	v_cmp_gt_f32_e32 vcc_lo, v1, v2
	v_cndmask_b32_e32 v1, v2, v1, vcc_lo
	v_mov_b32_dpp v2, v1 row_xmask:7 row_mask:0xf bank_mask:0xf
	s_delay_alu instid0(VALU_DEP_1) | instskip(SKIP_1) | instid1(VALU_DEP_1)
	v_cmp_gt_f32_e32 vcc_lo, v1, v2
	v_cndmask_b32_e32 v1, v2, v1, vcc_lo
	v_mov_b32_dpp v2, v1 row_xmask:15 row_mask:0xf bank_mask:0xf
	s_delay_alu instid0(VALU_DEP_1)
	v_cmp_gt_f32_e32 vcc_lo, v1, v2
	s_and_saveexec_b32 s6, s0
	s_cbranch_execz .LBB29_40
; %bb.39:
	v_cndmask_b32_e32 v1, v2, v1, vcc_lo
	v_lshrrev_b32_e32 v2, 3, v0
	s_delay_alu instid0(VALU_DEP_1) | instskip(NEXT) | instid1(VALU_DEP_3)
	v_and_b32_e32 v2, 0x7c, v2
	v_permlanex16_b32 v13, v1, s1, 0xfedcba98 op_sel:[1,1]
	s_delay_alu instid0(VALU_DEP_1)
	v_cmp_gt_f32_e32 vcc_lo, v1, v13
	v_cndmask_b32_e32 v1, v13, v1, vcc_lo
	ds_store_b32 v2, v1
.LBB29_40:
	s_or_b32 exec_lo, exec_lo, s6
	s_waitcnt lgkmcnt(0)
	s_barrier
	buffer_gl0_inv
	ds_load_b32 v1, v7
	s_waitcnt lgkmcnt(0)
	v_mov_b32_dpp v2, v1 quad_perm:[1,0,3,2] row_mask:0xf bank_mask:0xf
	s_delay_alu instid0(VALU_DEP_1) | instskip(SKIP_1) | instid1(VALU_DEP_1)
	v_cmp_gt_f32_e32 vcc_lo, v1, v2
	v_cndmask_b32_e32 v1, v2, v1, vcc_lo
	v_mov_b32_dpp v2, v1 quad_perm:[2,3,0,1] row_mask:0xf bank_mask:0xf
	s_delay_alu instid0(VALU_DEP_1) | instskip(SKIP_1) | instid1(VALU_DEP_1)
	v_cmp_gt_f32_e32 vcc_lo, v1, v2
	v_cndmask_b32_e32 v1, v2, v1, vcc_lo
	v_mov_b32_dpp v2, v1 row_xmask:7 row_mask:0xf bank_mask:0xf
	s_delay_alu instid0(VALU_DEP_1) | instskip(SKIP_1) | instid1(VALU_DEP_1)
	v_cmp_gt_f32_e32 vcc_lo, v1, v2
	v_cndmask_b32_e32 v1, v2, v1, vcc_lo
	v_mov_b32_dpp v2, v1 row_xmask:15 row_mask:0xf bank_mask:0xf
	s_delay_alu instid0(VALU_DEP_1) | instskip(SKIP_1) | instid1(VALU_DEP_1)
	v_cmp_gt_f32_e32 vcc_lo, v1, v2
	v_cndmask_b32_e32 v1, v2, v1, vcc_lo
	v_permlanex16_b32 v2, v1, s1, 0xfedcba98 op_sel:[1,1]
	v_cmp_eq_u32_e64 s1, 0, v0
	s_delay_alu instid0(VALU_DEP_2) | instskip(SKIP_1) | instid1(VALU_DEP_1)
	v_cmp_gt_f32_e32 vcc_lo, v1, v2
	v_cndmask_b32_e32 v1, v2, v1, vcc_lo
	v_dual_mul_f32 v14, 0x3b124925, v1 :: v_dual_mov_b32 v1, s2
	v_mov_b32_e32 v2, s3
.LBB29_41:
	s_and_saveexec_b32 s0, s1
	s_cbranch_execz .LBB29_43
; %bb.42:
	s_delay_alu instid0(VALU_DEP_1) | instskip(NEXT) | instid1(VALU_DEP_1)
	v_lshlrev_b64 v[0:1], 2, v[1:2]
	v_add_co_u32 v0, vcc_lo, s8, v0
	s_delay_alu instid0(VALU_DEP_2)
	v_add_co_ci_u32_e32 v1, vcc_lo, s9, v1, vcc_lo
	global_store_b32 v[0:1], v14, off
.LBB29_43:
	s_or_b32 exec_lo, exec_lo, s0
	;;#ASMSTART
	v_rcp_f32 v0, v14
	;;#ASMEND
	v_mul_f32_e32 v1, v11, v0
	v_dual_mul_f32 v2, v12, v0 :: v_dual_mov_b32 v7, 0xc3e00000
	v_dual_mov_b32 v11, 0x43e00000 :: v_dual_mul_f32 v10, v10, v0
	v_mul_f32_e32 v9, v9, v0
	;;#ASMSTART
	v_med3_f32 v1, v1, v7, v11
v_med3_f32 v2, v2, v7, v11
v_cvt_pk_fp8_f32 v12, v1, v2
	;;#ASMEND
	;;#ASMSTART
	v_med3_f32 v9, v9, v7, v11
v_med3_f32 v10, v10, v7, v11
v_cvt_pk_fp8_f32 v1, v9, v10
	;;#ASMEND
	v_perm_b32 v2, v1, v12, 0x5040100
	v_dual_mul_f32 v8, v8, v0 :: v_dual_and_b32 v1, 0xffffff00, v1
	v_mul_f32_e32 v6, v6, v0
	s_add_i32 s0, s13, 3
	s_delay_alu instid0(VALU_DEP_3)
	v_lshrrev_b32_e32 v9, 16, v2
	s_ashr_i32 s7, s0, 31
	s_ashr_i32 s1, s17, 31
	s_lshr_b32 s7, s7, 30
	s_mul_hi_u32 s3, s17, s2
	v_and_b32_e32 v9, 0xff, v9
	s_add_i32 s0, s0, s7
	s_mul_i32 s1, s1, s2
	s_mul_i32 s6, s17, s2
	s_and_b32 s2, s0, -4
	v_or_b32_e32 v1, v9, v1
	v_mul_f32_e32 v4, v4, v0
	v_mul_f32_e32 v0, v3, v0
	;;#ASMSTART
	v_med3_f32 v8, v8, v7, v11
v_med3_f32 v6, v6, v7, v11
v_cvt_pk_fp8_f32 v3, v8, v6
	;;#ASMEND
	s_add_i32 s3, s3, s1
	v_lshlrev_b32_e32 v1, 16, v1
	;;#ASMSTART
	v_med3_f32 v4, v4, v7, v11
v_med3_f32 v0, v0, v7, v11
v_cvt_pk_fp8_f32 v6, v4, v0
	;;#ASMEND
	v_lshlrev_b32_e32 v4, 16, v6
	s_add_u32 s0, s4, s6
	s_addc_u32 s1, s5, s3
	v_and_or_b32 v0, 0xffff, v2, v1
	s_and_b32 s1, s1, 0xffff
	v_and_or_b32 v1, 0xffff, v3, v4
	s_mov_b32 s3, -1
	buffer_store_b64 v[0:1], v5, s[0:3], 0 offen
	;;#ASMSTART
	s_nop 0
	;;#ASMEND
.LBB29_44:
	s_nop 0
	s_sendmsg sendmsg(MSG_DEALLOC_VGPRS)
	s_endpgm
.LBB29_45:
                                        ; implicit-def: $vgpr1_vgpr2
	s_branch .LBB29_32
	.section	.rodata,"a",@progbits
	.p2align	6, 0x0
	.amdhsa_kernel _ZN5aiter24add_rmsnorm_quant_kernelIDF16_DB8_Li1024ELi8ELb1ELb1ELb1ELi1EEEvPT0_PT_PfS5_S5_S5_diiiiiiib
		.amdhsa_group_segment_fixed_size 256
		.amdhsa_private_segment_fixed_size 0
		.amdhsa_kernarg_size 88
		.amdhsa_user_sgpr_count 15
		.amdhsa_user_sgpr_dispatch_ptr 0
		.amdhsa_user_sgpr_queue_ptr 0
		.amdhsa_user_sgpr_kernarg_segment_ptr 1
		.amdhsa_user_sgpr_dispatch_id 0
		.amdhsa_user_sgpr_private_segment_size 0
		.amdhsa_wavefront_size32 1
		.amdhsa_uses_dynamic_stack 0
		.amdhsa_enable_private_segment 0
		.amdhsa_system_sgpr_workgroup_id_x 1
		.amdhsa_system_sgpr_workgroup_id_y 0
		.amdhsa_system_sgpr_workgroup_id_z 0
		.amdhsa_system_sgpr_workgroup_info 0
		.amdhsa_system_vgpr_workitem_id 0
		.amdhsa_next_free_vgpr 25
		.amdhsa_next_free_sgpr 40
		.amdhsa_reserve_vcc 1
		.amdhsa_float_round_mode_32 0
		.amdhsa_float_round_mode_16_64 0
		.amdhsa_float_denorm_mode_32 3
		.amdhsa_float_denorm_mode_16_64 3
		.amdhsa_dx10_clamp 1
		.amdhsa_ieee_mode 1
		.amdhsa_fp16_overflow 0
		.amdhsa_workgroup_processor_mode 1
		.amdhsa_memory_ordered 1
		.amdhsa_forward_progress 0
		.amdhsa_shared_vgpr_count 0
		.amdhsa_exception_fp_ieee_invalid_op 0
		.amdhsa_exception_fp_denorm_src 0
		.amdhsa_exception_fp_ieee_div_zero 0
		.amdhsa_exception_fp_ieee_overflow 0
		.amdhsa_exception_fp_ieee_underflow 0
		.amdhsa_exception_fp_ieee_inexact 0
		.amdhsa_exception_int_div_zero 0
	.end_amdhsa_kernel
	.section	.text._ZN5aiter24add_rmsnorm_quant_kernelIDF16_DB8_Li1024ELi8ELb1ELb1ELb1ELi1EEEvPT0_PT_PfS5_S5_S5_diiiiiiib,"axG",@progbits,_ZN5aiter24add_rmsnorm_quant_kernelIDF16_DB8_Li1024ELi8ELb1ELb1ELb1ELi1EEEvPT0_PT_PfS5_S5_S5_diiiiiiib,comdat
.Lfunc_end29:
	.size	_ZN5aiter24add_rmsnorm_quant_kernelIDF16_DB8_Li1024ELi8ELb1ELb1ELb1ELi1EEEvPT0_PT_PfS5_S5_S5_diiiiiiib, .Lfunc_end29-_ZN5aiter24add_rmsnorm_quant_kernelIDF16_DB8_Li1024ELi8ELb1ELb1ELb1ELi1EEEvPT0_PT_PfS5_S5_S5_diiiiiiib
                                        ; -- End function
	.section	.AMDGPU.csdata,"",@progbits
; Kernel info:
; codeLenInByte = 3724
; NumSgprs: 42
; NumVgprs: 25
; ScratchSize: 0
; MemoryBound: 0
; FloatMode: 240
; IeeeMode: 1
; LDSByteSize: 256 bytes/workgroup (compile time only)
; SGPRBlocks: 5
; VGPRBlocks: 3
; NumSGPRsForWavesPerEU: 42
; NumVGPRsForWavesPerEU: 25
; Occupancy: 16
; WaveLimiterHint : 0
; COMPUTE_PGM_RSRC2:SCRATCH_EN: 0
; COMPUTE_PGM_RSRC2:USER_SGPR: 15
; COMPUTE_PGM_RSRC2:TRAP_HANDLER: 0
; COMPUTE_PGM_RSRC2:TGID_X_EN: 1
; COMPUTE_PGM_RSRC2:TGID_Y_EN: 0
; COMPUTE_PGM_RSRC2:TGID_Z_EN: 0
; COMPUTE_PGM_RSRC2:TIDIG_COMP_CNT: 0
	.section	.text._ZN5aiter24add_rmsnorm_quant_kernelItDB8_Li1024ELi8ELb1ELb1ELb1ELi1EEEvPT0_PT_PfS5_S5_S5_diiiiiiib,"axG",@progbits,_ZN5aiter24add_rmsnorm_quant_kernelItDB8_Li1024ELi8ELb1ELb1ELb1ELi1EEEvPT0_PT_PfS5_S5_S5_diiiiiiib,comdat
	.protected	_ZN5aiter24add_rmsnorm_quant_kernelItDB8_Li1024ELi8ELb1ELb1ELb1ELi1EEEvPT0_PT_PfS5_S5_S5_diiiiiiib ; -- Begin function _ZN5aiter24add_rmsnorm_quant_kernelItDB8_Li1024ELi8ELb1ELb1ELb1ELi1EEEvPT0_PT_PfS5_S5_S5_diiiiiiib
	.globl	_ZN5aiter24add_rmsnorm_quant_kernelItDB8_Li1024ELi8ELb1ELb1ELb1ELi1EEEvPT0_PT_PfS5_S5_S5_diiiiiiib
	.p2align	8
	.type	_ZN5aiter24add_rmsnorm_quant_kernelItDB8_Li1024ELi8ELb1ELb1ELb1ELi1EEEvPT0_PT_PfS5_S5_S5_diiiiiiib,@function
_ZN5aiter24add_rmsnorm_quant_kernelItDB8_Li1024ELi8ELb1ELb1ELb1ELi1EEEvPT0_PT_PfS5_S5_S5_diiiiiiib: ; @_ZN5aiter24add_rmsnorm_quant_kernelItDB8_Li1024ELi8ELb1ELb1ELb1ELi1EEEvPT0_PT_PfS5_S5_S5_diiiiiiib
; %bb.0:
	s_mov_b32 s2, s15
	s_load_b256 s[12:19], s[0:1], 0x38
	s_mov_b32 s3, 0
	s_waitcnt lgkmcnt(0)
	s_ashr_i32 s5, s12, 31
	s_mov_b32 s4, s12
	s_delay_alu instid0(SALU_CYCLE_1) | instskip(NEXT) | instid1(VALU_DEP_1)
	v_cmp_ge_i64_e64 s4, s[2:3], s[4:5]
	s_and_b32 vcc_lo, exec_lo, s4
	s_cbranch_vccnz .LBB30_44
; %bb.1:
	s_clause 0x1
	s_load_b256 s[4:11], s[0:1], 0x0
	s_load_b256 s[20:27], s[0:1], 0x20
	s_ashr_i32 s1, s14, 31
	s_waitcnt lgkmcnt(0)
	s_mul_hi_u32 s26, s14, s2
	s_mul_i32 s1, s1, s2
	s_mul_i32 s0, s14, s2
	s_add_i32 s1, s26, s1
	s_mul_hi_u32 s26, s15, s2
	s_lshl_b64 s[0:1], s[0:1], 1
	v_lshlrev_b32_e32 v20, 4, v0
	s_mul_i32 s14, s15, s2
	s_mov_b32 s31, -1
	s_delay_alu instid0(SALU_CYCLE_1)
	s_mov_b32 s39, s31
	s_add_u32 s28, s10, s0
	s_addc_u32 s0, s11, s1
	s_add_i32 s1, s13, 1
	s_ashr_i32 s10, s15, 31
	s_lshr_b32 s11, s1, 31
	s_mul_i32 s10, s10, s2
	s_add_i32 s1, s1, s11
	s_and_b32 s29, s0, 0xffff
	s_lshl_b32 s0, s1, 1
	s_add_i32 s15, s26, s10
	s_and_b32 s30, s0, -4
	s_lshl_b64 s[0:1], s[14:15], 1
	s_and_b32 s37, s23, 0xffff
	buffer_load_b128 v[5:8], v20, s[28:31], 0 offen glc slc
	s_add_u32 s28, s20, s0
	s_addc_u32 s0, s21, s1
	s_mov_b32 s36, s22
	s_and_b32 s29, s0, 0xffff
	s_mov_b32 s38, s30
	buffer_load_b128 v[9:12], v20, s[28:31], 0 offen glc slc
	s_ashr_i32 s0, s16, 31
	s_mul_hi_u32 s1, s16, s2
	s_mul_i32 s10, s0, s2
	s_mul_i32 s0, s16, s2
	s_add_i32 s1, s1, s10
	s_delay_alu instid0(SALU_CYCLE_1) | instskip(NEXT) | instid1(SALU_CYCLE_1)
	s_lshl_b64 s[0:1], s[0:1], 1
	s_add_u32 s28, s6, s0
	s_addc_u32 s0, s7, s1
	s_mov_b32 s1, 0x76543210
	s_and_b32 s29, s0, 0xffff
	s_waitcnt vmcnt(1)
	v_lshrrev_b32_e32 v15, 16, v7
	v_and_b32_e32 v17, 0xffff, v7
	v_lshrrev_b32_e32 v14, 16, v6
	v_lshrrev_b32_e32 v18, 16, v8
	s_waitcnt vmcnt(0)
	v_and_b32_e32 v7, 0xffff, v9
	v_lshrrev_b32_e32 v16, 16, v9
	s_delay_alu instid0(VALU_DEP_2) | instskip(SKIP_2) | instid1(VALU_DEP_4)
	v_cvt_f32_u32_e32 v19, v7
	v_and_b32_e32 v13, 0xffff, v5
	v_lshrrev_b32_e32 v5, 16, v5
	v_cvt_f32_u32_e32 v9, v16
	v_and_b32_e32 v16, 0xffff, v8
	s_delay_alu instid0(VALU_DEP_4) | instskip(NEXT) | instid1(VALU_DEP_4)
	v_cvt_f32_u32_e32 v8, v13
	v_cvt_f32_u32_e32 v5, v5
	s_delay_alu instid0(VALU_DEP_2) | instskip(NEXT) | instid1(VALU_DEP_2)
	v_dual_add_f32 v8, v8, v19 :: v_dual_and_b32 v13, 0xffff, v10
	v_add_f32_e32 v7, v5, v9
	buffer_load_b128 v[1:4], v20, s[36:39], 0 offen
	v_and_b32_e32 v6, 0xffff, v6
	v_cvt_f32_u32_e32 v9, v13
	v_and_b32_e32 v13, 0xffff, v11
	v_mul_f32_e32 v19, v7, v7
	v_lshrrev_b32_e32 v11, 16, v11
	v_cvt_f32_u32_e32 v5, v6
	v_lshrrev_b32_e32 v6, 16, v10
	v_cvt_f32_u32_e32 v10, v14
	v_fmac_f32_e32 v19, v8, v8
	v_cvt_f32_u32_e32 v13, v13
	v_add_f32_e32 v9, v5, v9
	v_cvt_f32_u32_e32 v6, v6
	s_delay_alu instid0(VALU_DEP_2) | instskip(NEXT) | instid1(VALU_DEP_2)
	v_dual_fmac_f32 v19, v9, v9 :: v_dual_and_b32 v14, 0xffff, v12
	v_add_f32_e32 v10, v10, v6
	v_cvt_f32_u32_e32 v5, v17
	v_cvt_f32_u32_e32 v6, v15
	;; [unrolled: 1-line block ×4, first 2 shown]
	v_fmac_f32_e32 v19, v10, v10
	v_add_f32_e32 v11, v5, v13
	v_cvt_f32_u32_e32 v5, v16
	v_lshrrev_b32_e32 v13, 16, v12
	v_add_f32_e32 v12, v6, v15
	v_cvt_f32_u32_e32 v6, v18
	v_fmac_f32_e32 v19, v11, v11
	v_perm_b32 v17, v10, v9, 0x7060302
	v_cvt_f32_u32_e32 v15, v13
	v_add_f32_e32 v13, v5, v14
	v_perm_b32 v18, v12, v11, 0x7060302
	v_fmac_f32_e32 v19, v12, v12
	v_perm_b32 v16, v7, v8, 0x7060302
	s_delay_alu instid0(VALU_DEP_2) | instskip(NEXT) | instid1(VALU_DEP_1)
	v_dual_add_f32 v14, v6, v15 :: v_dual_fmac_f32 v19, v13, v13
	v_fmac_f32_e32 v19, v14, v14
	s_delay_alu instid0(VALU_DEP_1) | instskip(NEXT) | instid1(VALU_DEP_1)
	v_mov_b32_dpp v5, v19 quad_perm:[1,0,3,2] row_mask:0xf bank_mask:0xf
	v_add_f32_e32 v5, v19, v5
	v_perm_b32 v19, v14, v13, 0x7060302
	s_delay_alu instid0(VALU_DEP_2) | instskip(SKIP_3) | instid1(VALU_DEP_1)
	v_mov_b32_dpp v6, v5 quad_perm:[2,3,0,1] row_mask:0xf bank_mask:0xf
	buffer_store_b128 v[16:19], v20, s[28:31], 0 offen glc slc
	;;#ASMSTART
	s_nop 0
	;;#ASMEND
	v_dual_add_f32 v6, v5, v6 :: v_dual_and_b32 v5, 31, v0
	v_mov_b32_dpp v15, v6 row_xmask:7 row_mask:0xf bank_mask:0xf
	s_delay_alu instid0(VALU_DEP_2) | instskip(NEXT) | instid1(VALU_DEP_2)
	v_cmp_eq_u32_e64 s0, 31, v5
	v_add_f32_e32 v6, v6, v15
	s_delay_alu instid0(VALU_DEP_1) | instskip(NEXT) | instid1(VALU_DEP_3)
	v_mov_b32_dpp v15, v6 row_xmask:15 row_mask:0xf bank_mask:0xf
	s_and_saveexec_b32 s6, s0
	s_cbranch_execz .LBB30_3
; %bb.2:
	s_delay_alu instid0(VALU_DEP_1) | instskip(SKIP_1) | instid1(VALU_DEP_2)
	v_add_f32_e32 v6, v6, v15
	v_lshrrev_b32_e32 v15, 3, v0
	v_permlanex16_b32 v16, v6, s1, 0xfedcba98 op_sel:[1,1]
	s_delay_alu instid0(VALU_DEP_1)
	v_dual_add_f32 v6, v6, v16 :: v_dual_and_b32 v15, 0x7c, v15
	ds_store_b32 v15, v6 offset:128
.LBB30_3:
	s_or_b32 exec_lo, exec_lo, s6
	v_lshlrev_b32_e32 v6, 2, v5
	s_waitcnt vmcnt(0) lgkmcnt(0)
	s_waitcnt_vscnt null, 0x0
	s_barrier
	buffer_gl0_inv
	v_cvt_f32_i32_e32 v16, s13
	ds_load_b32 v5, v6 offset:128
	s_cmp_lg_u32 s18, 0
	s_waitcnt lgkmcnt(0)
	v_mov_b32_dpp v15, v5 quad_perm:[1,0,3,2] row_mask:0xf bank_mask:0xf
	s_delay_alu instid0(VALU_DEP_1) | instskip(NEXT) | instid1(VALU_DEP_1)
	v_add_f32_e32 v5, v5, v15
	v_mov_b32_dpp v15, v5 quad_perm:[2,3,0,1] row_mask:0xf bank_mask:0xf
	s_delay_alu instid0(VALU_DEP_1) | instskip(NEXT) | instid1(VALU_DEP_1)
	v_add_f32_e32 v5, v5, v15
	v_mov_b32_dpp v15, v5 row_xmask:7 row_mask:0xf bank_mask:0xf
	s_delay_alu instid0(VALU_DEP_1) | instskip(NEXT) | instid1(VALU_DEP_1)
	v_add_f32_e32 v5, v5, v15
	v_mov_b32_dpp v15, v5 row_xmask:15 row_mask:0xf bank_mask:0xf
	s_delay_alu instid0(VALU_DEP_1) | instskip(NEXT) | instid1(VALU_DEP_1)
	v_add_f32_e32 v5, v5, v15
	v_permlanex16_b32 v15, v5, s1, 0xfedcba98 op_sel:[1,1]
	s_delay_alu instid0(VALU_DEP_1) | instskip(NEXT) | instid1(VALU_DEP_1)
	v_add_f32_e32 v5, v5, v15
	v_div_scale_f32 v15, null, v16, v16, v5
	v_div_scale_f32 v19, vcc_lo, v5, v16, v5
	s_delay_alu instid0(VALU_DEP_2) | instskip(SKIP_2) | instid1(VALU_DEP_1)
	v_rcp_f32_e32 v17, v15
	s_waitcnt_depctr 0xfff
	v_fma_f32 v18, -v15, v17, 1.0
	v_fmac_f32_e32 v17, v18, v17
	s_delay_alu instid0(VALU_DEP_1) | instskip(NEXT) | instid1(VALU_DEP_1)
	v_mul_f32_e32 v18, v19, v17
	v_fma_f32 v20, -v15, v18, v19
	s_delay_alu instid0(VALU_DEP_1) | instskip(SKIP_1) | instid1(VALU_DEP_2)
	v_fmac_f32_e32 v18, v20, v17
	v_mov_b32_e32 v20, 0x2edbe6ff
	v_fma_f32 v15, -v15, v18, v19
	s_delay_alu instid0(VALU_DEP_1)
	v_div_fmas_f32 v15, v15, v17, v18
	v_and_b32_e32 v18, 0xffff, v3
	v_and_b32_e32 v17, 0xffff, v2
	v_lshrrev_b32_e32 v2, 16, v2
	v_lshrrev_b32_e32 v3, 16, v3
	v_div_fixup_f32 v5, v15, v16, v5
	v_cvt_f32_u32_e32 v18, v18
	s_delay_alu instid0(VALU_DEP_4) | instskip(NEXT) | instid1(VALU_DEP_4)
	v_cvt_f32_u32_e32 v2, v2
	v_cvt_f32_u32_e32 v3, v3
	s_delay_alu instid0(VALU_DEP_4) | instskip(NEXT) | instid1(VALU_DEP_1)
	v_cvt_f64_f32_e32 v[15:16], v5
	v_add_f64 v[15:16], v[15:16], s[24:25]
	s_delay_alu instid0(VALU_DEP_1) | instskip(SKIP_2) | instid1(VALU_DEP_2)
	v_cvt_f32_f64_e32 v5, v[15:16]
	v_and_b32_e32 v16, 0xffff, v1
	v_lshrrev_b32_e32 v1, 16, v1
	v_cvt_f32_u32_e32 v16, v16
	s_delay_alu instid0(VALU_DEP_2) | instskip(SKIP_2) | instid1(VALU_DEP_2)
	v_cvt_f32_u32_e32 v1, v1
	v_mul_f32_e32 v15, 0x4b800000, v5
	v_cmp_gt_f32_e32 vcc_lo, 0x800000, v5
	v_cndmask_b32_e32 v15, v5, v15, vcc_lo
	s_delay_alu instid0(VALU_DEP_1) | instskip(SKIP_2) | instid1(VALU_DEP_1)
	v_rsq_f32_e32 v15, v15
	s_waitcnt_depctr 0xfff
	v_mul_f32_e32 v21, 0x45800000, v15
	v_cndmask_b32_e32 v15, v15, v21, vcc_lo
	v_and_b32_e32 v19, 0xffff, v4
	v_lshrrev_b32_e32 v4, 16, v4
	v_lshlrev_b32_e32 v5, 3, v0
	s_delay_alu instid0(VALU_DEP_2) | instskip(SKIP_3) | instid1(VALU_DEP_1)
	v_cvt_f32_u32_e32 v21, v4
	v_mul_f32_e32 v4, v8, v15
	v_mul_f32_e32 v8, v15, v9
	v_cvt_f32_u32_e32 v17, v17
	v_dual_mul_f32 v22, v15, v11 :: v_dual_mul_f32 v9, v8, v17
	s_delay_alu instid0(VALU_DEP_1) | instskip(SKIP_3) | instid1(VALU_DEP_3)
	v_mul_f32_e32 v8, v22, v18
	v_mul_f32_e32 v10, v15, v10
	v_cvt_f32_u32_e32 v19, v19
	v_mul_f32_e32 v14, v15, v14
	v_dual_mul_f32 v10, v10, v2 :: v_dual_mul_f32 v7, v7, v15
	s_delay_alu instid0(VALU_DEP_1) | instskip(NEXT) | instid1(VALU_DEP_1)
	v_mul_f32_e32 v11, v7, v1
	v_dual_mul_f32 v13, v15, v13 :: v_dual_and_b32 v2, 0x7fffffff, v11
	v_mul_f32_e32 v23, v15, v12
	v_mul_f32_e32 v12, v4, v16
	s_delay_alu instid0(VALU_DEP_3) | instskip(SKIP_1) | instid1(VALU_DEP_4)
	v_dual_mul_f32 v4, v13, v19 :: v_dual_and_b32 v13, 0x7fffffff, v9
	v_and_b32_e32 v15, 0x7fffffff, v8
	v_mul_f32_e32 v7, v23, v3
	v_mul_f32_e32 v3, v14, v21
	v_and_b32_e32 v1, 0x7fffffff, v12
	;;#ASMSTART
	v_max3_f32 v1, v20, v1, v2

	;;#ASMEND
	v_and_b32_e32 v14, 0x7fffffff, v10
	;;#ASMSTART
	v_max3_f32 v1, v1, v13, v14

	;;#ASMEND
	v_and_b32_e32 v16, 0x7fffffff, v7
	v_and_b32_e32 v17, 0x7fffffff, v4
	;; [unrolled: 1-line block ×3, first 2 shown]
	;;#ASMSTART
	v_max3_f32 v1, v1, v15, v16

	;;#ASMEND
	;;#ASMSTART
	v_max3_f32 v13, v1, v17, v18

	;;#ASMEND
	s_cbranch_scc0 .LBB30_10
; %bb.4:
	s_ashr_i32 s11, s18, 31
	s_delay_alu instid0(SALU_CYCLE_1) | instskip(NEXT) | instid1(SALU_CYCLE_1)
	s_lshr_b32 s1, s11, 29
	s_add_i32 s1, s18, s1
	s_delay_alu instid0(SALU_CYCLE_1) | instskip(NEXT) | instid1(SALU_CYCLE_1)
	s_ashr_i32 s1, s1, 3
	s_cmp_lt_i32 s1, 8
	s_cbranch_scc1 .LBB30_11
; %bb.5:
	s_cmp_lt_i32 s1, 16
	s_cbranch_scc1 .LBB30_12
; %bb.6:
	;; [unrolled: 3-line block ×3, first 2 shown]
	v_mov_b32_e32 v1, v13
	s_cmp_eq_u32 s1, 32
	s_cbranch_scc0 .LBB30_9
; %bb.8:
	s_delay_alu instid0(VALU_DEP_1) | instskip(SKIP_1) | instid1(VALU_DEP_1)
	v_mov_b32_dpp v1, v13 quad_perm:[1,0,3,2] row_mask:0xf bank_mask:0xf
	s_mov_b32 s6, 0x76543210
	v_cmp_gt_f32_e32 vcc_lo, v13, v1
	v_cndmask_b32_e32 v1, v1, v13, vcc_lo
	s_delay_alu instid0(VALU_DEP_1) | instskip(NEXT) | instid1(VALU_DEP_1)
	v_mov_b32_dpp v2, v1 quad_perm:[2,3,0,1] row_mask:0xf bank_mask:0xf
	v_cmp_gt_f32_e32 vcc_lo, v1, v2
	v_cndmask_b32_e32 v1, v2, v1, vcc_lo
	s_delay_alu instid0(VALU_DEP_1) | instskip(NEXT) | instid1(VALU_DEP_1)
	v_mov_b32_dpp v2, v1 row_xmask:7 row_mask:0xf bank_mask:0xf
	v_cmp_gt_f32_e32 vcc_lo, v1, v2
	v_cndmask_b32_e32 v1, v2, v1, vcc_lo
	s_delay_alu instid0(VALU_DEP_1) | instskip(NEXT) | instid1(VALU_DEP_1)
	v_mov_b32_dpp v2, v1 row_xmask:15 row_mask:0xf bank_mask:0xf
	v_cmp_gt_f32_e32 vcc_lo, v1, v2
	v_cndmask_b32_e32 v1, v2, v1, vcc_lo
	s_delay_alu instid0(VALU_DEP_1) | instskip(NEXT) | instid1(VALU_DEP_1)
	v_permlanex16_b32 v2, v1, s6, 0xfedcba98 op_sel:[1,1]
	v_cmp_gt_f32_e32 vcc_lo, v1, v2
	v_cndmask_b32_e32 v1, v2, v1, vcc_lo
.LBB30_9:
	s_mov_b32 s6, 0
	s_branch .LBB30_14
.LBB30_10:
	s_mov_b32 s1, 0
                                        ; implicit-def: $vgpr14
                                        ; implicit-def: $vgpr1_vgpr2
	s_and_b32 vcc_lo, exec_lo, s31
	s_cbranch_vccnz .LBB30_38
	s_branch .LBB30_41
.LBB30_11:
                                        ; implicit-def: $vgpr1
	s_branch .LBB30_21
.LBB30_12:
                                        ; implicit-def: $vgpr1
	s_branch .LBB30_18
.LBB30_13:
	s_mov_b32 s6, -1
                                        ; implicit-def: $vgpr1
.LBB30_14:
	s_delay_alu instid0(SALU_CYCLE_1)
	s_and_not1_b32 vcc_lo, exec_lo, s6
	s_cbranch_vccnz .LBB30_17
; %bb.15:
	v_mov_b32_e32 v1, v13
	s_cmp_eq_u32 s1, 16
	s_cbranch_scc0 .LBB30_17
; %bb.16:
	s_delay_alu instid0(VALU_DEP_1) | instskip(NEXT) | instid1(VALU_DEP_1)
	v_mov_b32_dpp v1, v13 quad_perm:[1,0,3,2] row_mask:0xf bank_mask:0xf
	v_cmp_gt_f32_e32 vcc_lo, v13, v1
	v_cndmask_b32_e32 v1, v1, v13, vcc_lo
	s_delay_alu instid0(VALU_DEP_1) | instskip(NEXT) | instid1(VALU_DEP_1)
	v_mov_b32_dpp v2, v1 quad_perm:[2,3,0,1] row_mask:0xf bank_mask:0xf
	v_cmp_gt_f32_e32 vcc_lo, v1, v2
	v_cndmask_b32_e32 v1, v2, v1, vcc_lo
	s_delay_alu instid0(VALU_DEP_1) | instskip(NEXT) | instid1(VALU_DEP_1)
	v_mov_b32_dpp v2, v1 row_half_mirror row_mask:0xf bank_mask:0xf
	v_cmp_gt_f32_e32 vcc_lo, v1, v2
	v_cndmask_b32_e32 v1, v2, v1, vcc_lo
	s_delay_alu instid0(VALU_DEP_1) | instskip(NEXT) | instid1(VALU_DEP_1)
	v_mov_b32_dpp v2, v1 row_mirror row_mask:0xf bank_mask:0xf
	v_cmp_gt_f32_e32 vcc_lo, v1, v2
	v_cndmask_b32_e32 v1, v2, v1, vcc_lo
.LBB30_17:
	s_cbranch_execnz .LBB30_20
.LBB30_18:
	v_mov_b32_e32 v1, v13
	s_cmp_eq_u32 s1, 8
	s_cbranch_scc0 .LBB30_20
; %bb.19:
	s_delay_alu instid0(VALU_DEP_1) | instskip(NEXT) | instid1(VALU_DEP_1)
	v_mov_b32_dpp v1, v13 quad_perm:[1,0,3,2] row_mask:0xf bank_mask:0xf
	v_cmp_gt_f32_e32 vcc_lo, v13, v1
	v_cndmask_b32_e32 v1, v1, v13, vcc_lo
	s_delay_alu instid0(VALU_DEP_1) | instskip(NEXT) | instid1(VALU_DEP_1)
	v_mov_b32_dpp v2, v1 quad_perm:[2,3,0,1] row_mask:0xf bank_mask:0xf
	v_cmp_gt_f32_e32 vcc_lo, v1, v2
	v_cndmask_b32_e32 v1, v2, v1, vcc_lo
	s_delay_alu instid0(VALU_DEP_1) | instskip(NEXT) | instid1(VALU_DEP_1)
	v_mov_b32_dpp v2, v1 row_half_mirror row_mask:0xf bank_mask:0xf
	v_cmp_gt_f32_e32 vcc_lo, v1, v2
	v_cndmask_b32_e32 v1, v2, v1, vcc_lo
.LBB30_20:
	s_cbranch_execnz .LBB30_28
.LBB30_21:
	s_cmp_lt_i32 s1, 4
	s_cbranch_scc1 .LBB30_24
; %bb.22:
	v_mov_b32_e32 v1, v13
	s_cmp_eq_u32 s1, 4
	s_cbranch_scc0 .LBB30_25
; %bb.23:
	s_delay_alu instid0(VALU_DEP_1) | instskip(NEXT) | instid1(VALU_DEP_1)
	v_mov_b32_dpp v1, v13 quad_perm:[1,0,3,2] row_mask:0xf bank_mask:0xf
	v_cmp_gt_f32_e32 vcc_lo, v13, v1
	v_cndmask_b32_e32 v1, v1, v13, vcc_lo
	s_delay_alu instid0(VALU_DEP_1) | instskip(NEXT) | instid1(VALU_DEP_1)
	v_mov_b32_dpp v2, v1 quad_perm:[2,3,0,1] row_mask:0xf bank_mask:0xf
	v_cmp_gt_f32_e32 vcc_lo, v1, v2
	v_cndmask_b32_e32 v1, v2, v1, vcc_lo
	s_cbranch_execz .LBB30_26
	s_branch .LBB30_28
.LBB30_24:
                                        ; implicit-def: $vgpr1
	s_branch .LBB30_26
.LBB30_25:
	s_cbranch_execnz .LBB30_28
.LBB30_26:
	v_mov_b32_e32 v1, v13
	s_cmp_lg_u32 s1, 2
	s_cbranch_scc1 .LBB30_28
; %bb.27:
	s_delay_alu instid0(VALU_DEP_1) | instskip(NEXT) | instid1(VALU_DEP_1)
	v_mov_b32_dpp v1, v13 quad_perm:[1,0,3,2] row_mask:0xf bank_mask:0xf
	v_cmp_gt_f32_e32 vcc_lo, v13, v1
	v_cndmask_b32_e32 v1, v1, v13, vcc_lo
.LBB30_28:
	v_cvt_f32_u32_e32 v2, s1
	s_sub_i32 s6, 0, s1
	s_mov_b32 s31, 0
	s_delay_alu instid0(VALU_DEP_1) | instskip(SKIP_2) | instid1(VALU_DEP_1)
	v_rcp_iflag_f32_e32 v2, v2
	s_waitcnt_depctr 0xfff
	v_mul_f32_e32 v2, 0x4f7ffffe, v2
	v_cvt_u32_f32_e32 v2, v2
	s_delay_alu instid0(VALU_DEP_1) | instskip(NEXT) | instid1(VALU_DEP_1)
	v_mul_lo_u32 v14, s6, v2
	v_mul_hi_u32 v14, v2, v14
	s_delay_alu instid0(VALU_DEP_1) | instskip(NEXT) | instid1(VALU_DEP_1)
	v_add_nc_u32_e32 v2, v2, v14
	v_mul_hi_u32 v2, v0, v2
	s_delay_alu instid0(VALU_DEP_1) | instskip(NEXT) | instid1(VALU_DEP_1)
	v_mul_lo_u32 v14, v2, s1
	v_sub_nc_u32_e32 v14, v0, v14
	s_delay_alu instid0(VALU_DEP_1) | instskip(SKIP_1) | instid1(VALU_DEP_2)
	v_subrev_nc_u32_e32 v16, s1, v14
	v_cmp_le_u32_e32 vcc_lo, s1, v14
	v_dual_cndmask_b32 v14, v14, v16 :: v_dual_add_nc_u32 v15, 1, v2
	s_delay_alu instid0(VALU_DEP_1) | instskip(NEXT) | instid1(VALU_DEP_2)
	v_cndmask_b32_e32 v2, v2, v15, vcc_lo
	v_cmp_le_u32_e32 vcc_lo, s1, v14
	s_delay_alu instid0(VALU_DEP_2) | instskip(NEXT) | instid1(VALU_DEP_1)
	v_dual_mul_f32 v14, 0x3b124925, v1 :: v_dual_add_nc_u32 v15, 1, v2
	v_cndmask_b32_e32 v15, v2, v15, vcc_lo
	v_cmp_gt_u32_e32 vcc_lo, s13, v5
	s_delay_alu instid0(VALU_DEP_2) | instskip(NEXT) | instid1(VALU_DEP_1)
	v_mul_lo_u32 v2, v15, s1
	v_sub_nc_u32_e32 v2, v0, v2
	s_delay_alu instid0(VALU_DEP_1) | instskip(NEXT) | instid1(VALU_DEP_1)
	v_cmp_eq_u32_e64 s1, 0, v2
                                        ; implicit-def: $vgpr1_vgpr2
	s_and_b32 s6, s1, vcc_lo
	s_mov_b32 s1, 0
	s_and_saveexec_b32 s7, s6
	s_delay_alu instid0(SALU_CYCLE_1)
	s_xor_b32 s16, exec_lo, s7
	s_cbranch_execz .LBB30_37
; %bb.29:
	s_bitcmp0_b32 s19, 0
	s_mov_b32 s10, 0
	s_cbranch_scc0 .LBB30_34
; %bb.30:
	s_ashr_i32 s1, s13, 31
	s_mul_hi_u32 s7, s13, s2
	s_mul_i32 s1, s1, s2
	s_mul_i32 s6, s13, s2
	s_add_i32 s7, s7, s1
	s_mov_b32 s19, s11
	s_delay_alu instid0(SALU_CYCLE_1) | instskip(NEXT) | instid1(SALU_CYCLE_1)
	s_or_b64 s[14:15], s[6:7], s[18:19]
	s_mov_b32 s11, s15
	s_delay_alu instid0(SALU_CYCLE_1)
	s_cmp_lg_u64 s[10:11], 0
	s_cbranch_scc0 .LBB30_45
; %bb.31:
	s_add_u32 s14, s18, s19
	s_mov_b32 s10, s19
	s_mov_b32 s11, s19
	s_addc_u32 s15, s19, s19
	s_delay_alu instid0(SALU_CYCLE_1) | instskip(NEXT) | instid1(SALU_CYCLE_1)
	s_xor_b64 s[14:15], s[14:15], s[10:11]
	v_cvt_f32_u32_e32 v1, s14
	v_cvt_f32_u32_e32 v2, s15
	s_sub_u32 s20, 0, s14
	s_subb_u32 s21, 0, s15
	s_delay_alu instid0(VALU_DEP_1) | instskip(NEXT) | instid1(VALU_DEP_1)
	v_fmamk_f32 v1, v2, 0x4f800000, v1
	v_rcp_f32_e32 v1, v1
	s_waitcnt_depctr 0xfff
	v_mul_f32_e32 v1, 0x5f7ffffc, v1
	s_delay_alu instid0(VALU_DEP_1) | instskip(NEXT) | instid1(VALU_DEP_1)
	v_mul_f32_e32 v2, 0x2f800000, v1
	v_trunc_f32_e32 v2, v2
	s_delay_alu instid0(VALU_DEP_1) | instskip(SKIP_1) | instid1(VALU_DEP_2)
	v_fmamk_f32 v1, v2, 0xcf800000, v1
	v_cvt_u32_f32_e32 v2, v2
	v_cvt_u32_f32_e32 v1, v1
	s_delay_alu instid0(VALU_DEP_2) | instskip(NEXT) | instid1(VALU_DEP_2)
	v_readfirstlane_b32 s1, v2
	v_readfirstlane_b32 s19, v1
	s_delay_alu instid0(VALU_DEP_2) | instskip(NEXT) | instid1(VALU_DEP_1)
	s_mul_i32 s22, s20, s1
	s_mul_hi_u32 s24, s20, s19
	s_mul_i32 s23, s21, s19
	s_add_i32 s22, s24, s22
	s_mul_i32 s25, s20, s19
	s_add_i32 s22, s22, s23
	s_mul_hi_u32 s24, s19, s25
	s_mul_hi_u32 s26, s1, s25
	s_mul_i32 s23, s1, s25
	s_mul_hi_u32 s25, s19, s22
	s_mul_i32 s19, s19, s22
	s_mul_hi_u32 s27, s1, s22
	s_add_u32 s19, s24, s19
	s_addc_u32 s24, 0, s25
	s_add_u32 s19, s19, s23
	s_mul_i32 s22, s1, s22
	s_addc_u32 s19, s24, s26
	s_addc_u32 s23, s27, 0
	s_add_u32 s19, s19, s22
	s_addc_u32 s22, 0, s23
	v_add_co_u32 v1, s19, v1, s19
	s_delay_alu instid0(VALU_DEP_1) | instskip(SKIP_1) | instid1(VALU_DEP_1)
	s_cmp_lg_u32 s19, 0
	s_addc_u32 s1, s1, s22
	v_readfirstlane_b32 s19, v1
	s_mul_i32 s22, s20, s1
	s_delay_alu instid0(VALU_DEP_1)
	s_mul_hi_u32 s23, s20, s19
	s_mul_i32 s21, s21, s19
	s_add_i32 s22, s23, s22
	s_mul_i32 s20, s20, s19
	s_add_i32 s22, s22, s21
	s_mul_hi_u32 s23, s1, s20
	s_mul_i32 s24, s1, s20
	s_mul_hi_u32 s20, s19, s20
	s_mul_hi_u32 s25, s19, s22
	s_mul_i32 s19, s19, s22
	s_mul_hi_u32 s21, s1, s22
	s_add_u32 s19, s20, s19
	s_addc_u32 s20, 0, s25
	s_add_u32 s19, s19, s24
	s_mul_i32 s22, s1, s22
	s_addc_u32 s19, s20, s23
	s_addc_u32 s20, s21, 0
	s_add_u32 s19, s19, s22
	s_addc_u32 s20, 0, s20
	v_add_co_u32 v1, s19, v1, s19
	s_delay_alu instid0(VALU_DEP_1) | instskip(SKIP_2) | instid1(SALU_CYCLE_1)
	s_cmp_lg_u32 s19, 0
	s_addc_u32 s1, s1, s20
	s_ashr_i32 s20, s7, 31
	s_add_u32 s22, s6, s20
	s_addc_u32 s23, s7, s20
	v_readfirstlane_b32 s7, v1
	s_mov_b32 s21, s20
	s_delay_alu instid0(SALU_CYCLE_1) | instskip(NEXT) | instid1(SALU_CYCLE_1)
	s_xor_b64 s[22:23], s[22:23], s[20:21]
	s_mul_i32 s24, s22, s1
	s_delay_alu instid0(VALU_DEP_1)
	s_mul_hi_u32 s25, s22, s7
	s_mul_hi_u32 s19, s22, s1
	;; [unrolled: 1-line block ×3, first 2 shown]
	s_mul_i32 s7, s23, s7
	s_add_u32 s24, s25, s24
	s_addc_u32 s19, 0, s19
	s_mul_hi_u32 s26, s23, s1
	s_add_u32 s7, s24, s7
	s_mul_i32 s1, s23, s1
	s_addc_u32 s7, s19, s27
	s_addc_u32 s19, s26, 0
	s_add_u32 s7, s7, s1
	s_addc_u32 s19, 0, s19
	s_mul_i32 s26, s14, s7
	s_mul_hi_u32 s1, s14, s7
	s_mul_i32 s25, s14, s19
	v_sub_co_u32 v1, s22, s22, s26
	s_mul_i32 s24, s15, s7
	s_add_i32 s1, s1, s25
	s_delay_alu instid0(SALU_CYCLE_1) | instskip(NEXT) | instid1(VALU_DEP_1)
	s_add_i32 s1, s1, s24
	v_sub_co_u32 v2, s25, v1, s14
	s_sub_i32 s24, s23, s1
	s_cmp_lg_u32 s22, 0
	s_subb_u32 s24, s24, s15
	s_cmp_lg_u32 s25, 0
	v_cmp_le_u32_e32 vcc_lo, s14, v2
	s_subb_u32 s24, s24, 0
	s_delay_alu instid0(SALU_CYCLE_1)
	s_cmp_ge_u32 s24, s15
	v_cndmask_b32_e64 v2, 0, -1, vcc_lo
	s_cselect_b32 s25, -1, 0
	s_cmp_eq_u32 s24, s15
	s_cselect_b32 vcc_lo, -1, 0
	s_add_u32 s24, s7, 1
	v_cndmask_b32_e32 v2, s25, v2, vcc_lo
	s_addc_u32 s25, s19, 0
	s_add_u32 s26, s7, 2
	s_addc_u32 s27, s19, 0
	s_cmp_lg_u32 s22, 0
	v_cmp_le_u32_e32 vcc_lo, s14, v1
	s_subb_u32 s1, s23, s1
	v_mov_b32_e32 v16, s26
	s_cmp_ge_u32 s1, s15
	v_cndmask_b32_e64 v1, 0, -1, vcc_lo
	s_cselect_b32 s14, -1, 0
	s_cmp_eq_u32 s1, s15
	v_cmp_ne_u32_e32 vcc_lo, 0, v2
	v_mov_b32_e32 v2, s27
	s_cselect_b32 s1, -1, 0
	s_xor_b64 s[10:11], s[20:21], s[10:11]
	v_cndmask_b32_e64 v1, s14, v1, s1
	v_cndmask_b32_e32 v16, s24, v16, vcc_lo
	v_cndmask_b32_e32 v2, s25, v2, vcc_lo
	s_delay_alu instid0(VALU_DEP_3) | instskip(NEXT) | instid1(VALU_DEP_2)
	v_cmp_ne_u32_e32 vcc_lo, 0, v1
	v_cndmask_b32_e32 v1, s19, v2, vcc_lo
	s_delay_alu instid0(VALU_DEP_4) | instskip(NEXT) | instid1(VALU_DEP_2)
	v_cndmask_b32_e32 v2, s7, v16, vcc_lo
	v_xor_b32_e32 v16, s11, v1
	s_delay_alu instid0(VALU_DEP_2) | instskip(NEXT) | instid1(VALU_DEP_1)
	v_xor_b32_e32 v2, s10, v2
	v_sub_co_u32 v1, vcc_lo, v2, s10
	s_delay_alu instid0(VALU_DEP_3)
	v_subrev_co_ci_u32_e32 v2, vcc_lo, s11, v16, vcc_lo
	s_cbranch_execnz .LBB30_33
.LBB30_32:
	v_cvt_f32_u32_e32 v1, s18
	s_sub_i32 s7, 0, s18
	s_delay_alu instid0(VALU_DEP_1) | instskip(SKIP_2) | instid1(VALU_DEP_1)
	v_rcp_iflag_f32_e32 v1, v1
	s_waitcnt_depctr 0xfff
	v_mul_f32_e32 v1, 0x4f7ffffe, v1
	v_cvt_u32_f32_e32 v1, v1
	s_delay_alu instid0(VALU_DEP_1) | instskip(NEXT) | instid1(VALU_DEP_1)
	v_readfirstlane_b32 s1, v1
	s_mul_i32 s7, s7, s1
	s_delay_alu instid0(SALU_CYCLE_1) | instskip(NEXT) | instid1(SALU_CYCLE_1)
	s_mul_hi_u32 s7, s1, s7
	s_add_i32 s1, s1, s7
	s_delay_alu instid0(SALU_CYCLE_1) | instskip(NEXT) | instid1(SALU_CYCLE_1)
	s_mul_hi_u32 s1, s6, s1
	s_mul_i32 s7, s1, s18
	s_delay_alu instid0(SALU_CYCLE_1)
	s_sub_i32 s6, s6, s7
	s_add_i32 s7, s1, 1
	s_sub_i32 s10, s6, s18
	s_cmp_ge_u32 s6, s18
	s_cselect_b32 s1, s7, s1
	s_cselect_b32 s6, s10, s6
	s_add_i32 s10, s1, 1
	s_cmp_ge_u32 s6, s18
	s_mov_b32 s7, 0
	s_cselect_b32 s6, s10, s1
	s_delay_alu instid0(SALU_CYCLE_1)
	v_dual_mov_b32 v1, s6 :: v_dual_mov_b32 v2, s7
.LBB30_33:
	s_delay_alu instid0(VALU_DEP_1) | instskip(NEXT) | instid1(VALU_DEP_2)
	v_add_co_u32 v1, vcc_lo, v1, v15
	v_add_co_ci_u32_e32 v2, vcc_lo, 0, v2, vcc_lo
	s_branch .LBB30_36
.LBB30_34:
                                        ; implicit-def: $vgpr1_vgpr2
	s_cbranch_execz .LBB30_36
; %bb.35:
	v_mul_lo_u32 v1, v15, s12
	s_delay_alu instid0(VALU_DEP_1) | instskip(SKIP_1) | instid1(VALU_DEP_2)
	v_ashrrev_i32_e32 v2, 31, v1
	v_add_co_u32 v1, vcc_lo, v1, s2
	v_add_co_ci_u32_e32 v2, vcc_lo, 0, v2, vcc_lo
.LBB30_36:
	s_mov_b32 s1, exec_lo
.LBB30_37:
	s_or_b32 exec_lo, exec_lo, s16
	s_delay_alu instid0(SALU_CYCLE_1)
	s_and_b32 vcc_lo, exec_lo, s31
	s_cbranch_vccz .LBB30_41
.LBB30_38:
	v_mov_b32_dpp v1, v13 quad_perm:[1,0,3,2] row_mask:0xf bank_mask:0xf
	s_mov_b32 s1, 0x76543210
	s_delay_alu instid0(VALU_DEP_1) | instskip(SKIP_1) | instid1(VALU_DEP_1)
	v_cmp_gt_f32_e32 vcc_lo, v13, v1
	v_cndmask_b32_e32 v1, v1, v13, vcc_lo
	v_mov_b32_dpp v2, v1 quad_perm:[2,3,0,1] row_mask:0xf bank_mask:0xf
	s_delay_alu instid0(VALU_DEP_1) | instskip(SKIP_1) | instid1(VALU_DEP_1)
	v_cmp_gt_f32_e32 vcc_lo, v1, v2
	v_cndmask_b32_e32 v1, v2, v1, vcc_lo
	v_mov_b32_dpp v2, v1 row_xmask:7 row_mask:0xf bank_mask:0xf
	s_delay_alu instid0(VALU_DEP_1) | instskip(SKIP_1) | instid1(VALU_DEP_1)
	v_cmp_gt_f32_e32 vcc_lo, v1, v2
	v_cndmask_b32_e32 v1, v2, v1, vcc_lo
	v_mov_b32_dpp v2, v1 row_xmask:15 row_mask:0xf bank_mask:0xf
	s_delay_alu instid0(VALU_DEP_1)
	v_cmp_gt_f32_e32 vcc_lo, v1, v2
	s_and_saveexec_b32 s6, s0
	s_cbranch_execz .LBB30_40
; %bb.39:
	v_cndmask_b32_e32 v1, v2, v1, vcc_lo
	v_lshrrev_b32_e32 v2, 3, v0
	s_delay_alu instid0(VALU_DEP_1) | instskip(NEXT) | instid1(VALU_DEP_3)
	v_and_b32_e32 v2, 0x7c, v2
	v_permlanex16_b32 v13, v1, s1, 0xfedcba98 op_sel:[1,1]
	s_delay_alu instid0(VALU_DEP_1)
	v_cmp_gt_f32_e32 vcc_lo, v1, v13
	v_cndmask_b32_e32 v1, v13, v1, vcc_lo
	ds_store_b32 v2, v1
.LBB30_40:
	s_or_b32 exec_lo, exec_lo, s6
	s_waitcnt lgkmcnt(0)
	s_barrier
	buffer_gl0_inv
	ds_load_b32 v1, v6
	s_waitcnt lgkmcnt(0)
	v_mov_b32_dpp v2, v1 quad_perm:[1,0,3,2] row_mask:0xf bank_mask:0xf
	s_delay_alu instid0(VALU_DEP_1) | instskip(SKIP_1) | instid1(VALU_DEP_1)
	v_cmp_gt_f32_e32 vcc_lo, v1, v2
	v_cndmask_b32_e32 v1, v2, v1, vcc_lo
	v_mov_b32_dpp v2, v1 quad_perm:[2,3,0,1] row_mask:0xf bank_mask:0xf
	s_delay_alu instid0(VALU_DEP_1) | instskip(SKIP_1) | instid1(VALU_DEP_1)
	v_cmp_gt_f32_e32 vcc_lo, v1, v2
	v_cndmask_b32_e32 v1, v2, v1, vcc_lo
	v_mov_b32_dpp v2, v1 row_xmask:7 row_mask:0xf bank_mask:0xf
	s_delay_alu instid0(VALU_DEP_1) | instskip(SKIP_1) | instid1(VALU_DEP_1)
	v_cmp_gt_f32_e32 vcc_lo, v1, v2
	v_cndmask_b32_e32 v1, v2, v1, vcc_lo
	v_mov_b32_dpp v2, v1 row_xmask:15 row_mask:0xf bank_mask:0xf
	s_delay_alu instid0(VALU_DEP_1) | instskip(SKIP_1) | instid1(VALU_DEP_1)
	v_cmp_gt_f32_e32 vcc_lo, v1, v2
	v_cndmask_b32_e32 v1, v2, v1, vcc_lo
	v_permlanex16_b32 v2, v1, s1, 0xfedcba98 op_sel:[1,1]
	v_cmp_eq_u32_e64 s1, 0, v0
	s_delay_alu instid0(VALU_DEP_2) | instskip(SKIP_1) | instid1(VALU_DEP_1)
	v_cmp_gt_f32_e32 vcc_lo, v1, v2
	v_cndmask_b32_e32 v1, v2, v1, vcc_lo
	v_dual_mul_f32 v14, 0x3b124925, v1 :: v_dual_mov_b32 v1, s2
	v_mov_b32_e32 v2, s3
.LBB30_41:
	s_and_saveexec_b32 s0, s1
	s_cbranch_execz .LBB30_43
; %bb.42:
	s_delay_alu instid0(VALU_DEP_1) | instskip(NEXT) | instid1(VALU_DEP_1)
	v_lshlrev_b64 v[0:1], 2, v[1:2]
	v_add_co_u32 v0, vcc_lo, s8, v0
	s_delay_alu instid0(VALU_DEP_2)
	v_add_co_ci_u32_e32 v1, vcc_lo, s9, v1, vcc_lo
	global_store_b32 v[0:1], v14, off
.LBB30_43:
	s_or_b32 exec_lo, exec_lo, s0
	;;#ASMSTART
	v_rcp_f32 v0, v14
	;;#ASMEND
	v_dual_mul_f32 v1, v12, v0 :: v_dual_mov_b32 v6, 0xc3e00000
	v_dual_mul_f32 v2, v11, v0 :: v_dual_mov_b32 v11, 0x43e00000
	v_mul_f32_e32 v9, v9, v0
	v_mul_f32_e32 v10, v10, v0
	;;#ASMSTART
	v_med3_f32 v1, v1, v6, v11
v_med3_f32 v2, v2, v6, v11
v_cvt_pk_fp8_f32 v12, v1, v2
	;;#ASMEND
	;;#ASMSTART
	v_med3_f32 v9, v9, v6, v11
v_med3_f32 v10, v10, v6, v11
v_cvt_pk_fp8_f32 v1, v9, v10
	;;#ASMEND
	v_perm_b32 v2, v1, v12, 0x5040100
	v_and_b32_e32 v1, 0xffffff00, v1
	s_add_i32 s0, s13, 3
	v_mul_f32_e32 v7, v7, v0
	s_ashr_i32 s7, s0, 31
	v_lshrrev_b32_e32 v9, 16, v2
	v_mul_f32_e32 v8, v8, v0
	s_ashr_i32 s1, s17, 31
	s_lshr_b32 s7, s7, 30
	s_mul_hi_u32 s3, s17, s2
	v_and_b32_e32 v9, 0xff, v9
	s_add_i32 s0, s0, s7
	s_mul_i32 s1, s1, s2
	s_mul_i32 s6, s17, s2
	s_and_b32 s2, s0, -4
	v_or_b32_e32 v1, v9, v1
	v_mul_f32_e32 v4, v4, v0
	v_mul_f32_e32 v0, v3, v0
	;;#ASMSTART
	v_med3_f32 v8, v8, v6, v11
v_med3_f32 v7, v7, v6, v11
v_cvt_pk_fp8_f32 v3, v8, v7
	;;#ASMEND
	s_add_i32 s3, s3, s1
	v_lshlrev_b32_e32 v1, 16, v1
	;;#ASMSTART
	v_med3_f32 v4, v4, v6, v11
v_med3_f32 v0, v0, v6, v11
v_cvt_pk_fp8_f32 v6, v4, v0
	;;#ASMEND
	v_lshlrev_b32_e32 v4, 16, v6
	s_add_u32 s0, s4, s6
	s_addc_u32 s1, s5, s3
	v_and_or_b32 v0, 0xffff, v2, v1
	s_and_b32 s1, s1, 0xffff
	v_and_or_b32 v1, 0xffff, v3, v4
	s_mov_b32 s3, -1
	buffer_store_b64 v[0:1], v5, s[0:3], 0 offen
	;;#ASMSTART
	s_nop 0
	;;#ASMEND
.LBB30_44:
	s_nop 0
	s_sendmsg sendmsg(MSG_DEALLOC_VGPRS)
	s_endpgm
.LBB30_45:
                                        ; implicit-def: $vgpr1_vgpr2
	s_branch .LBB30_32
	.section	.rodata,"a",@progbits
	.p2align	6, 0x0
	.amdhsa_kernel _ZN5aiter24add_rmsnorm_quant_kernelItDB8_Li1024ELi8ELb1ELb1ELb1ELi1EEEvPT0_PT_PfS5_S5_S5_diiiiiiib
		.amdhsa_group_segment_fixed_size 256
		.amdhsa_private_segment_fixed_size 0
		.amdhsa_kernarg_size 88
		.amdhsa_user_sgpr_count 15
		.amdhsa_user_sgpr_dispatch_ptr 0
		.amdhsa_user_sgpr_queue_ptr 0
		.amdhsa_user_sgpr_kernarg_segment_ptr 1
		.amdhsa_user_sgpr_dispatch_id 0
		.amdhsa_user_sgpr_private_segment_size 0
		.amdhsa_wavefront_size32 1
		.amdhsa_uses_dynamic_stack 0
		.amdhsa_enable_private_segment 0
		.amdhsa_system_sgpr_workgroup_id_x 1
		.amdhsa_system_sgpr_workgroup_id_y 0
		.amdhsa_system_sgpr_workgroup_id_z 0
		.amdhsa_system_sgpr_workgroup_info 0
		.amdhsa_system_vgpr_workitem_id 0
		.amdhsa_next_free_vgpr 24
		.amdhsa_next_free_sgpr 40
		.amdhsa_reserve_vcc 1
		.amdhsa_float_round_mode_32 0
		.amdhsa_float_round_mode_16_64 0
		.amdhsa_float_denorm_mode_32 3
		.amdhsa_float_denorm_mode_16_64 3
		.amdhsa_dx10_clamp 1
		.amdhsa_ieee_mode 1
		.amdhsa_fp16_overflow 0
		.amdhsa_workgroup_processor_mode 1
		.amdhsa_memory_ordered 1
		.amdhsa_forward_progress 0
		.amdhsa_shared_vgpr_count 0
		.amdhsa_exception_fp_ieee_invalid_op 0
		.amdhsa_exception_fp_denorm_src 0
		.amdhsa_exception_fp_ieee_div_zero 0
		.amdhsa_exception_fp_ieee_overflow 0
		.amdhsa_exception_fp_ieee_underflow 0
		.amdhsa_exception_fp_ieee_inexact 0
		.amdhsa_exception_int_div_zero 0
	.end_amdhsa_kernel
	.section	.text._ZN5aiter24add_rmsnorm_quant_kernelItDB8_Li1024ELi8ELb1ELb1ELb1ELi1EEEvPT0_PT_PfS5_S5_S5_diiiiiiib,"axG",@progbits,_ZN5aiter24add_rmsnorm_quant_kernelItDB8_Li1024ELi8ELb1ELb1ELb1ELi1EEEvPT0_PT_PfS5_S5_S5_diiiiiiib,comdat
.Lfunc_end30:
	.size	_ZN5aiter24add_rmsnorm_quant_kernelItDB8_Li1024ELi8ELb1ELb1ELb1ELi1EEEvPT0_PT_PfS5_S5_S5_diiiiiiib, .Lfunc_end30-_ZN5aiter24add_rmsnorm_quant_kernelItDB8_Li1024ELi8ELb1ELb1ELb1ELi1EEEvPT0_PT_PfS5_S5_S5_diiiiiiib
                                        ; -- End function
	.section	.AMDGPU.csdata,"",@progbits
; Kernel info:
; codeLenInByte = 3792
; NumSgprs: 42
; NumVgprs: 24
; ScratchSize: 0
; MemoryBound: 0
; FloatMode: 240
; IeeeMode: 1
; LDSByteSize: 256 bytes/workgroup (compile time only)
; SGPRBlocks: 5
; VGPRBlocks: 2
; NumSGPRsForWavesPerEU: 42
; NumVGPRsForWavesPerEU: 24
; Occupancy: 16
; WaveLimiterHint : 0
; COMPUTE_PGM_RSRC2:SCRATCH_EN: 0
; COMPUTE_PGM_RSRC2:USER_SGPR: 15
; COMPUTE_PGM_RSRC2:TRAP_HANDLER: 0
; COMPUTE_PGM_RSRC2:TGID_X_EN: 1
; COMPUTE_PGM_RSRC2:TGID_Y_EN: 0
; COMPUTE_PGM_RSRC2:TGID_Z_EN: 0
; COMPUTE_PGM_RSRC2:TIDIG_COMP_CNT: 0
	.section	.text._ZN5aiter24add_rmsnorm_quant_kernelIDF16_DB8_Li1024ELi8ELb1ELb1ELb0ELi1EEEvPT0_PT_PfS5_S5_S5_diiiiiiib,"axG",@progbits,_ZN5aiter24add_rmsnorm_quant_kernelIDF16_DB8_Li1024ELi8ELb1ELb1ELb0ELi1EEEvPT0_PT_PfS5_S5_S5_diiiiiiib,comdat
	.protected	_ZN5aiter24add_rmsnorm_quant_kernelIDF16_DB8_Li1024ELi8ELb1ELb1ELb0ELi1EEEvPT0_PT_PfS5_S5_S5_diiiiiiib ; -- Begin function _ZN5aiter24add_rmsnorm_quant_kernelIDF16_DB8_Li1024ELi8ELb1ELb1ELb0ELi1EEEvPT0_PT_PfS5_S5_S5_diiiiiiib
	.globl	_ZN5aiter24add_rmsnorm_quant_kernelIDF16_DB8_Li1024ELi8ELb1ELb1ELb0ELi1EEEvPT0_PT_PfS5_S5_S5_diiiiiiib
	.p2align	8
	.type	_ZN5aiter24add_rmsnorm_quant_kernelIDF16_DB8_Li1024ELi8ELb1ELb1ELb0ELi1EEEvPT0_PT_PfS5_S5_S5_diiiiiiib,@function
_ZN5aiter24add_rmsnorm_quant_kernelIDF16_DB8_Li1024ELi8ELb1ELb1ELb0ELi1EEEvPT0_PT_PfS5_S5_S5_diiiiiiib: ; @_ZN5aiter24add_rmsnorm_quant_kernelIDF16_DB8_Li1024ELi8ELb1ELb1ELb0ELi1EEEvPT0_PT_PfS5_S5_S5_diiiiiiib
; %bb.0:
	s_mov_b32 s2, s15
	s_load_b256 s[12:19], s[0:1], 0x38
	s_mov_b32 s3, 0
	s_waitcnt lgkmcnt(0)
	s_ashr_i32 s5, s12, 31
	s_mov_b32 s4, s12
	s_delay_alu instid0(SALU_CYCLE_1) | instskip(NEXT) | instid1(VALU_DEP_1)
	v_cmp_ge_i64_e64 s4, s[2:3], s[4:5]
	s_and_b32 vcc_lo, exec_lo, s4
	s_cbranch_vccnz .LBB31_44
; %bb.1:
	s_clause 0x1
	s_load_b256 s[4:11], s[0:1], 0x0
	s_load_b256 s[20:27], s[0:1], 0x20
	s_ashr_i32 s1, s14, 31
	s_waitcnt lgkmcnt(0)
	s_mul_hi_u32 s26, s14, s2
	s_mul_i32 s1, s1, s2
	s_mul_i32 s0, s14, s2
	s_add_i32 s1, s26, s1
	s_mul_hi_u32 s26, s15, s2
	s_lshl_b64 s[0:1], s[0:1], 1
	v_lshlrev_b32_e32 v20, 4, v0
	s_mul_i32 s14, s15, s2
	s_mov_b32 s31, -1
	s_delay_alu instid0(SALU_CYCLE_1)
	s_mov_b32 s39, s31
	s_add_u32 s28, s10, s0
	s_addc_u32 s0, s11, s1
	s_add_i32 s1, s13, 1
	s_ashr_i32 s10, s15, 31
	s_lshr_b32 s11, s1, 31
	s_mul_i32 s10, s10, s2
	s_add_i32 s1, s1, s11
	s_and_b32 s29, s0, 0xffff
	s_lshl_b32 s0, s1, 1
	s_add_i32 s15, s26, s10
	s_and_b32 s30, s0, -4
	s_lshl_b64 s[0:1], s[14:15], 1
	s_and_b32 s37, s23, 0xffff
	buffer_load_b128 v[9:12], v20, s[28:31], 0 offen glc slc
	s_add_u32 s28, s20, s0
	s_addc_u32 s0, s21, s1
	s_mov_b32 s36, s22
	s_and_b32 s29, s0, 0xffff
	s_mov_b32 s38, s30
	buffer_load_b128 v[13:16], v20, s[28:31], 0 offen glc slc
	s_ashr_i32 s0, s16, 31
	s_mul_hi_u32 s1, s16, s2
	s_mul_i32 s10, s0, s2
	s_mul_i32 s0, s16, s2
	s_add_i32 s1, s1, s10
	s_delay_alu instid0(SALU_CYCLE_1) | instskip(NEXT) | instid1(SALU_CYCLE_1)
	s_lshl_b64 s[0:1], s[0:1], 1
	s_add_u32 s28, s6, s0
	s_addc_u32 s0, s7, s1
	s_mov_b32 s1, 0x76543210
	s_and_b32 s29, s0, 0xffff
	s_waitcnt vmcnt(1)
	v_lshrrev_b32_e32 v5, 16, v9
	v_cvt_f32_f16_e32 v7, v9
	v_cvt_f32_f16_e32 v9, v10
	s_delay_alu instid0(VALU_DEP_3)
	v_cvt_f32_f16_e32 v5, v5
	s_waitcnt vmcnt(0)
	v_lshrrev_b32_e32 v6, 16, v13
	v_cvt_f32_f16_e32 v8, v13
	v_lshrrev_b32_e32 v13, 16, v14
	v_cvt_f32_f16_e32 v17, v15
	;; [unrolled: 2-line block ×3, first 2 shown]
	v_add_f32_e32 v8, v7, v8
	v_cvt_f32_f16_e32 v13, v13
	s_delay_alu instid0(VALU_DEP_4) | instskip(NEXT) | instid1(VALU_DEP_4)
	v_cvt_f32_f16_e32 v15, v15
	v_add_f32_e32 v6, v5, v6
	v_lshrrev_b32_e32 v5, 16, v10
	v_cvt_f32_f16_e32 v10, v14
	v_cvt_f32_f16_e32 v14, v11
	v_lshrrev_b32_e32 v11, 16, v11
	v_mul_f32_e32 v7, v6, v6
	buffer_load_b128 v[1:4], v20, s[36:39], 0 offen
	v_cvt_f32_f16_e32 v5, v5
	v_add_f32_e32 v9, v9, v10
	v_fmac_f32_e32 v7, v8, v8
	v_cvt_f16_f32_e32 v24, v6
	s_delay_alu instid0(VALU_DEP_4)
	v_add_f32_e32 v10, v5, v13
	v_cvt_f32_f16_e32 v13, v11
	v_add_f32_e32 v11, v14, v17
	v_lshrrev_b32_e32 v14, 16, v12
	v_cvt_f32_f16_e32 v17, v16
	v_lshrrev_b32_e32 v16, 16, v16
	v_cvt_f32_f16_e32 v5, v12
	v_add_f32_e32 v12, v13, v15
	v_cvt_f32_f16_e32 v14, v14
	s_delay_alu instid0(VALU_DEP_4)
	v_cvt_f32_f16_e32 v15, v16
	v_fmac_f32_e32 v7, v9, v9
	v_add_f32_e32 v13, v5, v17
	v_cvt_f16_f32_e32 v16, v8
	v_cvt_f16_f32_e32 v17, v11
	v_add_f32_e32 v14, v14, v15
	v_fmac_f32_e32 v7, v10, v10
	v_cvt_f16_f32_e32 v18, v13
	v_cvt_f16_f32_e32 v22, v12
	v_pack_b32_f16 v16, v16, v24
	v_cvt_f16_f32_e32 v19, v14
	v_fmac_f32_e32 v7, v11, v11
	v_cvt_f16_f32_e32 v23, v10
	s_delay_alu instid0(VALU_DEP_3) | instskip(NEXT) | instid1(VALU_DEP_3)
	v_pack_b32_f16 v19, v18, v19
	v_fmac_f32_e32 v7, v12, v12
	v_pack_b32_f16 v18, v17, v22
	s_delay_alu instid0(VALU_DEP_2) | instskip(NEXT) | instid1(VALU_DEP_1)
	v_fmac_f32_e32 v7, v13, v13
	v_fmac_f32_e32 v7, v14, v14
	s_delay_alu instid0(VALU_DEP_1) | instskip(NEXT) | instid1(VALU_DEP_1)
	v_mov_b32_dpp v5, v7 quad_perm:[1,0,3,2] row_mask:0xf bank_mask:0xf
	v_add_f32_e32 v7, v7, v5
	v_and_b32_e32 v5, 31, v0
	s_delay_alu instid0(VALU_DEP_2) | instskip(NEXT) | instid1(VALU_DEP_2)
	v_mov_b32_dpp v15, v7 quad_perm:[2,3,0,1] row_mask:0xf bank_mask:0xf
	v_cmp_eq_u32_e64 s0, 31, v5
	s_delay_alu instid0(VALU_DEP_2) | instskip(SKIP_1) | instid1(VALU_DEP_2)
	v_add_f32_e32 v7, v7, v15
	v_cvt_f16_f32_e32 v15, v9
	v_mov_b32_dpp v21, v7 row_xmask:7 row_mask:0xf bank_mask:0xf
	s_delay_alu instid0(VALU_DEP_2) | instskip(NEXT) | instid1(VALU_DEP_2)
	v_pack_b32_f16 v17, v15, v23
	v_add_f32_e32 v7, v7, v21
	buffer_store_b128 v[16:19], v20, s[28:31], 0 offen glc slc
	;;#ASMSTART
	s_nop 0
	;;#ASMEND
	v_mov_b32_dpp v15, v7 row_xmask:15 row_mask:0xf bank_mask:0xf
	s_and_saveexec_b32 s6, s0
	s_cbranch_execz .LBB31_3
; %bb.2:
	s_delay_alu instid0(VALU_DEP_1) | instskip(SKIP_1) | instid1(VALU_DEP_2)
	v_add_f32_e32 v7, v7, v15
	v_lshrrev_b32_e32 v15, 3, v0
	v_permlanex16_b32 v16, v7, s1, 0xfedcba98 op_sel:[1,1]
	s_delay_alu instid0(VALU_DEP_2) | instskip(NEXT) | instid1(VALU_DEP_2)
	v_and_b32_e32 v15, 0x7c, v15
	v_add_f32_e32 v7, v7, v16
	ds_store_b32 v15, v7 offset:128
.LBB31_3:
	s_or_b32 exec_lo, exec_lo, s6
	v_lshlrev_b32_e32 v7, 2, v5
	s_waitcnt vmcnt(0) lgkmcnt(0)
	s_waitcnt_vscnt null, 0x0
	s_barrier
	buffer_gl0_inv
	v_cvt_f32_i32_e32 v16, s13
	ds_load_b32 v5, v7 offset:128
	s_cmp_lg_u32 s18, 0
	s_waitcnt lgkmcnt(0)
	v_mov_b32_dpp v15, v5 quad_perm:[1,0,3,2] row_mask:0xf bank_mask:0xf
	s_delay_alu instid0(VALU_DEP_1) | instskip(NEXT) | instid1(VALU_DEP_1)
	v_add_f32_e32 v5, v5, v15
	v_mov_b32_dpp v15, v5 quad_perm:[2,3,0,1] row_mask:0xf bank_mask:0xf
	s_delay_alu instid0(VALU_DEP_1) | instskip(NEXT) | instid1(VALU_DEP_1)
	v_add_f32_e32 v5, v5, v15
	v_mov_b32_dpp v15, v5 row_xmask:7 row_mask:0xf bank_mask:0xf
	s_delay_alu instid0(VALU_DEP_1) | instskip(NEXT) | instid1(VALU_DEP_1)
	v_add_f32_e32 v5, v5, v15
	v_mov_b32_dpp v15, v5 row_xmask:15 row_mask:0xf bank_mask:0xf
	s_delay_alu instid0(VALU_DEP_1) | instskip(NEXT) | instid1(VALU_DEP_1)
	v_add_f32_e32 v5, v5, v15
	v_permlanex16_b32 v15, v5, s1, 0xfedcba98 op_sel:[1,1]
	s_delay_alu instid0(VALU_DEP_1) | instskip(NEXT) | instid1(VALU_DEP_1)
	v_add_f32_e32 v5, v5, v15
	v_div_scale_f32 v15, null, v16, v16, v5
	v_div_scale_f32 v19, vcc_lo, v5, v16, v5
	s_delay_alu instid0(VALU_DEP_2) | instskip(SKIP_2) | instid1(VALU_DEP_1)
	v_rcp_f32_e32 v17, v15
	s_waitcnt_depctr 0xfff
	v_fma_f32 v18, -v15, v17, 1.0
	v_fmac_f32_e32 v17, v18, v17
	s_delay_alu instid0(VALU_DEP_1) | instskip(NEXT) | instid1(VALU_DEP_1)
	v_mul_f32_e32 v18, v19, v17
	v_fma_f32 v20, -v15, v18, v19
	s_delay_alu instid0(VALU_DEP_1) | instskip(SKIP_2) | instid1(VALU_DEP_3)
	v_fmac_f32_e32 v18, v20, v17
	v_cvt_f32_f16_e32 v20, v4
	v_lshrrev_b32_e32 v4, 16, v4
	v_fma_f32 v15, -v15, v18, v19
	s_delay_alu instid0(VALU_DEP_1)
	v_div_fmas_f32 v15, v15, v17, v18
	v_cvt_f32_f16_e32 v18, v3
	v_lshrrev_b32_e32 v3, 16, v3
	v_cvt_f32_f16_e32 v17, v2
	v_lshrrev_b32_e32 v2, 16, v2
	v_div_fixup_f32 v5, v15, v16, v5
	s_delay_alu instid0(VALU_DEP_4) | instskip(NEXT) | instid1(VALU_DEP_3)
	v_cvt_f32_f16_e32 v3, v3
	v_cvt_f32_f16_e32 v2, v2
	s_delay_alu instid0(VALU_DEP_3) | instskip(NEXT) | instid1(VALU_DEP_1)
	v_cvt_f64_f32_e32 v[15:16], v5
	v_add_f64 v[15:16], v[15:16], s[24:25]
	s_delay_alu instid0(VALU_DEP_1) | instskip(SKIP_2) | instid1(VALU_DEP_1)
	v_cvt_f32_f64_e32 v5, v[15:16]
	v_cvt_f32_f16_e32 v16, v1
	v_lshrrev_b32_e32 v1, 16, v1
	v_cvt_f32_f16_e32 v1, v1
	s_delay_alu instid0(VALU_DEP_4) | instskip(SKIP_1) | instid1(VALU_DEP_2)
	v_mul_f32_e32 v15, 0x4b800000, v5
	v_cmp_gt_f32_e32 vcc_lo, 0x800000, v5
	v_cndmask_b32_e32 v5, v5, v15, vcc_lo
	s_delay_alu instid0(VALU_DEP_1) | instskip(SKIP_2) | instid1(VALU_DEP_1)
	v_rsq_f32_e32 v15, v5
	s_waitcnt_depctr 0xfff
	v_mul_f32_e32 v19, 0x45800000, v15
	v_cndmask_b32_e32 v15, v15, v19, vcc_lo
	v_mov_b32_e32 v21, 0x2edbe6ff
	v_lshlrev_b32_e32 v5, 3, v0
	v_cvt_f32_f16_e32 v19, v4
	s_delay_alu instid0(VALU_DEP_4) | instskip(SKIP_3) | instid1(VALU_DEP_4)
	v_mul_f32_e32 v6, v6, v15
	v_mul_f32_e32 v10, v10, v15
	;; [unrolled: 1-line block ×5, first 2 shown]
	s_delay_alu instid0(VALU_DEP_4) | instskip(NEXT) | instid1(VALU_DEP_4)
	v_mul_f32_e32 v10, v10, v2
	v_mul_f32_e32 v6, v23, v3
	s_delay_alu instid0(VALU_DEP_3) | instskip(NEXT) | instid1(VALU_DEP_3)
	v_dual_mul_f32 v3, v14, v19 :: v_dual_and_b32 v2, 0x7fffffff, v12
	v_and_b32_e32 v14, 0x7fffffff, v10
	v_mul_f32_e32 v4, v8, v15
	v_mul_f32_e32 v8, v9, v15
	;; [unrolled: 1-line block ×4, first 2 shown]
	s_delay_alu instid0(VALU_DEP_4) | instskip(NEXT) | instid1(VALU_DEP_3)
	v_mul_f32_e32 v11, v4, v16
	v_dual_mul_f32 v9, v8, v17 :: v_dual_mul_f32 v8, v22, v18
	s_delay_alu instid0(VALU_DEP_3) | instskip(SKIP_1) | instid1(VALU_DEP_4)
	v_mul_f32_e32 v4, v13, v20
	v_and_b32_e32 v16, 0x7fffffff, v6
	v_and_b32_e32 v1, 0x7fffffff, v11
	;;#ASMSTART
	v_max3_f32 v1, v21, v1, v2

	;;#ASMEND
	v_and_b32_e32 v13, 0x7fffffff, v9
	;;#ASMSTART
	v_max3_f32 v1, v1, v13, v14

	;;#ASMEND
	v_and_b32_e32 v15, 0x7fffffff, v8
	v_and_b32_e32 v17, 0x7fffffff, v4
	;; [unrolled: 1-line block ×3, first 2 shown]
	;;#ASMSTART
	v_max3_f32 v1, v1, v15, v16

	;;#ASMEND
	;;#ASMSTART
	v_max3_f32 v13, v1, v17, v18

	;;#ASMEND
	s_cbranch_scc0 .LBB31_10
; %bb.4:
	s_ashr_i32 s11, s18, 31
	s_delay_alu instid0(SALU_CYCLE_1) | instskip(NEXT) | instid1(SALU_CYCLE_1)
	s_lshr_b32 s1, s11, 29
	s_add_i32 s1, s18, s1
	s_delay_alu instid0(SALU_CYCLE_1) | instskip(NEXT) | instid1(SALU_CYCLE_1)
	s_ashr_i32 s1, s1, 3
	s_cmp_lt_i32 s1, 8
	s_cbranch_scc1 .LBB31_11
; %bb.5:
	s_cmp_lt_i32 s1, 16
	s_cbranch_scc1 .LBB31_12
; %bb.6:
	;; [unrolled: 3-line block ×3, first 2 shown]
	v_mov_b32_e32 v1, v13
	s_cmp_eq_u32 s1, 32
	s_cbranch_scc0 .LBB31_9
; %bb.8:
	s_delay_alu instid0(VALU_DEP_1) | instskip(SKIP_1) | instid1(VALU_DEP_1)
	v_mov_b32_dpp v1, v13 quad_perm:[1,0,3,2] row_mask:0xf bank_mask:0xf
	s_mov_b32 s6, 0x76543210
	v_cmp_gt_f32_e32 vcc_lo, v13, v1
	v_cndmask_b32_e32 v1, v1, v13, vcc_lo
	s_delay_alu instid0(VALU_DEP_1) | instskip(NEXT) | instid1(VALU_DEP_1)
	v_mov_b32_dpp v2, v1 quad_perm:[2,3,0,1] row_mask:0xf bank_mask:0xf
	v_cmp_gt_f32_e32 vcc_lo, v1, v2
	v_cndmask_b32_e32 v1, v2, v1, vcc_lo
	s_delay_alu instid0(VALU_DEP_1) | instskip(NEXT) | instid1(VALU_DEP_1)
	v_mov_b32_dpp v2, v1 row_xmask:7 row_mask:0xf bank_mask:0xf
	v_cmp_gt_f32_e32 vcc_lo, v1, v2
	v_cndmask_b32_e32 v1, v2, v1, vcc_lo
	s_delay_alu instid0(VALU_DEP_1) | instskip(NEXT) | instid1(VALU_DEP_1)
	v_mov_b32_dpp v2, v1 row_xmask:15 row_mask:0xf bank_mask:0xf
	v_cmp_gt_f32_e32 vcc_lo, v1, v2
	v_cndmask_b32_e32 v1, v2, v1, vcc_lo
	s_delay_alu instid0(VALU_DEP_1) | instskip(NEXT) | instid1(VALU_DEP_1)
	v_permlanex16_b32 v2, v1, s6, 0xfedcba98 op_sel:[1,1]
	v_cmp_gt_f32_e32 vcc_lo, v1, v2
	v_cndmask_b32_e32 v1, v2, v1, vcc_lo
.LBB31_9:
	s_mov_b32 s6, 0
	s_branch .LBB31_14
.LBB31_10:
	s_mov_b32 s1, 0
                                        ; implicit-def: $vgpr14
                                        ; implicit-def: $vgpr1_vgpr2
	s_and_b32 vcc_lo, exec_lo, s31
	s_cbranch_vccnz .LBB31_38
	s_branch .LBB31_41
.LBB31_11:
                                        ; implicit-def: $vgpr1
	s_branch .LBB31_21
.LBB31_12:
                                        ; implicit-def: $vgpr1
	s_branch .LBB31_18
.LBB31_13:
	s_mov_b32 s6, -1
                                        ; implicit-def: $vgpr1
.LBB31_14:
	s_delay_alu instid0(SALU_CYCLE_1)
	s_and_not1_b32 vcc_lo, exec_lo, s6
	s_cbranch_vccnz .LBB31_17
; %bb.15:
	v_mov_b32_e32 v1, v13
	s_cmp_eq_u32 s1, 16
	s_cbranch_scc0 .LBB31_17
; %bb.16:
	s_delay_alu instid0(VALU_DEP_1) | instskip(NEXT) | instid1(VALU_DEP_1)
	v_mov_b32_dpp v1, v13 quad_perm:[1,0,3,2] row_mask:0xf bank_mask:0xf
	v_cmp_gt_f32_e32 vcc_lo, v13, v1
	v_cndmask_b32_e32 v1, v1, v13, vcc_lo
	s_delay_alu instid0(VALU_DEP_1) | instskip(NEXT) | instid1(VALU_DEP_1)
	v_mov_b32_dpp v2, v1 quad_perm:[2,3,0,1] row_mask:0xf bank_mask:0xf
	v_cmp_gt_f32_e32 vcc_lo, v1, v2
	v_cndmask_b32_e32 v1, v2, v1, vcc_lo
	s_delay_alu instid0(VALU_DEP_1) | instskip(NEXT) | instid1(VALU_DEP_1)
	v_mov_b32_dpp v2, v1 row_half_mirror row_mask:0xf bank_mask:0xf
	v_cmp_gt_f32_e32 vcc_lo, v1, v2
	v_cndmask_b32_e32 v1, v2, v1, vcc_lo
	s_delay_alu instid0(VALU_DEP_1) | instskip(NEXT) | instid1(VALU_DEP_1)
	v_mov_b32_dpp v2, v1 row_mirror row_mask:0xf bank_mask:0xf
	v_cmp_gt_f32_e32 vcc_lo, v1, v2
	v_cndmask_b32_e32 v1, v2, v1, vcc_lo
.LBB31_17:
	s_cbranch_execnz .LBB31_20
.LBB31_18:
	v_mov_b32_e32 v1, v13
	s_cmp_eq_u32 s1, 8
	s_cbranch_scc0 .LBB31_20
; %bb.19:
	s_delay_alu instid0(VALU_DEP_1) | instskip(NEXT) | instid1(VALU_DEP_1)
	v_mov_b32_dpp v1, v13 quad_perm:[1,0,3,2] row_mask:0xf bank_mask:0xf
	v_cmp_gt_f32_e32 vcc_lo, v13, v1
	v_cndmask_b32_e32 v1, v1, v13, vcc_lo
	s_delay_alu instid0(VALU_DEP_1) | instskip(NEXT) | instid1(VALU_DEP_1)
	v_mov_b32_dpp v2, v1 quad_perm:[2,3,0,1] row_mask:0xf bank_mask:0xf
	v_cmp_gt_f32_e32 vcc_lo, v1, v2
	v_cndmask_b32_e32 v1, v2, v1, vcc_lo
	s_delay_alu instid0(VALU_DEP_1) | instskip(NEXT) | instid1(VALU_DEP_1)
	v_mov_b32_dpp v2, v1 row_half_mirror row_mask:0xf bank_mask:0xf
	v_cmp_gt_f32_e32 vcc_lo, v1, v2
	v_cndmask_b32_e32 v1, v2, v1, vcc_lo
.LBB31_20:
	s_cbranch_execnz .LBB31_28
.LBB31_21:
	s_cmp_lt_i32 s1, 4
	s_cbranch_scc1 .LBB31_24
; %bb.22:
	v_mov_b32_e32 v1, v13
	s_cmp_eq_u32 s1, 4
	s_cbranch_scc0 .LBB31_25
; %bb.23:
	s_delay_alu instid0(VALU_DEP_1) | instskip(NEXT) | instid1(VALU_DEP_1)
	v_mov_b32_dpp v1, v13 quad_perm:[1,0,3,2] row_mask:0xf bank_mask:0xf
	v_cmp_gt_f32_e32 vcc_lo, v13, v1
	v_cndmask_b32_e32 v1, v1, v13, vcc_lo
	s_delay_alu instid0(VALU_DEP_1) | instskip(NEXT) | instid1(VALU_DEP_1)
	v_mov_b32_dpp v2, v1 quad_perm:[2,3,0,1] row_mask:0xf bank_mask:0xf
	v_cmp_gt_f32_e32 vcc_lo, v1, v2
	v_cndmask_b32_e32 v1, v2, v1, vcc_lo
	s_cbranch_execz .LBB31_26
	s_branch .LBB31_28
.LBB31_24:
                                        ; implicit-def: $vgpr1
	s_branch .LBB31_26
.LBB31_25:
	s_cbranch_execnz .LBB31_28
.LBB31_26:
	v_mov_b32_e32 v1, v13
	s_cmp_lg_u32 s1, 2
	s_cbranch_scc1 .LBB31_28
; %bb.27:
	s_delay_alu instid0(VALU_DEP_1) | instskip(NEXT) | instid1(VALU_DEP_1)
	v_mov_b32_dpp v1, v13 quad_perm:[1,0,3,2] row_mask:0xf bank_mask:0xf
	v_cmp_gt_f32_e32 vcc_lo, v13, v1
	v_cndmask_b32_e32 v1, v1, v13, vcc_lo
.LBB31_28:
	v_cvt_f32_u32_e32 v2, s1
	s_sub_i32 s6, 0, s1
	s_mov_b32 s31, 0
	s_delay_alu instid0(VALU_DEP_1) | instskip(SKIP_2) | instid1(VALU_DEP_1)
	v_rcp_iflag_f32_e32 v2, v2
	s_waitcnt_depctr 0xfff
	v_mul_f32_e32 v2, 0x4f7ffffe, v2
	v_cvt_u32_f32_e32 v2, v2
	s_delay_alu instid0(VALU_DEP_1) | instskip(NEXT) | instid1(VALU_DEP_1)
	v_mul_lo_u32 v14, s6, v2
	v_mul_hi_u32 v14, v2, v14
	s_delay_alu instid0(VALU_DEP_1) | instskip(NEXT) | instid1(VALU_DEP_1)
	v_add_nc_u32_e32 v2, v2, v14
	v_mul_hi_u32 v2, v0, v2
	s_delay_alu instid0(VALU_DEP_1) | instskip(NEXT) | instid1(VALU_DEP_1)
	v_mul_lo_u32 v14, v2, s1
	v_sub_nc_u32_e32 v14, v0, v14
	s_delay_alu instid0(VALU_DEP_1) | instskip(SKIP_1) | instid1(VALU_DEP_2)
	v_subrev_nc_u32_e32 v16, s1, v14
	v_cmp_le_u32_e32 vcc_lo, s1, v14
	v_dual_cndmask_b32 v14, v14, v16 :: v_dual_add_nc_u32 v15, 1, v2
	s_delay_alu instid0(VALU_DEP_1) | instskip(NEXT) | instid1(VALU_DEP_2)
	v_cndmask_b32_e32 v2, v2, v15, vcc_lo
	v_cmp_le_u32_e32 vcc_lo, s1, v14
	s_delay_alu instid0(VALU_DEP_2) | instskip(NEXT) | instid1(VALU_DEP_1)
	v_dual_mul_f32 v14, 0x3b124925, v1 :: v_dual_add_nc_u32 v15, 1, v2
	v_cndmask_b32_e32 v15, v2, v15, vcc_lo
	v_cmp_gt_u32_e32 vcc_lo, s13, v5
	s_delay_alu instid0(VALU_DEP_2) | instskip(NEXT) | instid1(VALU_DEP_1)
	v_mul_lo_u32 v2, v15, s1
	v_sub_nc_u32_e32 v2, v0, v2
	s_delay_alu instid0(VALU_DEP_1) | instskip(NEXT) | instid1(VALU_DEP_1)
	v_cmp_eq_u32_e64 s1, 0, v2
                                        ; implicit-def: $vgpr1_vgpr2
	s_and_b32 s6, s1, vcc_lo
	s_mov_b32 s1, 0
	s_and_saveexec_b32 s7, s6
	s_delay_alu instid0(SALU_CYCLE_1)
	s_xor_b32 s16, exec_lo, s7
	s_cbranch_execz .LBB31_37
; %bb.29:
	s_bitcmp0_b32 s19, 0
	s_mov_b32 s10, 0
	s_cbranch_scc0 .LBB31_34
; %bb.30:
	s_ashr_i32 s1, s13, 31
	s_mul_hi_u32 s7, s13, s2
	s_mul_i32 s1, s1, s2
	s_mul_i32 s6, s13, s2
	s_add_i32 s7, s7, s1
	s_mov_b32 s19, s11
	s_delay_alu instid0(SALU_CYCLE_1) | instskip(NEXT) | instid1(SALU_CYCLE_1)
	s_or_b64 s[14:15], s[6:7], s[18:19]
	s_mov_b32 s11, s15
	s_delay_alu instid0(SALU_CYCLE_1)
	s_cmp_lg_u64 s[10:11], 0
	s_cbranch_scc0 .LBB31_45
; %bb.31:
	s_add_u32 s14, s18, s19
	s_mov_b32 s10, s19
	s_mov_b32 s11, s19
	s_addc_u32 s15, s19, s19
	s_delay_alu instid0(SALU_CYCLE_1) | instskip(NEXT) | instid1(SALU_CYCLE_1)
	s_xor_b64 s[14:15], s[14:15], s[10:11]
	v_cvt_f32_u32_e32 v1, s14
	v_cvt_f32_u32_e32 v2, s15
	s_sub_u32 s20, 0, s14
	s_subb_u32 s21, 0, s15
	s_delay_alu instid0(VALU_DEP_1) | instskip(NEXT) | instid1(VALU_DEP_1)
	v_fmamk_f32 v1, v2, 0x4f800000, v1
	v_rcp_f32_e32 v1, v1
	s_waitcnt_depctr 0xfff
	v_mul_f32_e32 v1, 0x5f7ffffc, v1
	s_delay_alu instid0(VALU_DEP_1) | instskip(NEXT) | instid1(VALU_DEP_1)
	v_mul_f32_e32 v2, 0x2f800000, v1
	v_trunc_f32_e32 v2, v2
	s_delay_alu instid0(VALU_DEP_1) | instskip(SKIP_1) | instid1(VALU_DEP_2)
	v_fmamk_f32 v1, v2, 0xcf800000, v1
	v_cvt_u32_f32_e32 v2, v2
	v_cvt_u32_f32_e32 v1, v1
	s_delay_alu instid0(VALU_DEP_2) | instskip(NEXT) | instid1(VALU_DEP_2)
	v_readfirstlane_b32 s1, v2
	v_readfirstlane_b32 s19, v1
	s_delay_alu instid0(VALU_DEP_2) | instskip(NEXT) | instid1(VALU_DEP_1)
	s_mul_i32 s22, s20, s1
	s_mul_hi_u32 s24, s20, s19
	s_mul_i32 s23, s21, s19
	s_add_i32 s22, s24, s22
	s_mul_i32 s25, s20, s19
	s_add_i32 s22, s22, s23
	s_mul_hi_u32 s24, s19, s25
	s_mul_hi_u32 s26, s1, s25
	s_mul_i32 s23, s1, s25
	s_mul_hi_u32 s25, s19, s22
	s_mul_i32 s19, s19, s22
	s_mul_hi_u32 s27, s1, s22
	s_add_u32 s19, s24, s19
	s_addc_u32 s24, 0, s25
	s_add_u32 s19, s19, s23
	s_mul_i32 s22, s1, s22
	s_addc_u32 s19, s24, s26
	s_addc_u32 s23, s27, 0
	s_add_u32 s19, s19, s22
	s_addc_u32 s22, 0, s23
	v_add_co_u32 v1, s19, v1, s19
	s_delay_alu instid0(VALU_DEP_1) | instskip(SKIP_1) | instid1(VALU_DEP_1)
	s_cmp_lg_u32 s19, 0
	s_addc_u32 s1, s1, s22
	v_readfirstlane_b32 s19, v1
	s_mul_i32 s22, s20, s1
	s_delay_alu instid0(VALU_DEP_1)
	s_mul_hi_u32 s23, s20, s19
	s_mul_i32 s21, s21, s19
	s_add_i32 s22, s23, s22
	s_mul_i32 s20, s20, s19
	s_add_i32 s22, s22, s21
	s_mul_hi_u32 s23, s1, s20
	s_mul_i32 s24, s1, s20
	s_mul_hi_u32 s20, s19, s20
	s_mul_hi_u32 s25, s19, s22
	s_mul_i32 s19, s19, s22
	s_mul_hi_u32 s21, s1, s22
	s_add_u32 s19, s20, s19
	s_addc_u32 s20, 0, s25
	s_add_u32 s19, s19, s24
	s_mul_i32 s22, s1, s22
	s_addc_u32 s19, s20, s23
	s_addc_u32 s20, s21, 0
	s_add_u32 s19, s19, s22
	s_addc_u32 s20, 0, s20
	v_add_co_u32 v1, s19, v1, s19
	s_delay_alu instid0(VALU_DEP_1) | instskip(SKIP_2) | instid1(SALU_CYCLE_1)
	s_cmp_lg_u32 s19, 0
	s_addc_u32 s1, s1, s20
	s_ashr_i32 s20, s7, 31
	s_add_u32 s22, s6, s20
	s_addc_u32 s23, s7, s20
	v_readfirstlane_b32 s7, v1
	s_mov_b32 s21, s20
	s_delay_alu instid0(SALU_CYCLE_1) | instskip(NEXT) | instid1(SALU_CYCLE_1)
	s_xor_b64 s[22:23], s[22:23], s[20:21]
	s_mul_i32 s24, s22, s1
	s_delay_alu instid0(VALU_DEP_1)
	s_mul_hi_u32 s25, s22, s7
	s_mul_hi_u32 s19, s22, s1
	s_mul_hi_u32 s27, s23, s7
	s_mul_i32 s7, s23, s7
	s_add_u32 s24, s25, s24
	s_addc_u32 s19, 0, s19
	s_mul_hi_u32 s26, s23, s1
	s_add_u32 s7, s24, s7
	s_mul_i32 s1, s23, s1
	s_addc_u32 s7, s19, s27
	s_addc_u32 s19, s26, 0
	s_add_u32 s7, s7, s1
	s_addc_u32 s19, 0, s19
	s_mul_i32 s26, s14, s7
	s_mul_hi_u32 s1, s14, s7
	s_mul_i32 s25, s14, s19
	v_sub_co_u32 v1, s22, s22, s26
	s_mul_i32 s24, s15, s7
	s_add_i32 s1, s1, s25
	s_delay_alu instid0(SALU_CYCLE_1) | instskip(NEXT) | instid1(VALU_DEP_1)
	s_add_i32 s1, s1, s24
	v_sub_co_u32 v2, s25, v1, s14
	s_sub_i32 s24, s23, s1
	s_cmp_lg_u32 s22, 0
	s_subb_u32 s24, s24, s15
	s_cmp_lg_u32 s25, 0
	v_cmp_le_u32_e32 vcc_lo, s14, v2
	s_subb_u32 s24, s24, 0
	s_delay_alu instid0(SALU_CYCLE_1)
	s_cmp_ge_u32 s24, s15
	v_cndmask_b32_e64 v2, 0, -1, vcc_lo
	s_cselect_b32 s25, -1, 0
	s_cmp_eq_u32 s24, s15
	s_cselect_b32 vcc_lo, -1, 0
	s_add_u32 s24, s7, 1
	v_cndmask_b32_e32 v2, s25, v2, vcc_lo
	s_addc_u32 s25, s19, 0
	s_add_u32 s26, s7, 2
	s_addc_u32 s27, s19, 0
	s_cmp_lg_u32 s22, 0
	v_cmp_le_u32_e32 vcc_lo, s14, v1
	s_subb_u32 s1, s23, s1
	v_mov_b32_e32 v16, s26
	s_cmp_ge_u32 s1, s15
	v_cndmask_b32_e64 v1, 0, -1, vcc_lo
	s_cselect_b32 s14, -1, 0
	s_cmp_eq_u32 s1, s15
	v_cmp_ne_u32_e32 vcc_lo, 0, v2
	v_mov_b32_e32 v2, s27
	s_cselect_b32 s1, -1, 0
	s_xor_b64 s[10:11], s[20:21], s[10:11]
	v_cndmask_b32_e64 v1, s14, v1, s1
	v_cndmask_b32_e32 v16, s24, v16, vcc_lo
	v_cndmask_b32_e32 v2, s25, v2, vcc_lo
	s_delay_alu instid0(VALU_DEP_3) | instskip(NEXT) | instid1(VALU_DEP_2)
	v_cmp_ne_u32_e32 vcc_lo, 0, v1
	v_cndmask_b32_e32 v1, s19, v2, vcc_lo
	s_delay_alu instid0(VALU_DEP_4) | instskip(NEXT) | instid1(VALU_DEP_2)
	v_cndmask_b32_e32 v2, s7, v16, vcc_lo
	v_xor_b32_e32 v16, s11, v1
	s_delay_alu instid0(VALU_DEP_2) | instskip(NEXT) | instid1(VALU_DEP_1)
	v_xor_b32_e32 v2, s10, v2
	v_sub_co_u32 v1, vcc_lo, v2, s10
	s_delay_alu instid0(VALU_DEP_3)
	v_subrev_co_ci_u32_e32 v2, vcc_lo, s11, v16, vcc_lo
	s_cbranch_execnz .LBB31_33
.LBB31_32:
	v_cvt_f32_u32_e32 v1, s18
	s_sub_i32 s7, 0, s18
	s_delay_alu instid0(VALU_DEP_1) | instskip(SKIP_2) | instid1(VALU_DEP_1)
	v_rcp_iflag_f32_e32 v1, v1
	s_waitcnt_depctr 0xfff
	v_mul_f32_e32 v1, 0x4f7ffffe, v1
	v_cvt_u32_f32_e32 v1, v1
	s_delay_alu instid0(VALU_DEP_1) | instskip(NEXT) | instid1(VALU_DEP_1)
	v_readfirstlane_b32 s1, v1
	s_mul_i32 s7, s7, s1
	s_delay_alu instid0(SALU_CYCLE_1) | instskip(NEXT) | instid1(SALU_CYCLE_1)
	s_mul_hi_u32 s7, s1, s7
	s_add_i32 s1, s1, s7
	s_delay_alu instid0(SALU_CYCLE_1) | instskip(NEXT) | instid1(SALU_CYCLE_1)
	s_mul_hi_u32 s1, s6, s1
	s_mul_i32 s7, s1, s18
	s_delay_alu instid0(SALU_CYCLE_1)
	s_sub_i32 s6, s6, s7
	s_add_i32 s7, s1, 1
	s_sub_i32 s10, s6, s18
	s_cmp_ge_u32 s6, s18
	s_cselect_b32 s1, s7, s1
	s_cselect_b32 s6, s10, s6
	s_add_i32 s10, s1, 1
	s_cmp_ge_u32 s6, s18
	s_mov_b32 s7, 0
	s_cselect_b32 s6, s10, s1
	s_delay_alu instid0(SALU_CYCLE_1)
	v_dual_mov_b32 v1, s6 :: v_dual_mov_b32 v2, s7
.LBB31_33:
	s_delay_alu instid0(VALU_DEP_1) | instskip(NEXT) | instid1(VALU_DEP_2)
	v_add_co_u32 v1, vcc_lo, v1, v15
	v_add_co_ci_u32_e32 v2, vcc_lo, 0, v2, vcc_lo
	s_branch .LBB31_36
.LBB31_34:
                                        ; implicit-def: $vgpr1_vgpr2
	s_cbranch_execz .LBB31_36
; %bb.35:
	v_mul_lo_u32 v1, v15, s12
	s_delay_alu instid0(VALU_DEP_1) | instskip(SKIP_1) | instid1(VALU_DEP_2)
	v_ashrrev_i32_e32 v2, 31, v1
	v_add_co_u32 v1, vcc_lo, v1, s2
	v_add_co_ci_u32_e32 v2, vcc_lo, 0, v2, vcc_lo
.LBB31_36:
	s_mov_b32 s1, exec_lo
.LBB31_37:
	s_or_b32 exec_lo, exec_lo, s16
	s_delay_alu instid0(SALU_CYCLE_1)
	s_and_b32 vcc_lo, exec_lo, s31
	s_cbranch_vccz .LBB31_41
.LBB31_38:
	v_mov_b32_dpp v1, v13 quad_perm:[1,0,3,2] row_mask:0xf bank_mask:0xf
	s_mov_b32 s1, 0x76543210
	s_delay_alu instid0(VALU_DEP_1) | instskip(SKIP_1) | instid1(VALU_DEP_1)
	v_cmp_gt_f32_e32 vcc_lo, v13, v1
	v_cndmask_b32_e32 v1, v1, v13, vcc_lo
	v_mov_b32_dpp v2, v1 quad_perm:[2,3,0,1] row_mask:0xf bank_mask:0xf
	s_delay_alu instid0(VALU_DEP_1) | instskip(SKIP_1) | instid1(VALU_DEP_1)
	v_cmp_gt_f32_e32 vcc_lo, v1, v2
	v_cndmask_b32_e32 v1, v2, v1, vcc_lo
	v_mov_b32_dpp v2, v1 row_xmask:7 row_mask:0xf bank_mask:0xf
	s_delay_alu instid0(VALU_DEP_1) | instskip(SKIP_1) | instid1(VALU_DEP_1)
	v_cmp_gt_f32_e32 vcc_lo, v1, v2
	v_cndmask_b32_e32 v1, v2, v1, vcc_lo
	v_mov_b32_dpp v2, v1 row_xmask:15 row_mask:0xf bank_mask:0xf
	s_delay_alu instid0(VALU_DEP_1)
	v_cmp_gt_f32_e32 vcc_lo, v1, v2
	s_and_saveexec_b32 s6, s0
	s_cbranch_execz .LBB31_40
; %bb.39:
	v_cndmask_b32_e32 v1, v2, v1, vcc_lo
	v_lshrrev_b32_e32 v2, 3, v0
	s_delay_alu instid0(VALU_DEP_1) | instskip(NEXT) | instid1(VALU_DEP_3)
	v_and_b32_e32 v2, 0x7c, v2
	v_permlanex16_b32 v13, v1, s1, 0xfedcba98 op_sel:[1,1]
	s_delay_alu instid0(VALU_DEP_1)
	v_cmp_gt_f32_e32 vcc_lo, v1, v13
	v_cndmask_b32_e32 v1, v13, v1, vcc_lo
	ds_store_b32 v2, v1
.LBB31_40:
	s_or_b32 exec_lo, exec_lo, s6
	s_waitcnt lgkmcnt(0)
	s_barrier
	buffer_gl0_inv
	ds_load_b32 v1, v7
	s_waitcnt lgkmcnt(0)
	v_mov_b32_dpp v2, v1 quad_perm:[1,0,3,2] row_mask:0xf bank_mask:0xf
	s_delay_alu instid0(VALU_DEP_1) | instskip(SKIP_1) | instid1(VALU_DEP_1)
	v_cmp_gt_f32_e32 vcc_lo, v1, v2
	v_cndmask_b32_e32 v1, v2, v1, vcc_lo
	v_mov_b32_dpp v2, v1 quad_perm:[2,3,0,1] row_mask:0xf bank_mask:0xf
	s_delay_alu instid0(VALU_DEP_1) | instskip(SKIP_1) | instid1(VALU_DEP_1)
	v_cmp_gt_f32_e32 vcc_lo, v1, v2
	v_cndmask_b32_e32 v1, v2, v1, vcc_lo
	v_mov_b32_dpp v2, v1 row_xmask:7 row_mask:0xf bank_mask:0xf
	s_delay_alu instid0(VALU_DEP_1) | instskip(SKIP_1) | instid1(VALU_DEP_1)
	v_cmp_gt_f32_e32 vcc_lo, v1, v2
	v_cndmask_b32_e32 v1, v2, v1, vcc_lo
	v_mov_b32_dpp v2, v1 row_xmask:15 row_mask:0xf bank_mask:0xf
	s_delay_alu instid0(VALU_DEP_1) | instskip(SKIP_1) | instid1(VALU_DEP_1)
	v_cmp_gt_f32_e32 vcc_lo, v1, v2
	v_cndmask_b32_e32 v1, v2, v1, vcc_lo
	v_permlanex16_b32 v2, v1, s1, 0xfedcba98 op_sel:[1,1]
	v_cmp_eq_u32_e64 s1, 0, v0
	s_delay_alu instid0(VALU_DEP_2) | instskip(SKIP_1) | instid1(VALU_DEP_1)
	v_cmp_gt_f32_e32 vcc_lo, v1, v2
	v_cndmask_b32_e32 v1, v2, v1, vcc_lo
	v_dual_mul_f32 v14, 0x3b124925, v1 :: v_dual_mov_b32 v1, s2
	v_mov_b32_e32 v2, s3
.LBB31_41:
	s_and_saveexec_b32 s0, s1
	s_cbranch_execz .LBB31_43
; %bb.42:
	s_delay_alu instid0(VALU_DEP_1) | instskip(NEXT) | instid1(VALU_DEP_1)
	v_lshlrev_b64 v[0:1], 2, v[1:2]
	v_add_co_u32 v0, vcc_lo, s8, v0
	s_delay_alu instid0(VALU_DEP_2)
	v_add_co_ci_u32_e32 v1, vcc_lo, s9, v1, vcc_lo
	global_store_b32 v[0:1], v14, off
.LBB31_43:
	s_or_b32 exec_lo, exec_lo, s0
	;;#ASMSTART
	v_rcp_f32 v0, v14
	;;#ASMEND
	v_mul_f32_e32 v1, v11, v0
	v_dual_mul_f32 v2, v12, v0 :: v_dual_mov_b32 v7, 0xc3e00000
	v_dual_mov_b32 v11, 0x43e00000 :: v_dual_mul_f32 v10, v10, v0
	v_mul_f32_e32 v9, v9, v0
	;;#ASMSTART
	v_med3_f32 v1, v1, v7, v11
v_med3_f32 v2, v2, v7, v11
v_cvt_pk_fp8_f32 v12, v1, v2
	;;#ASMEND
	;;#ASMSTART
	v_med3_f32 v9, v9, v7, v11
v_med3_f32 v10, v10, v7, v11
v_cvt_pk_fp8_f32 v1, v9, v10
	;;#ASMEND
	v_perm_b32 v2, v1, v12, 0x5040100
	v_dual_mul_f32 v8, v8, v0 :: v_dual_and_b32 v1, 0xffffff00, v1
	v_mul_f32_e32 v6, v6, v0
	s_add_i32 s0, s13, 3
	s_delay_alu instid0(VALU_DEP_3)
	v_lshrrev_b32_e32 v9, 16, v2
	s_ashr_i32 s7, s0, 31
	s_ashr_i32 s1, s17, 31
	s_lshr_b32 s7, s7, 30
	s_mul_hi_u32 s3, s17, s2
	v_and_b32_e32 v9, 0xff, v9
	s_add_i32 s0, s0, s7
	s_mul_i32 s1, s1, s2
	s_mul_i32 s6, s17, s2
	s_and_b32 s2, s0, -4
	v_or_b32_e32 v1, v9, v1
	v_mul_f32_e32 v4, v4, v0
	v_mul_f32_e32 v0, v3, v0
	;;#ASMSTART
	v_med3_f32 v8, v8, v7, v11
v_med3_f32 v6, v6, v7, v11
v_cvt_pk_fp8_f32 v3, v8, v6
	;;#ASMEND
	s_add_i32 s3, s3, s1
	v_lshlrev_b32_e32 v1, 16, v1
	;;#ASMSTART
	v_med3_f32 v4, v4, v7, v11
v_med3_f32 v0, v0, v7, v11
v_cvt_pk_fp8_f32 v6, v4, v0
	;;#ASMEND
	v_lshlrev_b32_e32 v4, 16, v6
	s_add_u32 s0, s4, s6
	s_addc_u32 s1, s5, s3
	v_and_or_b32 v0, 0xffff, v2, v1
	s_and_b32 s1, s1, 0xffff
	v_and_or_b32 v1, 0xffff, v3, v4
	s_mov_b32 s3, -1
	buffer_store_b64 v[0:1], v5, s[0:3], 0 offen
	;;#ASMSTART
	s_nop 0
	;;#ASMEND
.LBB31_44:
	s_nop 0
	s_sendmsg sendmsg(MSG_DEALLOC_VGPRS)
	s_endpgm
.LBB31_45:
                                        ; implicit-def: $vgpr1_vgpr2
	s_branch .LBB31_32
	.section	.rodata,"a",@progbits
	.p2align	6, 0x0
	.amdhsa_kernel _ZN5aiter24add_rmsnorm_quant_kernelIDF16_DB8_Li1024ELi8ELb1ELb1ELb0ELi1EEEvPT0_PT_PfS5_S5_S5_diiiiiiib
		.amdhsa_group_segment_fixed_size 256
		.amdhsa_private_segment_fixed_size 0
		.amdhsa_kernarg_size 88
		.amdhsa_user_sgpr_count 15
		.amdhsa_user_sgpr_dispatch_ptr 0
		.amdhsa_user_sgpr_queue_ptr 0
		.amdhsa_user_sgpr_kernarg_segment_ptr 1
		.amdhsa_user_sgpr_dispatch_id 0
		.amdhsa_user_sgpr_private_segment_size 0
		.amdhsa_wavefront_size32 1
		.amdhsa_uses_dynamic_stack 0
		.amdhsa_enable_private_segment 0
		.amdhsa_system_sgpr_workgroup_id_x 1
		.amdhsa_system_sgpr_workgroup_id_y 0
		.amdhsa_system_sgpr_workgroup_id_z 0
		.amdhsa_system_sgpr_workgroup_info 0
		.amdhsa_system_vgpr_workitem_id 0
		.amdhsa_next_free_vgpr 25
		.amdhsa_next_free_sgpr 40
		.amdhsa_reserve_vcc 1
		.amdhsa_float_round_mode_32 0
		.amdhsa_float_round_mode_16_64 0
		.amdhsa_float_denorm_mode_32 3
		.amdhsa_float_denorm_mode_16_64 3
		.amdhsa_dx10_clamp 1
		.amdhsa_ieee_mode 1
		.amdhsa_fp16_overflow 0
		.amdhsa_workgroup_processor_mode 1
		.amdhsa_memory_ordered 1
		.amdhsa_forward_progress 0
		.amdhsa_shared_vgpr_count 0
		.amdhsa_exception_fp_ieee_invalid_op 0
		.amdhsa_exception_fp_denorm_src 0
		.amdhsa_exception_fp_ieee_div_zero 0
		.amdhsa_exception_fp_ieee_overflow 0
		.amdhsa_exception_fp_ieee_underflow 0
		.amdhsa_exception_fp_ieee_inexact 0
		.amdhsa_exception_int_div_zero 0
	.end_amdhsa_kernel
	.section	.text._ZN5aiter24add_rmsnorm_quant_kernelIDF16_DB8_Li1024ELi8ELb1ELb1ELb0ELi1EEEvPT0_PT_PfS5_S5_S5_diiiiiiib,"axG",@progbits,_ZN5aiter24add_rmsnorm_quant_kernelIDF16_DB8_Li1024ELi8ELb1ELb1ELb0ELi1EEEvPT0_PT_PfS5_S5_S5_diiiiiiib,comdat
.Lfunc_end31:
	.size	_ZN5aiter24add_rmsnorm_quant_kernelIDF16_DB8_Li1024ELi8ELb1ELb1ELb0ELi1EEEvPT0_PT_PfS5_S5_S5_diiiiiiib, .Lfunc_end31-_ZN5aiter24add_rmsnorm_quant_kernelIDF16_DB8_Li1024ELi8ELb1ELb1ELb0ELi1EEEvPT0_PT_PfS5_S5_S5_diiiiiiib
                                        ; -- End function
	.section	.AMDGPU.csdata,"",@progbits
; Kernel info:
; codeLenInByte = 3724
; NumSgprs: 42
; NumVgprs: 25
; ScratchSize: 0
; MemoryBound: 0
; FloatMode: 240
; IeeeMode: 1
; LDSByteSize: 256 bytes/workgroup (compile time only)
; SGPRBlocks: 5
; VGPRBlocks: 3
; NumSGPRsForWavesPerEU: 42
; NumVGPRsForWavesPerEU: 25
; Occupancy: 16
; WaveLimiterHint : 0
; COMPUTE_PGM_RSRC2:SCRATCH_EN: 0
; COMPUTE_PGM_RSRC2:USER_SGPR: 15
; COMPUTE_PGM_RSRC2:TRAP_HANDLER: 0
; COMPUTE_PGM_RSRC2:TGID_X_EN: 1
; COMPUTE_PGM_RSRC2:TGID_Y_EN: 0
; COMPUTE_PGM_RSRC2:TGID_Z_EN: 0
; COMPUTE_PGM_RSRC2:TIDIG_COMP_CNT: 0
	.section	.text._ZN5aiter24add_rmsnorm_quant_kernelItDB8_Li1024ELi8ELb1ELb1ELb0ELi1EEEvPT0_PT_PfS5_S5_S5_diiiiiiib,"axG",@progbits,_ZN5aiter24add_rmsnorm_quant_kernelItDB8_Li1024ELi8ELb1ELb1ELb0ELi1EEEvPT0_PT_PfS5_S5_S5_diiiiiiib,comdat
	.protected	_ZN5aiter24add_rmsnorm_quant_kernelItDB8_Li1024ELi8ELb1ELb1ELb0ELi1EEEvPT0_PT_PfS5_S5_S5_diiiiiiib ; -- Begin function _ZN5aiter24add_rmsnorm_quant_kernelItDB8_Li1024ELi8ELb1ELb1ELb0ELi1EEEvPT0_PT_PfS5_S5_S5_diiiiiiib
	.globl	_ZN5aiter24add_rmsnorm_quant_kernelItDB8_Li1024ELi8ELb1ELb1ELb0ELi1EEEvPT0_PT_PfS5_S5_S5_diiiiiiib
	.p2align	8
	.type	_ZN5aiter24add_rmsnorm_quant_kernelItDB8_Li1024ELi8ELb1ELb1ELb0ELi1EEEvPT0_PT_PfS5_S5_S5_diiiiiiib,@function
_ZN5aiter24add_rmsnorm_quant_kernelItDB8_Li1024ELi8ELb1ELb1ELb0ELi1EEEvPT0_PT_PfS5_S5_S5_diiiiiiib: ; @_ZN5aiter24add_rmsnorm_quant_kernelItDB8_Li1024ELi8ELb1ELb1ELb0ELi1EEEvPT0_PT_PfS5_S5_S5_diiiiiiib
; %bb.0:
	s_mov_b32 s2, s15
	s_load_b256 s[12:19], s[0:1], 0x38
	s_mov_b32 s3, 0
	s_waitcnt lgkmcnt(0)
	s_ashr_i32 s5, s12, 31
	s_mov_b32 s4, s12
	s_delay_alu instid0(SALU_CYCLE_1) | instskip(NEXT) | instid1(VALU_DEP_1)
	v_cmp_ge_i64_e64 s4, s[2:3], s[4:5]
	s_and_b32 vcc_lo, exec_lo, s4
	s_cbranch_vccnz .LBB32_44
; %bb.1:
	s_clause 0x1
	s_load_b256 s[4:11], s[0:1], 0x0
	s_load_b256 s[20:27], s[0:1], 0x20
	s_ashr_i32 s1, s14, 31
	s_waitcnt lgkmcnt(0)
	s_mul_hi_u32 s26, s14, s2
	s_mul_i32 s1, s1, s2
	s_mul_i32 s0, s14, s2
	s_add_i32 s1, s26, s1
	s_mul_hi_u32 s26, s15, s2
	s_lshl_b64 s[0:1], s[0:1], 1
	v_lshlrev_b32_e32 v20, 4, v0
	s_mul_i32 s14, s15, s2
	s_mov_b32 s31, -1
	s_delay_alu instid0(SALU_CYCLE_1)
	s_mov_b32 s39, s31
	s_add_u32 s28, s10, s0
	s_addc_u32 s0, s11, s1
	s_add_i32 s1, s13, 1
	s_ashr_i32 s10, s15, 31
	s_lshr_b32 s11, s1, 31
	s_mul_i32 s10, s10, s2
	s_add_i32 s1, s1, s11
	s_and_b32 s29, s0, 0xffff
	s_lshl_b32 s0, s1, 1
	s_add_i32 s15, s26, s10
	s_and_b32 s30, s0, -4
	s_lshl_b64 s[0:1], s[14:15], 1
	s_and_b32 s37, s23, 0xffff
	buffer_load_b128 v[5:8], v20, s[28:31], 0 offen glc slc
	s_add_u32 s28, s20, s0
	s_addc_u32 s0, s21, s1
	s_mov_b32 s36, s22
	s_and_b32 s29, s0, 0xffff
	s_mov_b32 s38, s30
	buffer_load_b128 v[9:12], v20, s[28:31], 0 offen glc slc
	s_ashr_i32 s0, s16, 31
	s_mul_hi_u32 s1, s16, s2
	s_mul_i32 s10, s0, s2
	s_mul_i32 s0, s16, s2
	s_add_i32 s1, s1, s10
	s_delay_alu instid0(SALU_CYCLE_1) | instskip(NEXT) | instid1(SALU_CYCLE_1)
	s_lshl_b64 s[0:1], s[0:1], 1
	s_add_u32 s28, s6, s0
	s_addc_u32 s0, s7, s1
	s_mov_b32 s1, 0x76543210
	s_and_b32 s29, s0, 0xffff
	s_waitcnt vmcnt(1)
	v_lshrrev_b32_e32 v15, 16, v7
	v_and_b32_e32 v17, 0xffff, v7
	v_lshrrev_b32_e32 v14, 16, v6
	v_lshrrev_b32_e32 v18, 16, v8
	s_waitcnt vmcnt(0)
	v_and_b32_e32 v7, 0xffff, v9
	v_lshrrev_b32_e32 v16, 16, v9
	s_delay_alu instid0(VALU_DEP_2) | instskip(SKIP_2) | instid1(VALU_DEP_4)
	v_cvt_f32_u32_e32 v19, v7
	v_and_b32_e32 v13, 0xffff, v5
	v_lshrrev_b32_e32 v5, 16, v5
	v_cvt_f32_u32_e32 v9, v16
	v_and_b32_e32 v16, 0xffff, v8
	s_delay_alu instid0(VALU_DEP_4) | instskip(NEXT) | instid1(VALU_DEP_4)
	v_cvt_f32_u32_e32 v8, v13
	v_cvt_f32_u32_e32 v5, v5
	s_delay_alu instid0(VALU_DEP_2) | instskip(NEXT) | instid1(VALU_DEP_2)
	v_dual_add_f32 v8, v8, v19 :: v_dual_and_b32 v13, 0xffff, v10
	v_add_f32_e32 v7, v5, v9
	buffer_load_b128 v[1:4], v20, s[36:39], 0 offen
	v_and_b32_e32 v6, 0xffff, v6
	v_cvt_f32_u32_e32 v9, v13
	v_and_b32_e32 v13, 0xffff, v11
	v_mul_f32_e32 v19, v7, v7
	v_lshrrev_b32_e32 v11, 16, v11
	v_cvt_f32_u32_e32 v5, v6
	v_lshrrev_b32_e32 v6, 16, v10
	v_cvt_f32_u32_e32 v10, v14
	v_fmac_f32_e32 v19, v8, v8
	v_cvt_f32_u32_e32 v13, v13
	v_add_f32_e32 v9, v5, v9
	v_cvt_f32_u32_e32 v6, v6
	s_delay_alu instid0(VALU_DEP_2) | instskip(NEXT) | instid1(VALU_DEP_2)
	v_dual_fmac_f32 v19, v9, v9 :: v_dual_and_b32 v14, 0xffff, v12
	v_add_f32_e32 v10, v10, v6
	v_cvt_f32_u32_e32 v5, v17
	v_cvt_f32_u32_e32 v6, v15
	;; [unrolled: 1-line block ×4, first 2 shown]
	v_fmac_f32_e32 v19, v10, v10
	v_add_f32_e32 v11, v5, v13
	v_cvt_f32_u32_e32 v5, v16
	v_lshrrev_b32_e32 v13, 16, v12
	v_add_f32_e32 v12, v6, v15
	v_cvt_f32_u32_e32 v6, v18
	v_fmac_f32_e32 v19, v11, v11
	v_perm_b32 v17, v10, v9, 0x7060302
	v_cvt_f32_u32_e32 v15, v13
	v_add_f32_e32 v13, v5, v14
	v_perm_b32 v18, v12, v11, 0x7060302
	v_fmac_f32_e32 v19, v12, v12
	v_perm_b32 v16, v7, v8, 0x7060302
	s_delay_alu instid0(VALU_DEP_2) | instskip(NEXT) | instid1(VALU_DEP_1)
	v_dual_add_f32 v14, v6, v15 :: v_dual_fmac_f32 v19, v13, v13
	v_fmac_f32_e32 v19, v14, v14
	s_delay_alu instid0(VALU_DEP_1) | instskip(NEXT) | instid1(VALU_DEP_1)
	v_mov_b32_dpp v5, v19 quad_perm:[1,0,3,2] row_mask:0xf bank_mask:0xf
	v_add_f32_e32 v5, v19, v5
	v_perm_b32 v19, v14, v13, 0x7060302
	s_delay_alu instid0(VALU_DEP_2) | instskip(SKIP_3) | instid1(VALU_DEP_1)
	v_mov_b32_dpp v6, v5 quad_perm:[2,3,0,1] row_mask:0xf bank_mask:0xf
	buffer_store_b128 v[16:19], v20, s[28:31], 0 offen glc slc
	;;#ASMSTART
	s_nop 0
	;;#ASMEND
	v_dual_add_f32 v6, v5, v6 :: v_dual_and_b32 v5, 31, v0
	v_mov_b32_dpp v15, v6 row_xmask:7 row_mask:0xf bank_mask:0xf
	s_delay_alu instid0(VALU_DEP_2) | instskip(NEXT) | instid1(VALU_DEP_2)
	v_cmp_eq_u32_e64 s0, 31, v5
	v_add_f32_e32 v6, v6, v15
	s_delay_alu instid0(VALU_DEP_1) | instskip(NEXT) | instid1(VALU_DEP_3)
	v_mov_b32_dpp v15, v6 row_xmask:15 row_mask:0xf bank_mask:0xf
	s_and_saveexec_b32 s6, s0
	s_cbranch_execz .LBB32_3
; %bb.2:
	s_delay_alu instid0(VALU_DEP_1) | instskip(SKIP_1) | instid1(VALU_DEP_2)
	v_add_f32_e32 v6, v6, v15
	v_lshrrev_b32_e32 v15, 3, v0
	v_permlanex16_b32 v16, v6, s1, 0xfedcba98 op_sel:[1,1]
	s_delay_alu instid0(VALU_DEP_1)
	v_dual_add_f32 v6, v6, v16 :: v_dual_and_b32 v15, 0x7c, v15
	ds_store_b32 v15, v6 offset:128
.LBB32_3:
	s_or_b32 exec_lo, exec_lo, s6
	v_lshlrev_b32_e32 v6, 2, v5
	s_waitcnt vmcnt(0) lgkmcnt(0)
	s_waitcnt_vscnt null, 0x0
	s_barrier
	buffer_gl0_inv
	v_cvt_f32_i32_e32 v16, s13
	ds_load_b32 v5, v6 offset:128
	s_cmp_lg_u32 s18, 0
	s_waitcnt lgkmcnt(0)
	v_mov_b32_dpp v15, v5 quad_perm:[1,0,3,2] row_mask:0xf bank_mask:0xf
	s_delay_alu instid0(VALU_DEP_1) | instskip(NEXT) | instid1(VALU_DEP_1)
	v_add_f32_e32 v5, v5, v15
	v_mov_b32_dpp v15, v5 quad_perm:[2,3,0,1] row_mask:0xf bank_mask:0xf
	s_delay_alu instid0(VALU_DEP_1) | instskip(NEXT) | instid1(VALU_DEP_1)
	v_add_f32_e32 v5, v5, v15
	v_mov_b32_dpp v15, v5 row_xmask:7 row_mask:0xf bank_mask:0xf
	s_delay_alu instid0(VALU_DEP_1) | instskip(NEXT) | instid1(VALU_DEP_1)
	v_add_f32_e32 v5, v5, v15
	v_mov_b32_dpp v15, v5 row_xmask:15 row_mask:0xf bank_mask:0xf
	s_delay_alu instid0(VALU_DEP_1) | instskip(NEXT) | instid1(VALU_DEP_1)
	v_add_f32_e32 v5, v5, v15
	v_permlanex16_b32 v15, v5, s1, 0xfedcba98 op_sel:[1,1]
	s_delay_alu instid0(VALU_DEP_1) | instskip(NEXT) | instid1(VALU_DEP_1)
	v_add_f32_e32 v5, v5, v15
	v_div_scale_f32 v15, null, v16, v16, v5
	v_div_scale_f32 v19, vcc_lo, v5, v16, v5
	s_delay_alu instid0(VALU_DEP_2) | instskip(SKIP_2) | instid1(VALU_DEP_1)
	v_rcp_f32_e32 v17, v15
	s_waitcnt_depctr 0xfff
	v_fma_f32 v18, -v15, v17, 1.0
	v_fmac_f32_e32 v17, v18, v17
	s_delay_alu instid0(VALU_DEP_1) | instskip(NEXT) | instid1(VALU_DEP_1)
	v_mul_f32_e32 v18, v19, v17
	v_fma_f32 v20, -v15, v18, v19
	s_delay_alu instid0(VALU_DEP_1) | instskip(SKIP_1) | instid1(VALU_DEP_2)
	v_fmac_f32_e32 v18, v20, v17
	v_mov_b32_e32 v20, 0x2edbe6ff
	v_fma_f32 v15, -v15, v18, v19
	s_delay_alu instid0(VALU_DEP_1)
	v_div_fmas_f32 v15, v15, v17, v18
	v_and_b32_e32 v18, 0xffff, v3
	v_and_b32_e32 v17, 0xffff, v2
	v_lshrrev_b32_e32 v2, 16, v2
	v_lshrrev_b32_e32 v3, 16, v3
	v_div_fixup_f32 v5, v15, v16, v5
	v_cvt_f32_u32_e32 v18, v18
	s_delay_alu instid0(VALU_DEP_4) | instskip(NEXT) | instid1(VALU_DEP_4)
	v_cvt_f32_u32_e32 v2, v2
	v_cvt_f32_u32_e32 v3, v3
	s_delay_alu instid0(VALU_DEP_4) | instskip(NEXT) | instid1(VALU_DEP_1)
	v_cvt_f64_f32_e32 v[15:16], v5
	v_add_f64 v[15:16], v[15:16], s[24:25]
	s_delay_alu instid0(VALU_DEP_1) | instskip(SKIP_2) | instid1(VALU_DEP_2)
	v_cvt_f32_f64_e32 v5, v[15:16]
	v_and_b32_e32 v16, 0xffff, v1
	v_lshrrev_b32_e32 v1, 16, v1
	v_cvt_f32_u32_e32 v16, v16
	s_delay_alu instid0(VALU_DEP_2) | instskip(SKIP_2) | instid1(VALU_DEP_2)
	v_cvt_f32_u32_e32 v1, v1
	v_mul_f32_e32 v15, 0x4b800000, v5
	v_cmp_gt_f32_e32 vcc_lo, 0x800000, v5
	v_cndmask_b32_e32 v15, v5, v15, vcc_lo
	s_delay_alu instid0(VALU_DEP_1) | instskip(SKIP_2) | instid1(VALU_DEP_1)
	v_rsq_f32_e32 v15, v15
	s_waitcnt_depctr 0xfff
	v_mul_f32_e32 v21, 0x45800000, v15
	v_cndmask_b32_e32 v15, v15, v21, vcc_lo
	v_and_b32_e32 v19, 0xffff, v4
	v_lshrrev_b32_e32 v4, 16, v4
	v_lshlrev_b32_e32 v5, 3, v0
	s_delay_alu instid0(VALU_DEP_2) | instskip(SKIP_3) | instid1(VALU_DEP_1)
	v_cvt_f32_u32_e32 v21, v4
	v_mul_f32_e32 v4, v8, v15
	v_mul_f32_e32 v8, v15, v9
	v_cvt_f32_u32_e32 v17, v17
	v_dual_mul_f32 v22, v15, v11 :: v_dual_mul_f32 v9, v8, v17
	s_delay_alu instid0(VALU_DEP_1) | instskip(SKIP_3) | instid1(VALU_DEP_3)
	v_mul_f32_e32 v8, v22, v18
	v_mul_f32_e32 v10, v15, v10
	v_cvt_f32_u32_e32 v19, v19
	v_mul_f32_e32 v14, v15, v14
	v_dual_mul_f32 v10, v10, v2 :: v_dual_mul_f32 v7, v7, v15
	s_delay_alu instid0(VALU_DEP_1) | instskip(NEXT) | instid1(VALU_DEP_1)
	v_mul_f32_e32 v11, v7, v1
	v_dual_mul_f32 v13, v15, v13 :: v_dual_and_b32 v2, 0x7fffffff, v11
	v_mul_f32_e32 v23, v15, v12
	v_mul_f32_e32 v12, v4, v16
	s_delay_alu instid0(VALU_DEP_3) | instskip(SKIP_1) | instid1(VALU_DEP_4)
	v_dual_mul_f32 v4, v13, v19 :: v_dual_and_b32 v13, 0x7fffffff, v9
	v_and_b32_e32 v15, 0x7fffffff, v8
	v_mul_f32_e32 v7, v23, v3
	v_mul_f32_e32 v3, v14, v21
	v_and_b32_e32 v1, 0x7fffffff, v12
	;;#ASMSTART
	v_max3_f32 v1, v20, v1, v2

	;;#ASMEND
	v_and_b32_e32 v14, 0x7fffffff, v10
	;;#ASMSTART
	v_max3_f32 v1, v1, v13, v14

	;;#ASMEND
	v_and_b32_e32 v16, 0x7fffffff, v7
	v_and_b32_e32 v17, 0x7fffffff, v4
	;; [unrolled: 1-line block ×3, first 2 shown]
	;;#ASMSTART
	v_max3_f32 v1, v1, v15, v16

	;;#ASMEND
	;;#ASMSTART
	v_max3_f32 v13, v1, v17, v18

	;;#ASMEND
	s_cbranch_scc0 .LBB32_10
; %bb.4:
	s_ashr_i32 s11, s18, 31
	s_delay_alu instid0(SALU_CYCLE_1) | instskip(NEXT) | instid1(SALU_CYCLE_1)
	s_lshr_b32 s1, s11, 29
	s_add_i32 s1, s18, s1
	s_delay_alu instid0(SALU_CYCLE_1) | instskip(NEXT) | instid1(SALU_CYCLE_1)
	s_ashr_i32 s1, s1, 3
	s_cmp_lt_i32 s1, 8
	s_cbranch_scc1 .LBB32_11
; %bb.5:
	s_cmp_lt_i32 s1, 16
	s_cbranch_scc1 .LBB32_12
; %bb.6:
	;; [unrolled: 3-line block ×3, first 2 shown]
	v_mov_b32_e32 v1, v13
	s_cmp_eq_u32 s1, 32
	s_cbranch_scc0 .LBB32_9
; %bb.8:
	s_delay_alu instid0(VALU_DEP_1) | instskip(SKIP_1) | instid1(VALU_DEP_1)
	v_mov_b32_dpp v1, v13 quad_perm:[1,0,3,2] row_mask:0xf bank_mask:0xf
	s_mov_b32 s6, 0x76543210
	v_cmp_gt_f32_e32 vcc_lo, v13, v1
	v_cndmask_b32_e32 v1, v1, v13, vcc_lo
	s_delay_alu instid0(VALU_DEP_1) | instskip(NEXT) | instid1(VALU_DEP_1)
	v_mov_b32_dpp v2, v1 quad_perm:[2,3,0,1] row_mask:0xf bank_mask:0xf
	v_cmp_gt_f32_e32 vcc_lo, v1, v2
	v_cndmask_b32_e32 v1, v2, v1, vcc_lo
	s_delay_alu instid0(VALU_DEP_1) | instskip(NEXT) | instid1(VALU_DEP_1)
	v_mov_b32_dpp v2, v1 row_xmask:7 row_mask:0xf bank_mask:0xf
	v_cmp_gt_f32_e32 vcc_lo, v1, v2
	v_cndmask_b32_e32 v1, v2, v1, vcc_lo
	s_delay_alu instid0(VALU_DEP_1) | instskip(NEXT) | instid1(VALU_DEP_1)
	v_mov_b32_dpp v2, v1 row_xmask:15 row_mask:0xf bank_mask:0xf
	v_cmp_gt_f32_e32 vcc_lo, v1, v2
	v_cndmask_b32_e32 v1, v2, v1, vcc_lo
	s_delay_alu instid0(VALU_DEP_1) | instskip(NEXT) | instid1(VALU_DEP_1)
	v_permlanex16_b32 v2, v1, s6, 0xfedcba98 op_sel:[1,1]
	v_cmp_gt_f32_e32 vcc_lo, v1, v2
	v_cndmask_b32_e32 v1, v2, v1, vcc_lo
.LBB32_9:
	s_mov_b32 s6, 0
	s_branch .LBB32_14
.LBB32_10:
	s_mov_b32 s1, 0
                                        ; implicit-def: $vgpr14
                                        ; implicit-def: $vgpr1_vgpr2
	s_and_b32 vcc_lo, exec_lo, s31
	s_cbranch_vccnz .LBB32_38
	s_branch .LBB32_41
.LBB32_11:
                                        ; implicit-def: $vgpr1
	s_branch .LBB32_21
.LBB32_12:
                                        ; implicit-def: $vgpr1
	s_branch .LBB32_18
.LBB32_13:
	s_mov_b32 s6, -1
                                        ; implicit-def: $vgpr1
.LBB32_14:
	s_delay_alu instid0(SALU_CYCLE_1)
	s_and_not1_b32 vcc_lo, exec_lo, s6
	s_cbranch_vccnz .LBB32_17
; %bb.15:
	v_mov_b32_e32 v1, v13
	s_cmp_eq_u32 s1, 16
	s_cbranch_scc0 .LBB32_17
; %bb.16:
	s_delay_alu instid0(VALU_DEP_1) | instskip(NEXT) | instid1(VALU_DEP_1)
	v_mov_b32_dpp v1, v13 quad_perm:[1,0,3,2] row_mask:0xf bank_mask:0xf
	v_cmp_gt_f32_e32 vcc_lo, v13, v1
	v_cndmask_b32_e32 v1, v1, v13, vcc_lo
	s_delay_alu instid0(VALU_DEP_1) | instskip(NEXT) | instid1(VALU_DEP_1)
	v_mov_b32_dpp v2, v1 quad_perm:[2,3,0,1] row_mask:0xf bank_mask:0xf
	v_cmp_gt_f32_e32 vcc_lo, v1, v2
	v_cndmask_b32_e32 v1, v2, v1, vcc_lo
	s_delay_alu instid0(VALU_DEP_1) | instskip(NEXT) | instid1(VALU_DEP_1)
	v_mov_b32_dpp v2, v1 row_half_mirror row_mask:0xf bank_mask:0xf
	v_cmp_gt_f32_e32 vcc_lo, v1, v2
	v_cndmask_b32_e32 v1, v2, v1, vcc_lo
	s_delay_alu instid0(VALU_DEP_1) | instskip(NEXT) | instid1(VALU_DEP_1)
	v_mov_b32_dpp v2, v1 row_mirror row_mask:0xf bank_mask:0xf
	v_cmp_gt_f32_e32 vcc_lo, v1, v2
	v_cndmask_b32_e32 v1, v2, v1, vcc_lo
.LBB32_17:
	s_cbranch_execnz .LBB32_20
.LBB32_18:
	v_mov_b32_e32 v1, v13
	s_cmp_eq_u32 s1, 8
	s_cbranch_scc0 .LBB32_20
; %bb.19:
	s_delay_alu instid0(VALU_DEP_1) | instskip(NEXT) | instid1(VALU_DEP_1)
	v_mov_b32_dpp v1, v13 quad_perm:[1,0,3,2] row_mask:0xf bank_mask:0xf
	v_cmp_gt_f32_e32 vcc_lo, v13, v1
	v_cndmask_b32_e32 v1, v1, v13, vcc_lo
	s_delay_alu instid0(VALU_DEP_1) | instskip(NEXT) | instid1(VALU_DEP_1)
	v_mov_b32_dpp v2, v1 quad_perm:[2,3,0,1] row_mask:0xf bank_mask:0xf
	v_cmp_gt_f32_e32 vcc_lo, v1, v2
	v_cndmask_b32_e32 v1, v2, v1, vcc_lo
	s_delay_alu instid0(VALU_DEP_1) | instskip(NEXT) | instid1(VALU_DEP_1)
	v_mov_b32_dpp v2, v1 row_half_mirror row_mask:0xf bank_mask:0xf
	v_cmp_gt_f32_e32 vcc_lo, v1, v2
	v_cndmask_b32_e32 v1, v2, v1, vcc_lo
.LBB32_20:
	s_cbranch_execnz .LBB32_28
.LBB32_21:
	s_cmp_lt_i32 s1, 4
	s_cbranch_scc1 .LBB32_24
; %bb.22:
	v_mov_b32_e32 v1, v13
	s_cmp_eq_u32 s1, 4
	s_cbranch_scc0 .LBB32_25
; %bb.23:
	s_delay_alu instid0(VALU_DEP_1) | instskip(NEXT) | instid1(VALU_DEP_1)
	v_mov_b32_dpp v1, v13 quad_perm:[1,0,3,2] row_mask:0xf bank_mask:0xf
	v_cmp_gt_f32_e32 vcc_lo, v13, v1
	v_cndmask_b32_e32 v1, v1, v13, vcc_lo
	s_delay_alu instid0(VALU_DEP_1) | instskip(NEXT) | instid1(VALU_DEP_1)
	v_mov_b32_dpp v2, v1 quad_perm:[2,3,0,1] row_mask:0xf bank_mask:0xf
	v_cmp_gt_f32_e32 vcc_lo, v1, v2
	v_cndmask_b32_e32 v1, v2, v1, vcc_lo
	s_cbranch_execz .LBB32_26
	s_branch .LBB32_28
.LBB32_24:
                                        ; implicit-def: $vgpr1
	s_branch .LBB32_26
.LBB32_25:
	s_cbranch_execnz .LBB32_28
.LBB32_26:
	v_mov_b32_e32 v1, v13
	s_cmp_lg_u32 s1, 2
	s_cbranch_scc1 .LBB32_28
; %bb.27:
	s_delay_alu instid0(VALU_DEP_1) | instskip(NEXT) | instid1(VALU_DEP_1)
	v_mov_b32_dpp v1, v13 quad_perm:[1,0,3,2] row_mask:0xf bank_mask:0xf
	v_cmp_gt_f32_e32 vcc_lo, v13, v1
	v_cndmask_b32_e32 v1, v1, v13, vcc_lo
.LBB32_28:
	v_cvt_f32_u32_e32 v2, s1
	s_sub_i32 s6, 0, s1
	s_mov_b32 s31, 0
	s_delay_alu instid0(VALU_DEP_1) | instskip(SKIP_2) | instid1(VALU_DEP_1)
	v_rcp_iflag_f32_e32 v2, v2
	s_waitcnt_depctr 0xfff
	v_mul_f32_e32 v2, 0x4f7ffffe, v2
	v_cvt_u32_f32_e32 v2, v2
	s_delay_alu instid0(VALU_DEP_1) | instskip(NEXT) | instid1(VALU_DEP_1)
	v_mul_lo_u32 v14, s6, v2
	v_mul_hi_u32 v14, v2, v14
	s_delay_alu instid0(VALU_DEP_1) | instskip(NEXT) | instid1(VALU_DEP_1)
	v_add_nc_u32_e32 v2, v2, v14
	v_mul_hi_u32 v2, v0, v2
	s_delay_alu instid0(VALU_DEP_1) | instskip(NEXT) | instid1(VALU_DEP_1)
	v_mul_lo_u32 v14, v2, s1
	v_sub_nc_u32_e32 v14, v0, v14
	s_delay_alu instid0(VALU_DEP_1) | instskip(SKIP_1) | instid1(VALU_DEP_2)
	v_subrev_nc_u32_e32 v16, s1, v14
	v_cmp_le_u32_e32 vcc_lo, s1, v14
	v_dual_cndmask_b32 v14, v14, v16 :: v_dual_add_nc_u32 v15, 1, v2
	s_delay_alu instid0(VALU_DEP_1) | instskip(NEXT) | instid1(VALU_DEP_2)
	v_cndmask_b32_e32 v2, v2, v15, vcc_lo
	v_cmp_le_u32_e32 vcc_lo, s1, v14
	s_delay_alu instid0(VALU_DEP_2) | instskip(NEXT) | instid1(VALU_DEP_1)
	v_dual_mul_f32 v14, 0x3b124925, v1 :: v_dual_add_nc_u32 v15, 1, v2
	v_cndmask_b32_e32 v15, v2, v15, vcc_lo
	v_cmp_gt_u32_e32 vcc_lo, s13, v5
	s_delay_alu instid0(VALU_DEP_2) | instskip(NEXT) | instid1(VALU_DEP_1)
	v_mul_lo_u32 v2, v15, s1
	v_sub_nc_u32_e32 v2, v0, v2
	s_delay_alu instid0(VALU_DEP_1) | instskip(NEXT) | instid1(VALU_DEP_1)
	v_cmp_eq_u32_e64 s1, 0, v2
                                        ; implicit-def: $vgpr1_vgpr2
	s_and_b32 s6, s1, vcc_lo
	s_mov_b32 s1, 0
	s_and_saveexec_b32 s7, s6
	s_delay_alu instid0(SALU_CYCLE_1)
	s_xor_b32 s16, exec_lo, s7
	s_cbranch_execz .LBB32_37
; %bb.29:
	s_bitcmp0_b32 s19, 0
	s_mov_b32 s10, 0
	s_cbranch_scc0 .LBB32_34
; %bb.30:
	s_ashr_i32 s1, s13, 31
	s_mul_hi_u32 s7, s13, s2
	s_mul_i32 s1, s1, s2
	s_mul_i32 s6, s13, s2
	s_add_i32 s7, s7, s1
	s_mov_b32 s19, s11
	s_delay_alu instid0(SALU_CYCLE_1) | instskip(NEXT) | instid1(SALU_CYCLE_1)
	s_or_b64 s[14:15], s[6:7], s[18:19]
	s_mov_b32 s11, s15
	s_delay_alu instid0(SALU_CYCLE_1)
	s_cmp_lg_u64 s[10:11], 0
	s_cbranch_scc0 .LBB32_45
; %bb.31:
	s_add_u32 s14, s18, s19
	s_mov_b32 s10, s19
	s_mov_b32 s11, s19
	s_addc_u32 s15, s19, s19
	s_delay_alu instid0(SALU_CYCLE_1) | instskip(NEXT) | instid1(SALU_CYCLE_1)
	s_xor_b64 s[14:15], s[14:15], s[10:11]
	v_cvt_f32_u32_e32 v1, s14
	v_cvt_f32_u32_e32 v2, s15
	s_sub_u32 s20, 0, s14
	s_subb_u32 s21, 0, s15
	s_delay_alu instid0(VALU_DEP_1) | instskip(NEXT) | instid1(VALU_DEP_1)
	v_fmamk_f32 v1, v2, 0x4f800000, v1
	v_rcp_f32_e32 v1, v1
	s_waitcnt_depctr 0xfff
	v_mul_f32_e32 v1, 0x5f7ffffc, v1
	s_delay_alu instid0(VALU_DEP_1) | instskip(NEXT) | instid1(VALU_DEP_1)
	v_mul_f32_e32 v2, 0x2f800000, v1
	v_trunc_f32_e32 v2, v2
	s_delay_alu instid0(VALU_DEP_1) | instskip(SKIP_1) | instid1(VALU_DEP_2)
	v_fmamk_f32 v1, v2, 0xcf800000, v1
	v_cvt_u32_f32_e32 v2, v2
	v_cvt_u32_f32_e32 v1, v1
	s_delay_alu instid0(VALU_DEP_2) | instskip(NEXT) | instid1(VALU_DEP_2)
	v_readfirstlane_b32 s1, v2
	v_readfirstlane_b32 s19, v1
	s_delay_alu instid0(VALU_DEP_2) | instskip(NEXT) | instid1(VALU_DEP_1)
	s_mul_i32 s22, s20, s1
	s_mul_hi_u32 s24, s20, s19
	s_mul_i32 s23, s21, s19
	s_add_i32 s22, s24, s22
	s_mul_i32 s25, s20, s19
	s_add_i32 s22, s22, s23
	s_mul_hi_u32 s24, s19, s25
	s_mul_hi_u32 s26, s1, s25
	s_mul_i32 s23, s1, s25
	s_mul_hi_u32 s25, s19, s22
	s_mul_i32 s19, s19, s22
	s_mul_hi_u32 s27, s1, s22
	s_add_u32 s19, s24, s19
	s_addc_u32 s24, 0, s25
	s_add_u32 s19, s19, s23
	s_mul_i32 s22, s1, s22
	s_addc_u32 s19, s24, s26
	s_addc_u32 s23, s27, 0
	s_add_u32 s19, s19, s22
	s_addc_u32 s22, 0, s23
	v_add_co_u32 v1, s19, v1, s19
	s_delay_alu instid0(VALU_DEP_1) | instskip(SKIP_1) | instid1(VALU_DEP_1)
	s_cmp_lg_u32 s19, 0
	s_addc_u32 s1, s1, s22
	v_readfirstlane_b32 s19, v1
	s_mul_i32 s22, s20, s1
	s_delay_alu instid0(VALU_DEP_1)
	s_mul_hi_u32 s23, s20, s19
	s_mul_i32 s21, s21, s19
	s_add_i32 s22, s23, s22
	s_mul_i32 s20, s20, s19
	s_add_i32 s22, s22, s21
	s_mul_hi_u32 s23, s1, s20
	s_mul_i32 s24, s1, s20
	s_mul_hi_u32 s20, s19, s20
	s_mul_hi_u32 s25, s19, s22
	s_mul_i32 s19, s19, s22
	s_mul_hi_u32 s21, s1, s22
	s_add_u32 s19, s20, s19
	s_addc_u32 s20, 0, s25
	s_add_u32 s19, s19, s24
	s_mul_i32 s22, s1, s22
	s_addc_u32 s19, s20, s23
	s_addc_u32 s20, s21, 0
	s_add_u32 s19, s19, s22
	s_addc_u32 s20, 0, s20
	v_add_co_u32 v1, s19, v1, s19
	s_delay_alu instid0(VALU_DEP_1) | instskip(SKIP_2) | instid1(SALU_CYCLE_1)
	s_cmp_lg_u32 s19, 0
	s_addc_u32 s1, s1, s20
	s_ashr_i32 s20, s7, 31
	s_add_u32 s22, s6, s20
	s_addc_u32 s23, s7, s20
	v_readfirstlane_b32 s7, v1
	s_mov_b32 s21, s20
	s_delay_alu instid0(SALU_CYCLE_1) | instskip(NEXT) | instid1(SALU_CYCLE_1)
	s_xor_b64 s[22:23], s[22:23], s[20:21]
	s_mul_i32 s24, s22, s1
	s_delay_alu instid0(VALU_DEP_1)
	s_mul_hi_u32 s25, s22, s7
	s_mul_hi_u32 s19, s22, s1
	;; [unrolled: 1-line block ×3, first 2 shown]
	s_mul_i32 s7, s23, s7
	s_add_u32 s24, s25, s24
	s_addc_u32 s19, 0, s19
	s_mul_hi_u32 s26, s23, s1
	s_add_u32 s7, s24, s7
	s_mul_i32 s1, s23, s1
	s_addc_u32 s7, s19, s27
	s_addc_u32 s19, s26, 0
	s_add_u32 s7, s7, s1
	s_addc_u32 s19, 0, s19
	s_mul_i32 s26, s14, s7
	s_mul_hi_u32 s1, s14, s7
	s_mul_i32 s25, s14, s19
	v_sub_co_u32 v1, s22, s22, s26
	s_mul_i32 s24, s15, s7
	s_add_i32 s1, s1, s25
	s_delay_alu instid0(SALU_CYCLE_1) | instskip(NEXT) | instid1(VALU_DEP_1)
	s_add_i32 s1, s1, s24
	v_sub_co_u32 v2, s25, v1, s14
	s_sub_i32 s24, s23, s1
	s_cmp_lg_u32 s22, 0
	s_subb_u32 s24, s24, s15
	s_cmp_lg_u32 s25, 0
	v_cmp_le_u32_e32 vcc_lo, s14, v2
	s_subb_u32 s24, s24, 0
	s_delay_alu instid0(SALU_CYCLE_1)
	s_cmp_ge_u32 s24, s15
	v_cndmask_b32_e64 v2, 0, -1, vcc_lo
	s_cselect_b32 s25, -1, 0
	s_cmp_eq_u32 s24, s15
	s_cselect_b32 vcc_lo, -1, 0
	s_add_u32 s24, s7, 1
	v_cndmask_b32_e32 v2, s25, v2, vcc_lo
	s_addc_u32 s25, s19, 0
	s_add_u32 s26, s7, 2
	s_addc_u32 s27, s19, 0
	s_cmp_lg_u32 s22, 0
	v_cmp_le_u32_e32 vcc_lo, s14, v1
	s_subb_u32 s1, s23, s1
	v_mov_b32_e32 v16, s26
	s_cmp_ge_u32 s1, s15
	v_cndmask_b32_e64 v1, 0, -1, vcc_lo
	s_cselect_b32 s14, -1, 0
	s_cmp_eq_u32 s1, s15
	v_cmp_ne_u32_e32 vcc_lo, 0, v2
	v_mov_b32_e32 v2, s27
	s_cselect_b32 s1, -1, 0
	s_xor_b64 s[10:11], s[20:21], s[10:11]
	v_cndmask_b32_e64 v1, s14, v1, s1
	v_cndmask_b32_e32 v16, s24, v16, vcc_lo
	v_cndmask_b32_e32 v2, s25, v2, vcc_lo
	s_delay_alu instid0(VALU_DEP_3) | instskip(NEXT) | instid1(VALU_DEP_2)
	v_cmp_ne_u32_e32 vcc_lo, 0, v1
	v_cndmask_b32_e32 v1, s19, v2, vcc_lo
	s_delay_alu instid0(VALU_DEP_4) | instskip(NEXT) | instid1(VALU_DEP_2)
	v_cndmask_b32_e32 v2, s7, v16, vcc_lo
	v_xor_b32_e32 v16, s11, v1
	s_delay_alu instid0(VALU_DEP_2) | instskip(NEXT) | instid1(VALU_DEP_1)
	v_xor_b32_e32 v2, s10, v2
	v_sub_co_u32 v1, vcc_lo, v2, s10
	s_delay_alu instid0(VALU_DEP_3)
	v_subrev_co_ci_u32_e32 v2, vcc_lo, s11, v16, vcc_lo
	s_cbranch_execnz .LBB32_33
.LBB32_32:
	v_cvt_f32_u32_e32 v1, s18
	s_sub_i32 s7, 0, s18
	s_delay_alu instid0(VALU_DEP_1) | instskip(SKIP_2) | instid1(VALU_DEP_1)
	v_rcp_iflag_f32_e32 v1, v1
	s_waitcnt_depctr 0xfff
	v_mul_f32_e32 v1, 0x4f7ffffe, v1
	v_cvt_u32_f32_e32 v1, v1
	s_delay_alu instid0(VALU_DEP_1) | instskip(NEXT) | instid1(VALU_DEP_1)
	v_readfirstlane_b32 s1, v1
	s_mul_i32 s7, s7, s1
	s_delay_alu instid0(SALU_CYCLE_1) | instskip(NEXT) | instid1(SALU_CYCLE_1)
	s_mul_hi_u32 s7, s1, s7
	s_add_i32 s1, s1, s7
	s_delay_alu instid0(SALU_CYCLE_1) | instskip(NEXT) | instid1(SALU_CYCLE_1)
	s_mul_hi_u32 s1, s6, s1
	s_mul_i32 s7, s1, s18
	s_delay_alu instid0(SALU_CYCLE_1)
	s_sub_i32 s6, s6, s7
	s_add_i32 s7, s1, 1
	s_sub_i32 s10, s6, s18
	s_cmp_ge_u32 s6, s18
	s_cselect_b32 s1, s7, s1
	s_cselect_b32 s6, s10, s6
	s_add_i32 s10, s1, 1
	s_cmp_ge_u32 s6, s18
	s_mov_b32 s7, 0
	s_cselect_b32 s6, s10, s1
	s_delay_alu instid0(SALU_CYCLE_1)
	v_dual_mov_b32 v1, s6 :: v_dual_mov_b32 v2, s7
.LBB32_33:
	s_delay_alu instid0(VALU_DEP_1) | instskip(NEXT) | instid1(VALU_DEP_2)
	v_add_co_u32 v1, vcc_lo, v1, v15
	v_add_co_ci_u32_e32 v2, vcc_lo, 0, v2, vcc_lo
	s_branch .LBB32_36
.LBB32_34:
                                        ; implicit-def: $vgpr1_vgpr2
	s_cbranch_execz .LBB32_36
; %bb.35:
	v_mul_lo_u32 v1, v15, s12
	s_delay_alu instid0(VALU_DEP_1) | instskip(SKIP_1) | instid1(VALU_DEP_2)
	v_ashrrev_i32_e32 v2, 31, v1
	v_add_co_u32 v1, vcc_lo, v1, s2
	v_add_co_ci_u32_e32 v2, vcc_lo, 0, v2, vcc_lo
.LBB32_36:
	s_mov_b32 s1, exec_lo
.LBB32_37:
	s_or_b32 exec_lo, exec_lo, s16
	s_delay_alu instid0(SALU_CYCLE_1)
	s_and_b32 vcc_lo, exec_lo, s31
	s_cbranch_vccz .LBB32_41
.LBB32_38:
	v_mov_b32_dpp v1, v13 quad_perm:[1,0,3,2] row_mask:0xf bank_mask:0xf
	s_mov_b32 s1, 0x76543210
	s_delay_alu instid0(VALU_DEP_1) | instskip(SKIP_1) | instid1(VALU_DEP_1)
	v_cmp_gt_f32_e32 vcc_lo, v13, v1
	v_cndmask_b32_e32 v1, v1, v13, vcc_lo
	v_mov_b32_dpp v2, v1 quad_perm:[2,3,0,1] row_mask:0xf bank_mask:0xf
	s_delay_alu instid0(VALU_DEP_1) | instskip(SKIP_1) | instid1(VALU_DEP_1)
	v_cmp_gt_f32_e32 vcc_lo, v1, v2
	v_cndmask_b32_e32 v1, v2, v1, vcc_lo
	v_mov_b32_dpp v2, v1 row_xmask:7 row_mask:0xf bank_mask:0xf
	s_delay_alu instid0(VALU_DEP_1) | instskip(SKIP_1) | instid1(VALU_DEP_1)
	v_cmp_gt_f32_e32 vcc_lo, v1, v2
	v_cndmask_b32_e32 v1, v2, v1, vcc_lo
	v_mov_b32_dpp v2, v1 row_xmask:15 row_mask:0xf bank_mask:0xf
	s_delay_alu instid0(VALU_DEP_1)
	v_cmp_gt_f32_e32 vcc_lo, v1, v2
	s_and_saveexec_b32 s6, s0
	s_cbranch_execz .LBB32_40
; %bb.39:
	v_cndmask_b32_e32 v1, v2, v1, vcc_lo
	v_lshrrev_b32_e32 v2, 3, v0
	s_delay_alu instid0(VALU_DEP_1) | instskip(NEXT) | instid1(VALU_DEP_3)
	v_and_b32_e32 v2, 0x7c, v2
	v_permlanex16_b32 v13, v1, s1, 0xfedcba98 op_sel:[1,1]
	s_delay_alu instid0(VALU_DEP_1)
	v_cmp_gt_f32_e32 vcc_lo, v1, v13
	v_cndmask_b32_e32 v1, v13, v1, vcc_lo
	ds_store_b32 v2, v1
.LBB32_40:
	s_or_b32 exec_lo, exec_lo, s6
	s_waitcnt lgkmcnt(0)
	s_barrier
	buffer_gl0_inv
	ds_load_b32 v1, v6
	s_waitcnt lgkmcnt(0)
	v_mov_b32_dpp v2, v1 quad_perm:[1,0,3,2] row_mask:0xf bank_mask:0xf
	s_delay_alu instid0(VALU_DEP_1) | instskip(SKIP_1) | instid1(VALU_DEP_1)
	v_cmp_gt_f32_e32 vcc_lo, v1, v2
	v_cndmask_b32_e32 v1, v2, v1, vcc_lo
	v_mov_b32_dpp v2, v1 quad_perm:[2,3,0,1] row_mask:0xf bank_mask:0xf
	s_delay_alu instid0(VALU_DEP_1) | instskip(SKIP_1) | instid1(VALU_DEP_1)
	v_cmp_gt_f32_e32 vcc_lo, v1, v2
	v_cndmask_b32_e32 v1, v2, v1, vcc_lo
	v_mov_b32_dpp v2, v1 row_xmask:7 row_mask:0xf bank_mask:0xf
	s_delay_alu instid0(VALU_DEP_1) | instskip(SKIP_1) | instid1(VALU_DEP_1)
	v_cmp_gt_f32_e32 vcc_lo, v1, v2
	v_cndmask_b32_e32 v1, v2, v1, vcc_lo
	v_mov_b32_dpp v2, v1 row_xmask:15 row_mask:0xf bank_mask:0xf
	s_delay_alu instid0(VALU_DEP_1) | instskip(SKIP_1) | instid1(VALU_DEP_1)
	v_cmp_gt_f32_e32 vcc_lo, v1, v2
	v_cndmask_b32_e32 v1, v2, v1, vcc_lo
	v_permlanex16_b32 v2, v1, s1, 0xfedcba98 op_sel:[1,1]
	v_cmp_eq_u32_e64 s1, 0, v0
	s_delay_alu instid0(VALU_DEP_2) | instskip(SKIP_1) | instid1(VALU_DEP_1)
	v_cmp_gt_f32_e32 vcc_lo, v1, v2
	v_cndmask_b32_e32 v1, v2, v1, vcc_lo
	v_dual_mul_f32 v14, 0x3b124925, v1 :: v_dual_mov_b32 v1, s2
	v_mov_b32_e32 v2, s3
.LBB32_41:
	s_and_saveexec_b32 s0, s1
	s_cbranch_execz .LBB32_43
; %bb.42:
	s_delay_alu instid0(VALU_DEP_1) | instskip(NEXT) | instid1(VALU_DEP_1)
	v_lshlrev_b64 v[0:1], 2, v[1:2]
	v_add_co_u32 v0, vcc_lo, s8, v0
	s_delay_alu instid0(VALU_DEP_2)
	v_add_co_ci_u32_e32 v1, vcc_lo, s9, v1, vcc_lo
	global_store_b32 v[0:1], v14, off
.LBB32_43:
	s_or_b32 exec_lo, exec_lo, s0
	;;#ASMSTART
	v_rcp_f32 v0, v14
	;;#ASMEND
	v_dual_mul_f32 v1, v12, v0 :: v_dual_mov_b32 v6, 0xc3e00000
	v_dual_mul_f32 v2, v11, v0 :: v_dual_mov_b32 v11, 0x43e00000
	v_mul_f32_e32 v9, v9, v0
	v_mul_f32_e32 v10, v10, v0
	;;#ASMSTART
	v_med3_f32 v1, v1, v6, v11
v_med3_f32 v2, v2, v6, v11
v_cvt_pk_fp8_f32 v12, v1, v2
	;;#ASMEND
	;;#ASMSTART
	v_med3_f32 v9, v9, v6, v11
v_med3_f32 v10, v10, v6, v11
v_cvt_pk_fp8_f32 v1, v9, v10
	;;#ASMEND
	v_perm_b32 v2, v1, v12, 0x5040100
	v_and_b32_e32 v1, 0xffffff00, v1
	s_add_i32 s0, s13, 3
	v_mul_f32_e32 v7, v7, v0
	s_ashr_i32 s7, s0, 31
	v_lshrrev_b32_e32 v9, 16, v2
	v_mul_f32_e32 v8, v8, v0
	s_ashr_i32 s1, s17, 31
	s_lshr_b32 s7, s7, 30
	s_mul_hi_u32 s3, s17, s2
	v_and_b32_e32 v9, 0xff, v9
	s_add_i32 s0, s0, s7
	s_mul_i32 s1, s1, s2
	s_mul_i32 s6, s17, s2
	s_and_b32 s2, s0, -4
	v_or_b32_e32 v1, v9, v1
	v_mul_f32_e32 v4, v4, v0
	v_mul_f32_e32 v0, v3, v0
	;;#ASMSTART
	v_med3_f32 v8, v8, v6, v11
v_med3_f32 v7, v7, v6, v11
v_cvt_pk_fp8_f32 v3, v8, v7
	;;#ASMEND
	s_add_i32 s3, s3, s1
	v_lshlrev_b32_e32 v1, 16, v1
	;;#ASMSTART
	v_med3_f32 v4, v4, v6, v11
v_med3_f32 v0, v0, v6, v11
v_cvt_pk_fp8_f32 v6, v4, v0
	;;#ASMEND
	v_lshlrev_b32_e32 v4, 16, v6
	s_add_u32 s0, s4, s6
	s_addc_u32 s1, s5, s3
	v_and_or_b32 v0, 0xffff, v2, v1
	s_and_b32 s1, s1, 0xffff
	v_and_or_b32 v1, 0xffff, v3, v4
	s_mov_b32 s3, -1
	buffer_store_b64 v[0:1], v5, s[0:3], 0 offen
	;;#ASMSTART
	s_nop 0
	;;#ASMEND
.LBB32_44:
	s_nop 0
	s_sendmsg sendmsg(MSG_DEALLOC_VGPRS)
	s_endpgm
.LBB32_45:
                                        ; implicit-def: $vgpr1_vgpr2
	s_branch .LBB32_32
	.section	.rodata,"a",@progbits
	.p2align	6, 0x0
	.amdhsa_kernel _ZN5aiter24add_rmsnorm_quant_kernelItDB8_Li1024ELi8ELb1ELb1ELb0ELi1EEEvPT0_PT_PfS5_S5_S5_diiiiiiib
		.amdhsa_group_segment_fixed_size 256
		.amdhsa_private_segment_fixed_size 0
		.amdhsa_kernarg_size 88
		.amdhsa_user_sgpr_count 15
		.amdhsa_user_sgpr_dispatch_ptr 0
		.amdhsa_user_sgpr_queue_ptr 0
		.amdhsa_user_sgpr_kernarg_segment_ptr 1
		.amdhsa_user_sgpr_dispatch_id 0
		.amdhsa_user_sgpr_private_segment_size 0
		.amdhsa_wavefront_size32 1
		.amdhsa_uses_dynamic_stack 0
		.amdhsa_enable_private_segment 0
		.amdhsa_system_sgpr_workgroup_id_x 1
		.amdhsa_system_sgpr_workgroup_id_y 0
		.amdhsa_system_sgpr_workgroup_id_z 0
		.amdhsa_system_sgpr_workgroup_info 0
		.amdhsa_system_vgpr_workitem_id 0
		.amdhsa_next_free_vgpr 24
		.amdhsa_next_free_sgpr 40
		.amdhsa_reserve_vcc 1
		.amdhsa_float_round_mode_32 0
		.amdhsa_float_round_mode_16_64 0
		.amdhsa_float_denorm_mode_32 3
		.amdhsa_float_denorm_mode_16_64 3
		.amdhsa_dx10_clamp 1
		.amdhsa_ieee_mode 1
		.amdhsa_fp16_overflow 0
		.amdhsa_workgroup_processor_mode 1
		.amdhsa_memory_ordered 1
		.amdhsa_forward_progress 0
		.amdhsa_shared_vgpr_count 0
		.amdhsa_exception_fp_ieee_invalid_op 0
		.amdhsa_exception_fp_denorm_src 0
		.amdhsa_exception_fp_ieee_div_zero 0
		.amdhsa_exception_fp_ieee_overflow 0
		.amdhsa_exception_fp_ieee_underflow 0
		.amdhsa_exception_fp_ieee_inexact 0
		.amdhsa_exception_int_div_zero 0
	.end_amdhsa_kernel
	.section	.text._ZN5aiter24add_rmsnorm_quant_kernelItDB8_Li1024ELi8ELb1ELb1ELb0ELi1EEEvPT0_PT_PfS5_S5_S5_diiiiiiib,"axG",@progbits,_ZN5aiter24add_rmsnorm_quant_kernelItDB8_Li1024ELi8ELb1ELb1ELb0ELi1EEEvPT0_PT_PfS5_S5_S5_diiiiiiib,comdat
.Lfunc_end32:
	.size	_ZN5aiter24add_rmsnorm_quant_kernelItDB8_Li1024ELi8ELb1ELb1ELb0ELi1EEEvPT0_PT_PfS5_S5_S5_diiiiiiib, .Lfunc_end32-_ZN5aiter24add_rmsnorm_quant_kernelItDB8_Li1024ELi8ELb1ELb1ELb0ELi1EEEvPT0_PT_PfS5_S5_S5_diiiiiiib
                                        ; -- End function
	.section	.AMDGPU.csdata,"",@progbits
; Kernel info:
; codeLenInByte = 3792
; NumSgprs: 42
; NumVgprs: 24
; ScratchSize: 0
; MemoryBound: 0
; FloatMode: 240
; IeeeMode: 1
; LDSByteSize: 256 bytes/workgroup (compile time only)
; SGPRBlocks: 5
; VGPRBlocks: 2
; NumSGPRsForWavesPerEU: 42
; NumVGPRsForWavesPerEU: 24
; Occupancy: 16
; WaveLimiterHint : 0
; COMPUTE_PGM_RSRC2:SCRATCH_EN: 0
; COMPUTE_PGM_RSRC2:USER_SGPR: 15
; COMPUTE_PGM_RSRC2:TRAP_HANDLER: 0
; COMPUTE_PGM_RSRC2:TGID_X_EN: 1
; COMPUTE_PGM_RSRC2:TGID_Y_EN: 0
; COMPUTE_PGM_RSRC2:TGID_Z_EN: 0
; COMPUTE_PGM_RSRC2:TIDIG_COMP_CNT: 0
	.section	.text._ZN5aiter24add_rmsnorm_quant_kernelIDF16_aLi64ELi8ELb1ELb1ELb1ELi1EEEvPT0_PT_PfS4_S4_S4_diiiiiiib,"axG",@progbits,_ZN5aiter24add_rmsnorm_quant_kernelIDF16_aLi64ELi8ELb1ELb1ELb1ELi1EEEvPT0_PT_PfS4_S4_S4_diiiiiiib,comdat
	.protected	_ZN5aiter24add_rmsnorm_quant_kernelIDF16_aLi64ELi8ELb1ELb1ELb1ELi1EEEvPT0_PT_PfS4_S4_S4_diiiiiiib ; -- Begin function _ZN5aiter24add_rmsnorm_quant_kernelIDF16_aLi64ELi8ELb1ELb1ELb1ELi1EEEvPT0_PT_PfS4_S4_S4_diiiiiiib
	.globl	_ZN5aiter24add_rmsnorm_quant_kernelIDF16_aLi64ELi8ELb1ELb1ELb1ELi1EEEvPT0_PT_PfS4_S4_S4_diiiiiiib
	.p2align	8
	.type	_ZN5aiter24add_rmsnorm_quant_kernelIDF16_aLi64ELi8ELb1ELb1ELb1ELi1EEEvPT0_PT_PfS4_S4_S4_diiiiiiib,@function
_ZN5aiter24add_rmsnorm_quant_kernelIDF16_aLi64ELi8ELb1ELb1ELb1ELi1EEEvPT0_PT_PfS4_S4_S4_diiiiiiib: ; @_ZN5aiter24add_rmsnorm_quant_kernelIDF16_aLi64ELi8ELb1ELb1ELb1ELi1EEEvPT0_PT_PfS4_S4_S4_diiiiiiib
; %bb.0:
	s_load_b256 s[4:11], s[0:1], 0x38
	s_mov_b32 s34, s15
	s_mov_b32 s35, 0
	s_waitcnt lgkmcnt(0)
	s_ashr_i32 s3, s4, 31
	s_mov_b32 s2, s4
	s_delay_alu instid0(SALU_CYCLE_1) | instskip(NEXT) | instid1(VALU_DEP_1)
	v_cmp_ge_i64_e64 s2, s[34:35], s[2:3]
	s_and_b32 vcc_lo, exec_lo, s2
	s_cbranch_vccnz .LBB33_44
; %bb.1:
	s_clause 0x1
	s_load_b256 s[12:19], s[0:1], 0x0
	s_load_b256 s[20:27], s[0:1], 0x20
	s_ashr_i32 s1, s6, 31
	s_mul_hi_u32 s2, s6, s34
	s_mul_i32 s1, s1, s34
	s_mul_i32 s0, s6, s34
	s_add_i32 s1, s2, s1
	s_mul_hi_u32 s3, s7, s34
	s_lshl_b64 s[0:1], s[0:1], 1
	s_mul_i32 s2, s7, s34
	v_lshlrev_b32_e32 v19, 4, v0
	s_mov_b32 s31, -1
	v_and_b32_e32 v20, 31, v0
	s_waitcnt lgkmcnt(0)
	s_add_u32 s28, s18, s0
	s_addc_u32 s0, s19, s1
	s_add_i32 s6, s5, 1
	s_ashr_i32 s7, s7, 31
	s_lshr_b32 s18, s6, 31
	s_mul_i32 s7, s7, s34
	s_add_i32 s6, s6, s18
	s_and_b32 s29, s0, 0xffff
	s_lshl_b32 s0, s6, 1
	s_add_i32 s3, s3, s7
	s_and_b32 s30, s0, -4
	s_lshl_b64 s[2:3], s[2:3], 1
	s_and_b32 s1, s23, 0xffff
	buffer_load_b128 v[9:12], v19, s[28:31], 0 offen glc slc
	s_add_u32 s28, s20, s2
	s_addc_u32 s0, s21, s3
	s_mov_b32 s3, s31
	s_and_b32 s29, s0, 0xffff
	s_mov_b32 s0, s22
	buffer_load_b128 v[13:16], v19, s[28:31], 0 offen glc slc
	s_mov_b32 s2, s30
	s_waitcnt vmcnt(1)
	v_cvt_f32_f16_e32 v8, v9
	v_lshrrev_b32_e32 v5, 16, v9
	v_cvt_f32_f16_e32 v9, v10
	s_waitcnt vmcnt(0)
	v_lshrrev_b32_e32 v6, 16, v13
	v_cvt_f32_f16_e32 v13, v13
	v_cvt_f32_f16_e32 v5, v5
	s_delay_alu instid0(VALU_DEP_3) | instskip(NEXT) | instid1(VALU_DEP_3)
	v_cvt_f32_f16_e32 v6, v6
	v_add_f32_e32 v8, v8, v13
	buffer_load_b128 v[1:4], v19, s[0:3], 0 offen
	v_cvt_f32_f16_e32 v13, v11
	s_ashr_i32 s0, s8, 31
	v_add_f32_e32 v7, v5, v6
	v_lshrrev_b32_e32 v5, 16, v10
	v_cvt_f32_f16_e32 v6, v14
	v_lshrrev_b32_e32 v10, 16, v14
	v_lshrrev_b32_e32 v14, 16, v15
	s_mul_hi_u32 s1, s8, s34
	v_cvt_f32_f16_e32 v5, v5
	v_add_f32_e32 v9, v9, v6
	v_cvt_f32_f16_e32 v10, v10
	v_mul_f32_e32 v17, v7, v7
	v_lshrrev_b32_e32 v6, 16, v11
	v_cvt_f32_f16_e32 v11, v15
	v_cvt_f32_f16_e32 v14, v14
	v_add_f32_e32 v10, v5, v10
	v_cvt_f32_f16_e32 v15, v16
	v_cvt_f32_f16_e32 v6, v6
	v_fmac_f32_e32 v17, v8, v8
	v_add_f32_e32 v11, v13, v11
	v_lshrrev_b32_e32 v13, 16, v12
	v_lshrrev_b32_e32 v16, 16, v16
	v_cvt_f32_f16_e32 v5, v12
	v_add_f32_e32 v12, v6, v14
	s_mul_i32 s2, s0, s34
	v_cvt_f32_f16_e32 v6, v13
	v_cvt_f32_f16_e32 v14, v16
	v_fmac_f32_e32 v17, v9, v9
	v_add_f32_e32 v13, v5, v15
	v_cvt_f16_f32_e32 v15, v9
	v_cvt_f16_f32_e32 v16, v11
	v_add_f32_e32 v14, v6, v14
	v_fmac_f32_e32 v17, v10, v10
	v_cvt_f16_f32_e32 v22, v12
	v_cvt_f16_f32_e32 v23, v10
	;; [unrolled: 1-line block ×4, first 2 shown]
	v_fmac_f32_e32 v17, v11, v11
	s_mul_i32 s0, s8, s34
	s_add_i32 s1, s1, s2
	s_delay_alu instid0(SALU_CYCLE_1) | instskip(NEXT) | instid1(VALU_DEP_1)
	s_lshl_b64 s[0:1], s[0:1], 1
	v_fmac_f32_e32 v17, v12, v12
	s_add_u32 s28, s14, s0
	v_cmp_eq_u32_e64 s0, 31, v20
	s_addc_u32 s1, s15, s1
	s_delay_alu instid0(VALU_DEP_2) | instskip(SKIP_1) | instid1(VALU_DEP_1)
	v_fmac_f32_e32 v17, v13, v13
	s_and_b32 s29, s1, 0xffff
	v_fmac_f32_e32 v17, v14, v14
	s_delay_alu instid0(VALU_DEP_1) | instskip(NEXT) | instid1(VALU_DEP_1)
	v_mov_b32_dpp v5, v17 quad_perm:[1,0,3,2] row_mask:0xf bank_mask:0xf
	v_add_f32_e32 v5, v17, v5
	v_cvt_f16_f32_e32 v17, v13
	s_delay_alu instid0(VALU_DEP_2) | instskip(NEXT) | instid1(VALU_DEP_1)
	v_mov_b32_dpp v6, v5 quad_perm:[2,3,0,1] row_mask:0xf bank_mask:0xf
	v_add_f32_e32 v5, v5, v6
	v_cvt_f16_f32_e32 v6, v8
	s_delay_alu instid0(VALU_DEP_2) | instskip(NEXT) | instid1(VALU_DEP_1)
	v_mov_b32_dpp v18, v5 row_xmask:7 row_mask:0xf bank_mask:0xf
	v_add_f32_e32 v5, v5, v18
	v_pack_b32_f16 v18, v17, v21
	v_pack_b32_f16 v17, v16, v22
	;; [unrolled: 1-line block ×4, first 2 shown]
	v_mov_b32_dpp v6, v5 row_xmask:15 row_mask:0xf bank_mask:0xf
	buffer_store_b128 v[15:18], v19, s[28:31], 0 offen glc slc
	;;#ASMSTART
	s_nop 0
	;;#ASMEND
	s_and_saveexec_b32 s1, s0
	s_cbranch_execz .LBB33_3
; %bb.2:
	v_add_f32_e32 v5, v5, v6
	s_mov_b32 s2, 0x76543210
	v_lshrrev_b32_e32 v6, 3, v0
	s_delay_alu instid0(VALU_DEP_2) | instskip(NEXT) | instid1(VALU_DEP_1)
	v_permlanex16_b32 v15, v5, s2, 0xfedcba98 op_sel:[1,1]
	v_dual_add_f32 v5, v5, v15 :: v_dual_and_b32 v6, 0x7c, v6
	ds_store_b32 v6, v5 offset:8
.LBB33_3:
	s_or_b32 exec_lo, exec_lo, s1
	v_and_b32_e32 v5, 1, v0
	s_waitcnt vmcnt(0) lgkmcnt(0)
	s_waitcnt_vscnt null, 0x0
	s_barrier
	buffer_gl0_inv
	v_cvt_f32_i32_e32 v16, s5
	v_lshlrev_b32_e32 v6, 2, v5
	s_cmp_lg_u32 s10, 0
	ds_load_b32 v5, v6 offset:8
	s_waitcnt lgkmcnt(0)
	v_mov_b32_dpp v15, v5 quad_perm:[1,0,3,2] row_mask:0xf bank_mask:0xf
	s_delay_alu instid0(VALU_DEP_1) | instskip(NEXT) | instid1(VALU_DEP_1)
	v_add_f32_e32 v5, v5, v15
	v_div_scale_f32 v15, null, v16, v16, v5
	v_div_scale_f32 v19, vcc_lo, v5, v16, v5
	s_delay_alu instid0(VALU_DEP_2) | instskip(SKIP_2) | instid1(VALU_DEP_1)
	v_rcp_f32_e32 v17, v15
	s_waitcnt_depctr 0xfff
	v_fma_f32 v18, -v15, v17, 1.0
	v_fmac_f32_e32 v17, v18, v17
	s_delay_alu instid0(VALU_DEP_1) | instskip(NEXT) | instid1(VALU_DEP_1)
	v_mul_f32_e32 v18, v19, v17
	v_fma_f32 v20, -v15, v18, v19
	s_delay_alu instid0(VALU_DEP_1) | instskip(SKIP_2) | instid1(VALU_DEP_3)
	v_fmac_f32_e32 v18, v20, v17
	v_cvt_f32_f16_e32 v20, v4
	v_lshrrev_b32_e32 v4, 16, v4
	v_fma_f32 v15, -v15, v18, v19
	s_delay_alu instid0(VALU_DEP_2) | instskip(NEXT) | instid1(VALU_DEP_2)
	v_cvt_f32_f16_e32 v4, v4
	v_div_fmas_f32 v15, v15, v17, v18
	v_cvt_f32_f16_e32 v17, v2
	v_lshrrev_b32_e32 v2, 16, v2
	v_cvt_f32_f16_e32 v18, v3
	v_lshrrev_b32_e32 v3, 16, v3
	v_div_fixup_f32 v5, v15, v16, v5
	s_delay_alu instid0(VALU_DEP_4) | instskip(NEXT) | instid1(VALU_DEP_3)
	v_cvt_f32_f16_e32 v2, v2
	v_cvt_f32_f16_e32 v3, v3
	s_delay_alu instid0(VALU_DEP_3) | instskip(NEXT) | instid1(VALU_DEP_1)
	v_cvt_f64_f32_e32 v[15:16], v5
	v_add_f64 v[15:16], v[15:16], s[24:25]
	s_delay_alu instid0(VALU_DEP_1) | instskip(SKIP_2) | instid1(VALU_DEP_1)
	v_cvt_f32_f64_e32 v5, v[15:16]
	v_cvt_f32_f16_e32 v16, v1
	v_lshrrev_b32_e32 v1, 16, v1
	v_cvt_f32_f16_e32 v1, v1
	s_delay_alu instid0(VALU_DEP_4) | instskip(SKIP_1) | instid1(VALU_DEP_2)
	v_mul_f32_e32 v15, 0x4b800000, v5
	v_cmp_gt_f32_e32 vcc_lo, 0x800000, v5
	v_cndmask_b32_e32 v5, v5, v15, vcc_lo
	s_delay_alu instid0(VALU_DEP_1) | instskip(SKIP_2) | instid1(VALU_DEP_1)
	v_rsq_f32_e32 v15, v5
	s_waitcnt_depctr 0xfff
	v_mul_f32_e32 v19, 0x45800000, v15
	v_cndmask_b32_e32 v15, v15, v19, vcc_lo
	s_delay_alu instid0(VALU_DEP_1) | instskip(NEXT) | instid1(VALU_DEP_1)
	v_mul_f32_e32 v14, v14, v15
	v_mul_f32_e32 v4, v14, v4
	v_dual_mul_f32 v10, v10, v15 :: v_dual_lshlrev_b32 v5, 3, v0
	v_dual_mov_b32 v21, 0x2edbe6ff :: v_dual_mul_f32 v22, v12, v15
	v_mul_f32_e32 v8, v8, v15
	s_delay_alu instid0(VALU_DEP_3) | instskip(SKIP_1) | instid1(VALU_DEP_3)
	v_dual_mul_f32 v19, v11, v15 :: v_dual_mul_f32 v10, v10, v2
	v_mul_f32_e32 v7, v7, v15
	v_dual_mul_f32 v13, v13, v15 :: v_dual_mul_f32 v12, v8, v16
	v_mul_f32_e32 v8, v22, v3
	s_delay_alu instid0(VALU_DEP_4) | instskip(NEXT) | instid1(VALU_DEP_4)
	v_dual_mul_f32 v9, v9, v15 :: v_dual_and_b32 v14, 0x7fffffff, v10
	v_mul_f32_e32 v11, v7, v1
	s_delay_alu instid0(VALU_DEP_3) | instskip(SKIP_1) | instid1(VALU_DEP_3)
	v_dual_mul_f32 v7, v19, v18 :: v_dual_and_b32 v16, 0x7fffffff, v8
	v_mul_f32_e32 v3, v13, v20
	v_dual_mul_f32 v9, v9, v17 :: v_dual_and_b32 v2, 0x7fffffff, v11
	v_and_b32_e32 v1, 0x7fffffff, v12
	;;#ASMSTART
	v_max3_f32 v1, v21, v1, v2

	;;#ASMEND
	v_and_b32_e32 v15, 0x7fffffff, v7
	s_delay_alu instid0(VALU_DEP_3)
	v_and_b32_e32 v13, 0x7fffffff, v9
	;;#ASMSTART
	v_max3_f32 v1, v1, v13, v14

	;;#ASMEND
	v_and_b32_e32 v17, 0x7fffffff, v3
	v_and_b32_e32 v18, 0x7fffffff, v4
	;;#ASMSTART
	v_max3_f32 v1, v1, v15, v16

	;;#ASMEND
	;;#ASMSTART
	v_max3_f32 v13, v1, v17, v18

	;;#ASMEND
	s_cbranch_scc0 .LBB33_10
; %bb.4:
	s_ashr_i32 s7, s10, 31
	s_delay_alu instid0(SALU_CYCLE_1) | instskip(NEXT) | instid1(SALU_CYCLE_1)
	s_lshr_b32 s1, s7, 29
	s_add_i32 s1, s10, s1
	s_delay_alu instid0(SALU_CYCLE_1) | instskip(NEXT) | instid1(SALU_CYCLE_1)
	s_ashr_i32 s1, s1, 3
	s_cmp_lt_i32 s1, 8
	s_cbranch_scc1 .LBB33_11
; %bb.5:
	s_cmp_lt_i32 s1, 16
	s_cbranch_scc1 .LBB33_12
; %bb.6:
	s_cmp_lt_i32 s1, 32
	s_cbranch_scc1 .LBB33_13
; %bb.7:
	v_mov_b32_e32 v1, v13
	s_cmp_eq_u32 s1, 32
	s_cbranch_scc0 .LBB33_9
; %bb.8:
	s_delay_alu instid0(VALU_DEP_1) | instskip(SKIP_1) | instid1(VALU_DEP_1)
	v_mov_b32_dpp v1, v13 quad_perm:[1,0,3,2] row_mask:0xf bank_mask:0xf
	s_mov_b32 s2, 0x76543210
	v_cmp_gt_f32_e32 vcc_lo, v13, v1
	v_cndmask_b32_e32 v1, v1, v13, vcc_lo
	s_delay_alu instid0(VALU_DEP_1) | instskip(NEXT) | instid1(VALU_DEP_1)
	v_mov_b32_dpp v2, v1 quad_perm:[2,3,0,1] row_mask:0xf bank_mask:0xf
	v_cmp_gt_f32_e32 vcc_lo, v1, v2
	v_cndmask_b32_e32 v1, v2, v1, vcc_lo
	s_delay_alu instid0(VALU_DEP_1) | instskip(NEXT) | instid1(VALU_DEP_1)
	v_mov_b32_dpp v2, v1 row_xmask:7 row_mask:0xf bank_mask:0xf
	v_cmp_gt_f32_e32 vcc_lo, v1, v2
	v_cndmask_b32_e32 v1, v2, v1, vcc_lo
	s_delay_alu instid0(VALU_DEP_1) | instskip(NEXT) | instid1(VALU_DEP_1)
	v_mov_b32_dpp v2, v1 row_xmask:15 row_mask:0xf bank_mask:0xf
	v_cmp_gt_f32_e32 vcc_lo, v1, v2
	v_cndmask_b32_e32 v1, v2, v1, vcc_lo
	s_delay_alu instid0(VALU_DEP_1) | instskip(NEXT) | instid1(VALU_DEP_1)
	v_permlanex16_b32 v2, v1, s2, 0xfedcba98 op_sel:[1,1]
	v_cmp_gt_f32_e32 vcc_lo, v1, v2
	v_cndmask_b32_e32 v1, v2, v1, vcc_lo
.LBB33_9:
	s_mov_b32 s2, 0
	s_branch .LBB33_14
.LBB33_10:
	s_mov_b32 s1, 0
                                        ; implicit-def: $vgpr14
                                        ; implicit-def: $vgpr1_vgpr2
	s_and_b32 vcc_lo, exec_lo, s31
	s_cbranch_vccnz .LBB33_38
	s_branch .LBB33_41
.LBB33_11:
                                        ; implicit-def: $vgpr1
	s_branch .LBB33_21
.LBB33_12:
                                        ; implicit-def: $vgpr1
	s_branch .LBB33_18
.LBB33_13:
	s_mov_b32 s2, -1
                                        ; implicit-def: $vgpr1
.LBB33_14:
	s_delay_alu instid0(SALU_CYCLE_1)
	s_and_not1_b32 vcc_lo, exec_lo, s2
	s_cbranch_vccnz .LBB33_17
; %bb.15:
	v_mov_b32_e32 v1, v13
	s_cmp_eq_u32 s1, 16
	s_cbranch_scc0 .LBB33_17
; %bb.16:
	s_delay_alu instid0(VALU_DEP_1) | instskip(NEXT) | instid1(VALU_DEP_1)
	v_mov_b32_dpp v1, v13 quad_perm:[1,0,3,2] row_mask:0xf bank_mask:0xf
	v_cmp_gt_f32_e32 vcc_lo, v13, v1
	v_cndmask_b32_e32 v1, v1, v13, vcc_lo
	s_delay_alu instid0(VALU_DEP_1) | instskip(NEXT) | instid1(VALU_DEP_1)
	v_mov_b32_dpp v2, v1 quad_perm:[2,3,0,1] row_mask:0xf bank_mask:0xf
	v_cmp_gt_f32_e32 vcc_lo, v1, v2
	v_cndmask_b32_e32 v1, v2, v1, vcc_lo
	s_delay_alu instid0(VALU_DEP_1) | instskip(NEXT) | instid1(VALU_DEP_1)
	v_mov_b32_dpp v2, v1 row_half_mirror row_mask:0xf bank_mask:0xf
	v_cmp_gt_f32_e32 vcc_lo, v1, v2
	v_cndmask_b32_e32 v1, v2, v1, vcc_lo
	s_delay_alu instid0(VALU_DEP_1) | instskip(NEXT) | instid1(VALU_DEP_1)
	v_mov_b32_dpp v2, v1 row_mirror row_mask:0xf bank_mask:0xf
	v_cmp_gt_f32_e32 vcc_lo, v1, v2
	v_cndmask_b32_e32 v1, v2, v1, vcc_lo
.LBB33_17:
	s_cbranch_execnz .LBB33_20
.LBB33_18:
	v_mov_b32_e32 v1, v13
	s_cmp_eq_u32 s1, 8
	s_cbranch_scc0 .LBB33_20
; %bb.19:
	s_delay_alu instid0(VALU_DEP_1) | instskip(NEXT) | instid1(VALU_DEP_1)
	v_mov_b32_dpp v1, v13 quad_perm:[1,0,3,2] row_mask:0xf bank_mask:0xf
	v_cmp_gt_f32_e32 vcc_lo, v13, v1
	v_cndmask_b32_e32 v1, v1, v13, vcc_lo
	s_delay_alu instid0(VALU_DEP_1) | instskip(NEXT) | instid1(VALU_DEP_1)
	v_mov_b32_dpp v2, v1 quad_perm:[2,3,0,1] row_mask:0xf bank_mask:0xf
	v_cmp_gt_f32_e32 vcc_lo, v1, v2
	v_cndmask_b32_e32 v1, v2, v1, vcc_lo
	s_delay_alu instid0(VALU_DEP_1) | instskip(NEXT) | instid1(VALU_DEP_1)
	v_mov_b32_dpp v2, v1 row_half_mirror row_mask:0xf bank_mask:0xf
	v_cmp_gt_f32_e32 vcc_lo, v1, v2
	v_cndmask_b32_e32 v1, v2, v1, vcc_lo
.LBB33_20:
	s_cbranch_execnz .LBB33_28
.LBB33_21:
	s_cmp_lt_i32 s1, 4
	s_cbranch_scc1 .LBB33_24
; %bb.22:
	v_mov_b32_e32 v1, v13
	s_cmp_eq_u32 s1, 4
	s_cbranch_scc0 .LBB33_25
; %bb.23:
	s_delay_alu instid0(VALU_DEP_1) | instskip(NEXT) | instid1(VALU_DEP_1)
	v_mov_b32_dpp v1, v13 quad_perm:[1,0,3,2] row_mask:0xf bank_mask:0xf
	v_cmp_gt_f32_e32 vcc_lo, v13, v1
	v_cndmask_b32_e32 v1, v1, v13, vcc_lo
	s_delay_alu instid0(VALU_DEP_1) | instskip(NEXT) | instid1(VALU_DEP_1)
	v_mov_b32_dpp v2, v1 quad_perm:[2,3,0,1] row_mask:0xf bank_mask:0xf
	v_cmp_gt_f32_e32 vcc_lo, v1, v2
	v_cndmask_b32_e32 v1, v2, v1, vcc_lo
	s_cbranch_execz .LBB33_26
	s_branch .LBB33_28
.LBB33_24:
                                        ; implicit-def: $vgpr1
	s_branch .LBB33_26
.LBB33_25:
	s_cbranch_execnz .LBB33_28
.LBB33_26:
	v_mov_b32_e32 v1, v13
	s_cmp_lg_u32 s1, 2
	s_cbranch_scc1 .LBB33_28
; %bb.27:
	s_delay_alu instid0(VALU_DEP_1) | instskip(NEXT) | instid1(VALU_DEP_1)
	v_mov_b32_dpp v1, v13 quad_perm:[1,0,3,2] row_mask:0xf bank_mask:0xf
	v_cmp_gt_f32_e32 vcc_lo, v13, v1
	v_cndmask_b32_e32 v1, v1, v13, vcc_lo
.LBB33_28:
	v_cvt_f32_u32_e32 v2, s1
	s_sub_i32 s2, 0, s1
	s_mov_b32 s31, 0
	s_delay_alu instid0(VALU_DEP_1) | instskip(SKIP_2) | instid1(VALU_DEP_1)
	v_rcp_iflag_f32_e32 v2, v2
	s_waitcnt_depctr 0xfff
	v_mul_f32_e32 v2, 0x4f7ffffe, v2
	v_cvt_u32_f32_e32 v2, v2
	s_delay_alu instid0(VALU_DEP_1) | instskip(NEXT) | instid1(VALU_DEP_1)
	v_mul_lo_u32 v14, s2, v2
	v_mul_hi_u32 v14, v2, v14
	s_delay_alu instid0(VALU_DEP_1) | instskip(NEXT) | instid1(VALU_DEP_1)
	v_add_nc_u32_e32 v2, v2, v14
	v_mul_hi_u32 v2, v0, v2
	s_delay_alu instid0(VALU_DEP_1) | instskip(NEXT) | instid1(VALU_DEP_1)
	v_mul_lo_u32 v14, v2, s1
	v_sub_nc_u32_e32 v14, v0, v14
	s_delay_alu instid0(VALU_DEP_1) | instskip(SKIP_1) | instid1(VALU_DEP_2)
	v_subrev_nc_u32_e32 v16, s1, v14
	v_cmp_le_u32_e32 vcc_lo, s1, v14
	v_dual_cndmask_b32 v14, v14, v16 :: v_dual_add_nc_u32 v15, 1, v2
	s_delay_alu instid0(VALU_DEP_1) | instskip(NEXT) | instid1(VALU_DEP_2)
	v_cndmask_b32_e32 v2, v2, v15, vcc_lo
	v_cmp_le_u32_e32 vcc_lo, s1, v14
	s_delay_alu instid0(VALU_DEP_2) | instskip(NEXT) | instid1(VALU_DEP_1)
	v_dual_mul_f32 v14, 0x3c010204, v1 :: v_dual_add_nc_u32 v15, 1, v2
	v_cndmask_b32_e32 v15, v2, v15, vcc_lo
	v_cmp_gt_u32_e32 vcc_lo, s5, v5
	s_delay_alu instid0(VALU_DEP_2) | instskip(NEXT) | instid1(VALU_DEP_1)
	v_mul_lo_u32 v2, v15, s1
	v_sub_nc_u32_e32 v2, v0, v2
	s_delay_alu instid0(VALU_DEP_1) | instskip(NEXT) | instid1(VALU_DEP_1)
	v_cmp_eq_u32_e64 s1, 0, v2
                                        ; implicit-def: $vgpr1_vgpr2
	s_and_b32 s2, s1, vcc_lo
	s_mov_b32 s1, 0
	s_and_saveexec_b32 s3, s2
	s_delay_alu instid0(SALU_CYCLE_1)
	s_xor_b32 s8, exec_lo, s3
	s_cbranch_execz .LBB33_37
; %bb.29:
	s_bitcmp0_b32 s11, 0
	s_mov_b32 s6, 0
	s_cbranch_scc0 .LBB33_34
; %bb.30:
	s_ashr_i32 s1, s5, 31
	s_mul_hi_u32 s3, s5, s34
	s_mul_i32 s1, s1, s34
	s_mul_i32 s2, s5, s34
	s_add_i32 s3, s3, s1
	s_mov_b32 s11, s7
	s_delay_alu instid0(SALU_CYCLE_1) | instskip(NEXT) | instid1(SALU_CYCLE_1)
	s_or_b64 s[14:15], s[2:3], s[10:11]
	s_mov_b32 s7, s15
	s_delay_alu instid0(SALU_CYCLE_1)
	s_cmp_lg_u64 s[6:7], 0
	s_cbranch_scc0 .LBB33_45
; %bb.31:
	s_add_u32 s14, s10, s11
	s_mov_b32 s6, s11
	s_mov_b32 s7, s11
	s_addc_u32 s15, s11, s11
	s_delay_alu instid0(SALU_CYCLE_1) | instskip(NEXT) | instid1(SALU_CYCLE_1)
	s_xor_b64 s[14:15], s[14:15], s[6:7]
	v_cvt_f32_u32_e32 v1, s14
	v_cvt_f32_u32_e32 v2, s15
	s_sub_u32 s18, 0, s14
	s_subb_u32 s19, 0, s15
	s_delay_alu instid0(VALU_DEP_1) | instskip(NEXT) | instid1(VALU_DEP_1)
	v_fmamk_f32 v1, v2, 0x4f800000, v1
	v_rcp_f32_e32 v1, v1
	s_waitcnt_depctr 0xfff
	v_mul_f32_e32 v1, 0x5f7ffffc, v1
	s_delay_alu instid0(VALU_DEP_1) | instskip(NEXT) | instid1(VALU_DEP_1)
	v_mul_f32_e32 v2, 0x2f800000, v1
	v_trunc_f32_e32 v2, v2
	s_delay_alu instid0(VALU_DEP_1) | instskip(SKIP_1) | instid1(VALU_DEP_2)
	v_fmamk_f32 v1, v2, 0xcf800000, v1
	v_cvt_u32_f32_e32 v2, v2
	v_cvt_u32_f32_e32 v1, v1
	s_delay_alu instid0(VALU_DEP_2) | instskip(NEXT) | instid1(VALU_DEP_2)
	v_readfirstlane_b32 s1, v2
	v_readfirstlane_b32 s11, v1
	s_delay_alu instid0(VALU_DEP_2) | instskip(NEXT) | instid1(VALU_DEP_1)
	s_mul_i32 s20, s18, s1
	s_mul_hi_u32 s22, s18, s11
	s_mul_i32 s21, s19, s11
	s_add_i32 s20, s22, s20
	s_mul_i32 s23, s18, s11
	s_add_i32 s20, s20, s21
	s_mul_hi_u32 s22, s11, s23
	s_mul_hi_u32 s24, s1, s23
	s_mul_i32 s21, s1, s23
	s_mul_hi_u32 s23, s11, s20
	s_mul_i32 s11, s11, s20
	s_mul_hi_u32 s25, s1, s20
	s_add_u32 s11, s22, s11
	s_addc_u32 s22, 0, s23
	s_add_u32 s11, s11, s21
	s_mul_i32 s20, s1, s20
	s_addc_u32 s11, s22, s24
	s_addc_u32 s21, s25, 0
	s_add_u32 s11, s11, s20
	s_addc_u32 s20, 0, s21
	v_add_co_u32 v1, s11, v1, s11
	s_delay_alu instid0(VALU_DEP_1) | instskip(SKIP_1) | instid1(VALU_DEP_1)
	s_cmp_lg_u32 s11, 0
	s_addc_u32 s1, s1, s20
	v_readfirstlane_b32 s11, v1
	s_mul_i32 s20, s18, s1
	s_delay_alu instid0(VALU_DEP_1)
	s_mul_hi_u32 s21, s18, s11
	s_mul_i32 s19, s19, s11
	s_add_i32 s20, s21, s20
	s_mul_i32 s18, s18, s11
	s_add_i32 s20, s20, s19
	s_mul_hi_u32 s21, s1, s18
	s_mul_i32 s22, s1, s18
	s_mul_hi_u32 s18, s11, s18
	s_mul_hi_u32 s23, s11, s20
	s_mul_i32 s11, s11, s20
	s_mul_hi_u32 s19, s1, s20
	s_add_u32 s11, s18, s11
	s_addc_u32 s18, 0, s23
	s_add_u32 s11, s11, s22
	s_mul_i32 s20, s1, s20
	s_addc_u32 s11, s18, s21
	s_addc_u32 s18, s19, 0
	s_add_u32 s11, s11, s20
	s_addc_u32 s18, 0, s18
	v_add_co_u32 v1, s11, v1, s11
	s_delay_alu instid0(VALU_DEP_1) | instskip(SKIP_2) | instid1(SALU_CYCLE_1)
	s_cmp_lg_u32 s11, 0
	s_addc_u32 s1, s1, s18
	s_ashr_i32 s18, s3, 31
	s_add_u32 s20, s2, s18
	s_addc_u32 s21, s3, s18
	v_readfirstlane_b32 s3, v1
	s_mov_b32 s19, s18
	s_delay_alu instid0(SALU_CYCLE_1) | instskip(NEXT) | instid1(SALU_CYCLE_1)
	s_xor_b64 s[20:21], s[20:21], s[18:19]
	s_mul_i32 s22, s20, s1
	s_delay_alu instid0(VALU_DEP_1)
	s_mul_hi_u32 s23, s20, s3
	s_mul_hi_u32 s11, s20, s1
	;; [unrolled: 1-line block ×3, first 2 shown]
	s_mul_i32 s3, s21, s3
	s_add_u32 s22, s23, s22
	s_addc_u32 s11, 0, s11
	s_mul_hi_u32 s24, s21, s1
	s_add_u32 s3, s22, s3
	s_mul_i32 s1, s21, s1
	s_addc_u32 s3, s11, s25
	s_addc_u32 s11, s24, 0
	s_add_u32 s3, s3, s1
	s_addc_u32 s11, 0, s11
	s_mul_i32 s24, s14, s3
	s_mul_hi_u32 s1, s14, s3
	s_mul_i32 s23, s14, s11
	v_sub_co_u32 v1, s20, s20, s24
	s_mul_i32 s22, s15, s3
	s_add_i32 s1, s1, s23
	s_delay_alu instid0(SALU_CYCLE_1) | instskip(NEXT) | instid1(VALU_DEP_1)
	s_add_i32 s1, s1, s22
	v_sub_co_u32 v2, s23, v1, s14
	s_sub_i32 s22, s21, s1
	s_cmp_lg_u32 s20, 0
	s_subb_u32 s22, s22, s15
	s_cmp_lg_u32 s23, 0
	v_cmp_le_u32_e32 vcc_lo, s14, v2
	s_subb_u32 s22, s22, 0
	s_delay_alu instid0(SALU_CYCLE_1)
	s_cmp_ge_u32 s22, s15
	v_cndmask_b32_e64 v2, 0, -1, vcc_lo
	s_cselect_b32 s23, -1, 0
	s_cmp_eq_u32 s22, s15
	s_cselect_b32 vcc_lo, -1, 0
	s_add_u32 s22, s3, 1
	v_cndmask_b32_e32 v2, s23, v2, vcc_lo
	s_addc_u32 s23, s11, 0
	s_add_u32 s24, s3, 2
	s_addc_u32 s25, s11, 0
	s_cmp_lg_u32 s20, 0
	v_cmp_le_u32_e32 vcc_lo, s14, v1
	s_subb_u32 s1, s21, s1
	v_mov_b32_e32 v16, s24
	s_cmp_ge_u32 s1, s15
	v_cndmask_b32_e64 v1, 0, -1, vcc_lo
	s_cselect_b32 s14, -1, 0
	s_cmp_eq_u32 s1, s15
	v_cmp_ne_u32_e32 vcc_lo, 0, v2
	v_mov_b32_e32 v2, s25
	s_cselect_b32 s1, -1, 0
	s_xor_b64 s[6:7], s[18:19], s[6:7]
	v_cndmask_b32_e64 v1, s14, v1, s1
	v_cndmask_b32_e32 v16, s22, v16, vcc_lo
	v_cndmask_b32_e32 v2, s23, v2, vcc_lo
	s_delay_alu instid0(VALU_DEP_3) | instskip(NEXT) | instid1(VALU_DEP_2)
	v_cmp_ne_u32_e32 vcc_lo, 0, v1
	v_cndmask_b32_e32 v1, s11, v2, vcc_lo
	s_delay_alu instid0(VALU_DEP_4) | instskip(NEXT) | instid1(VALU_DEP_2)
	v_cndmask_b32_e32 v2, s3, v16, vcc_lo
	v_xor_b32_e32 v16, s7, v1
	s_delay_alu instid0(VALU_DEP_2) | instskip(NEXT) | instid1(VALU_DEP_1)
	v_xor_b32_e32 v2, s6, v2
	v_sub_co_u32 v1, vcc_lo, v2, s6
	s_delay_alu instid0(VALU_DEP_3)
	v_subrev_co_ci_u32_e32 v2, vcc_lo, s7, v16, vcc_lo
	s_cbranch_execnz .LBB33_33
.LBB33_32:
	v_cvt_f32_u32_e32 v1, s10
	s_sub_i32 s3, 0, s10
	s_delay_alu instid0(VALU_DEP_1) | instskip(SKIP_2) | instid1(VALU_DEP_1)
	v_rcp_iflag_f32_e32 v1, v1
	s_waitcnt_depctr 0xfff
	v_mul_f32_e32 v1, 0x4f7ffffe, v1
	v_cvt_u32_f32_e32 v1, v1
	s_delay_alu instid0(VALU_DEP_1) | instskip(NEXT) | instid1(VALU_DEP_1)
	v_readfirstlane_b32 s1, v1
	s_mul_i32 s3, s3, s1
	s_delay_alu instid0(SALU_CYCLE_1) | instskip(NEXT) | instid1(SALU_CYCLE_1)
	s_mul_hi_u32 s3, s1, s3
	s_add_i32 s1, s1, s3
	s_delay_alu instid0(SALU_CYCLE_1) | instskip(NEXT) | instid1(SALU_CYCLE_1)
	s_mul_hi_u32 s1, s2, s1
	s_mul_i32 s3, s1, s10
	s_delay_alu instid0(SALU_CYCLE_1)
	s_sub_i32 s2, s2, s3
	s_add_i32 s3, s1, 1
	s_sub_i32 s6, s2, s10
	s_cmp_ge_u32 s2, s10
	s_cselect_b32 s1, s3, s1
	s_cselect_b32 s2, s6, s2
	s_add_i32 s6, s1, 1
	s_cmp_ge_u32 s2, s10
	s_mov_b32 s3, 0
	s_cselect_b32 s2, s6, s1
	s_delay_alu instid0(SALU_CYCLE_1)
	v_dual_mov_b32 v1, s2 :: v_dual_mov_b32 v2, s3
.LBB33_33:
	s_delay_alu instid0(VALU_DEP_1) | instskip(NEXT) | instid1(VALU_DEP_2)
	v_add_co_u32 v1, vcc_lo, v1, v15
	v_add_co_ci_u32_e32 v2, vcc_lo, 0, v2, vcc_lo
	s_branch .LBB33_36
.LBB33_34:
                                        ; implicit-def: $vgpr1_vgpr2
	s_cbranch_execz .LBB33_36
; %bb.35:
	v_mul_lo_u32 v1, v15, s4
	s_delay_alu instid0(VALU_DEP_1) | instskip(SKIP_1) | instid1(VALU_DEP_2)
	v_ashrrev_i32_e32 v2, 31, v1
	v_add_co_u32 v1, vcc_lo, v1, s34
	v_add_co_ci_u32_e32 v2, vcc_lo, 0, v2, vcc_lo
.LBB33_36:
	s_mov_b32 s1, exec_lo
.LBB33_37:
	s_or_b32 exec_lo, exec_lo, s8
	s_delay_alu instid0(SALU_CYCLE_1)
	s_and_b32 vcc_lo, exec_lo, s31
	s_cbranch_vccz .LBB33_41
.LBB33_38:
	v_mov_b32_dpp v1, v13 quad_perm:[1,0,3,2] row_mask:0xf bank_mask:0xf
	s_delay_alu instid0(VALU_DEP_1) | instskip(SKIP_1) | instid1(VALU_DEP_1)
	v_cmp_gt_f32_e32 vcc_lo, v13, v1
	v_cndmask_b32_e32 v1, v1, v13, vcc_lo
	v_mov_b32_dpp v2, v1 quad_perm:[2,3,0,1] row_mask:0xf bank_mask:0xf
	s_delay_alu instid0(VALU_DEP_1) | instskip(SKIP_1) | instid1(VALU_DEP_1)
	v_cmp_gt_f32_e32 vcc_lo, v1, v2
	v_cndmask_b32_e32 v1, v2, v1, vcc_lo
	v_mov_b32_dpp v2, v1 row_xmask:7 row_mask:0xf bank_mask:0xf
	s_delay_alu instid0(VALU_DEP_1) | instskip(SKIP_1) | instid1(VALU_DEP_1)
	v_cmp_gt_f32_e32 vcc_lo, v1, v2
	v_cndmask_b32_e32 v1, v2, v1, vcc_lo
	v_mov_b32_dpp v2, v1 row_xmask:15 row_mask:0xf bank_mask:0xf
	s_delay_alu instid0(VALU_DEP_1)
	v_cmp_gt_f32_e32 vcc_lo, v1, v2
	s_and_saveexec_b32 s1, s0
	s_cbranch_execz .LBB33_40
; %bb.39:
	v_cndmask_b32_e32 v1, v2, v1, vcc_lo
	v_lshrrev_b32_e32 v2, 3, v0
	s_mov_b32 s0, 0x76543210
	s_delay_alu instid0(VALU_DEP_1) | instskip(NEXT) | instid1(VALU_DEP_3)
	v_and_b32_e32 v2, 0x7c, v2
	v_permlanex16_b32 v13, v1, s0, 0xfedcba98 op_sel:[1,1]
	s_delay_alu instid0(VALU_DEP_1)
	v_cmp_gt_f32_e32 vcc_lo, v1, v13
	v_cndmask_b32_e32 v1, v13, v1, vcc_lo
	ds_store_b32 v2, v1
.LBB33_40:
	s_or_b32 exec_lo, exec_lo, s1
	s_waitcnt lgkmcnt(0)
	s_barrier
	buffer_gl0_inv
	ds_load_b32 v1, v6
	v_cmp_eq_u32_e64 s1, 0, v0
	s_waitcnt lgkmcnt(0)
	v_mov_b32_dpp v2, v1 quad_perm:[1,0,3,2] row_mask:0xf bank_mask:0xf
	s_delay_alu instid0(VALU_DEP_1) | instskip(SKIP_1) | instid1(VALU_DEP_1)
	v_cmp_gt_f32_e32 vcc_lo, v1, v2
	v_cndmask_b32_e32 v1, v2, v1, vcc_lo
	v_dual_mul_f32 v14, 0x3c010204, v1 :: v_dual_mov_b32 v1, s34
	v_mov_b32_e32 v2, s35
.LBB33_41:
	s_and_saveexec_b32 s0, s1
	s_cbranch_execz .LBB33_43
; %bb.42:
	s_delay_alu instid0(VALU_DEP_1) | instskip(NEXT) | instid1(VALU_DEP_1)
	v_lshlrev_b64 v[0:1], 2, v[1:2]
	v_add_co_u32 v0, vcc_lo, s16, v0
	s_delay_alu instid0(VALU_DEP_2)
	v_add_co_ci_u32_e32 v1, vcc_lo, s17, v1, vcc_lo
	global_store_b32 v[0:1], v14, off
.LBB33_43:
	s_or_b32 exec_lo, exec_lo, s0
	;;#ASMSTART
	v_rcp_f32 v0, v14
	;;#ASMEND
	v_mul_f32_e32 v7, v7, v0
	v_mul_f32_e32 v1, v12, v0
	;; [unrolled: 1-line block ×4, first 2 shown]
	s_add_i32 s0, s5, 3
	v_cvt_i32_f32_e32 v7, v7
	v_mul_f32_e32 v2, v11, v0
	v_cvt_i32_f32_e32 v1, v1
	v_mul_f32_e32 v6, v9, v0
	v_cvt_i32_f32_e32 v4, v4
	v_and_b32_e32 v7, 0xff, v7
	v_cvt_i32_f32_e32 v2, v2
	v_and_b32_e32 v1, 0xff, v1
	s_ashr_i32 s1, s0, 31
	v_lshlrev_b16 v4, 8, v4
	s_lshr_b32 s1, s1, 30
	v_lshlrev_b16 v2, 8, v2
	s_add_i32 s0, s0, s1
	s_ashr_i32 s1, s9, 31
	s_and_b32 s2, s0, -4
	s_mul_hi_u32 s0, s9, s34
	v_or_b32_e32 v1, v1, v2
	v_mul_f32_e32 v9, v10, v0
	v_mul_f32_e32 v0, v3, v0
	v_cvt_i32_f32_e32 v3, v6
	s_mul_i32 s1, s1, s34
	s_mul_i32 s3, s9, s34
	s_add_i32 s1, s0, s1
	v_cvt_i32_f32_e32 v0, v0
	v_and_b32_e32 v3, 0xff, v3
	v_cvt_i32_f32_e32 v6, v8
	s_add_u32 s0, s12, s3
	s_addc_u32 s1, s13, s1
	v_and_b32_e32 v0, 0xff, v0
	s_and_b32 s1, s1, 0xffff
	v_lshlrev_b16 v6, 8, v6
	s_mov_b32 s3, -1
	s_delay_alu instid0(VALU_DEP_2) | instskip(SKIP_3) | instid1(VALU_DEP_4)
	v_or_b32_e32 v0, v0, v4
	v_and_b32_e32 v4, 0xffff, v1
	v_cvt_i32_f32_e32 v8, v9
	v_or_b32_e32 v6, v7, v6
	v_lshlrev_b32_e32 v0, 16, v0
	s_delay_alu instid0(VALU_DEP_3) | instskip(NEXT) | instid1(VALU_DEP_1)
	v_lshlrev_b16 v8, 8, v8
	v_or_b32_e32 v2, v3, v8
	s_delay_alu instid0(VALU_DEP_4) | instskip(NEXT) | instid1(VALU_DEP_2)
	v_and_b32_e32 v3, 0xffff, v6
	v_lshlrev_b32_e32 v2, 16, v2
	s_delay_alu instid0(VALU_DEP_2) | instskip(NEXT) | instid1(VALU_DEP_2)
	v_or_b32_e32 v1, v3, v0
	v_or_b32_e32 v0, v4, v2
	buffer_store_b64 v[0:1], v5, s[0:3], 0 offen
	;;#ASMSTART
	s_nop 0
	;;#ASMEND
.LBB33_44:
	s_nop 0
	s_sendmsg sendmsg(MSG_DEALLOC_VGPRS)
	s_endpgm
.LBB33_45:
                                        ; implicit-def: $vgpr1_vgpr2
	s_branch .LBB33_32
	.section	.rodata,"a",@progbits
	.p2align	6, 0x0
	.amdhsa_kernel _ZN5aiter24add_rmsnorm_quant_kernelIDF16_aLi64ELi8ELb1ELb1ELb1ELi1EEEvPT0_PT_PfS4_S4_S4_diiiiiiib
		.amdhsa_group_segment_fixed_size 16
		.amdhsa_private_segment_fixed_size 0
		.amdhsa_kernarg_size 88
		.amdhsa_user_sgpr_count 15
		.amdhsa_user_sgpr_dispatch_ptr 0
		.amdhsa_user_sgpr_queue_ptr 0
		.amdhsa_user_sgpr_kernarg_segment_ptr 1
		.amdhsa_user_sgpr_dispatch_id 0
		.amdhsa_user_sgpr_private_segment_size 0
		.amdhsa_wavefront_size32 1
		.amdhsa_uses_dynamic_stack 0
		.amdhsa_enable_private_segment 0
		.amdhsa_system_sgpr_workgroup_id_x 1
		.amdhsa_system_sgpr_workgroup_id_y 0
		.amdhsa_system_sgpr_workgroup_id_z 0
		.amdhsa_system_sgpr_workgroup_info 0
		.amdhsa_system_vgpr_workitem_id 0
		.amdhsa_next_free_vgpr 25
		.amdhsa_next_free_sgpr 36
		.amdhsa_reserve_vcc 1
		.amdhsa_float_round_mode_32 0
		.amdhsa_float_round_mode_16_64 0
		.amdhsa_float_denorm_mode_32 3
		.amdhsa_float_denorm_mode_16_64 3
		.amdhsa_dx10_clamp 1
		.amdhsa_ieee_mode 1
		.amdhsa_fp16_overflow 0
		.amdhsa_workgroup_processor_mode 1
		.amdhsa_memory_ordered 1
		.amdhsa_forward_progress 0
		.amdhsa_shared_vgpr_count 0
		.amdhsa_exception_fp_ieee_invalid_op 0
		.amdhsa_exception_fp_denorm_src 0
		.amdhsa_exception_fp_ieee_div_zero 0
		.amdhsa_exception_fp_ieee_overflow 0
		.amdhsa_exception_fp_ieee_underflow 0
		.amdhsa_exception_fp_ieee_inexact 0
		.amdhsa_exception_int_div_zero 0
	.end_amdhsa_kernel
	.section	.text._ZN5aiter24add_rmsnorm_quant_kernelIDF16_aLi64ELi8ELb1ELb1ELb1ELi1EEEvPT0_PT_PfS4_S4_S4_diiiiiiib,"axG",@progbits,_ZN5aiter24add_rmsnorm_quant_kernelIDF16_aLi64ELi8ELb1ELb1ELb1ELi1EEEvPT0_PT_PfS4_S4_S4_diiiiiiib,comdat
.Lfunc_end33:
	.size	_ZN5aiter24add_rmsnorm_quant_kernelIDF16_aLi64ELi8ELb1ELb1ELb1ELi1EEEvPT0_PT_PfS4_S4_S4_diiiiiiib, .Lfunc_end33-_ZN5aiter24add_rmsnorm_quant_kernelIDF16_aLi64ELi8ELb1ELb1ELb1ELi1EEEvPT0_PT_PfS4_S4_S4_diiiiiiib
                                        ; -- End function
	.section	.AMDGPU.csdata,"",@progbits
; Kernel info:
; codeLenInByte = 3380
; NumSgprs: 38
; NumVgprs: 25
; ScratchSize: 0
; MemoryBound: 0
; FloatMode: 240
; IeeeMode: 1
; LDSByteSize: 16 bytes/workgroup (compile time only)
; SGPRBlocks: 4
; VGPRBlocks: 3
; NumSGPRsForWavesPerEU: 38
; NumVGPRsForWavesPerEU: 25
; Occupancy: 16
; WaveLimiterHint : 0
; COMPUTE_PGM_RSRC2:SCRATCH_EN: 0
; COMPUTE_PGM_RSRC2:USER_SGPR: 15
; COMPUTE_PGM_RSRC2:TRAP_HANDLER: 0
; COMPUTE_PGM_RSRC2:TGID_X_EN: 1
; COMPUTE_PGM_RSRC2:TGID_Y_EN: 0
; COMPUTE_PGM_RSRC2:TGID_Z_EN: 0
; COMPUTE_PGM_RSRC2:TIDIG_COMP_CNT: 0
	.section	.text._ZN5aiter24add_rmsnorm_quant_kernelItaLi64ELi8ELb1ELb1ELb1ELi1EEEvPT0_PT_PfS4_S4_S4_diiiiiiib,"axG",@progbits,_ZN5aiter24add_rmsnorm_quant_kernelItaLi64ELi8ELb1ELb1ELb1ELi1EEEvPT0_PT_PfS4_S4_S4_diiiiiiib,comdat
	.protected	_ZN5aiter24add_rmsnorm_quant_kernelItaLi64ELi8ELb1ELb1ELb1ELi1EEEvPT0_PT_PfS4_S4_S4_diiiiiiib ; -- Begin function _ZN5aiter24add_rmsnorm_quant_kernelItaLi64ELi8ELb1ELb1ELb1ELi1EEEvPT0_PT_PfS4_S4_S4_diiiiiiib
	.globl	_ZN5aiter24add_rmsnorm_quant_kernelItaLi64ELi8ELb1ELb1ELb1ELi1EEEvPT0_PT_PfS4_S4_S4_diiiiiiib
	.p2align	8
	.type	_ZN5aiter24add_rmsnorm_quant_kernelItaLi64ELi8ELb1ELb1ELb1ELi1EEEvPT0_PT_PfS4_S4_S4_diiiiiiib,@function
_ZN5aiter24add_rmsnorm_quant_kernelItaLi64ELi8ELb1ELb1ELb1ELi1EEEvPT0_PT_PfS4_S4_S4_diiiiiiib: ; @_ZN5aiter24add_rmsnorm_quant_kernelItaLi64ELi8ELb1ELb1ELb1ELi1EEEvPT0_PT_PfS4_S4_S4_diiiiiiib
; %bb.0:
	s_load_b256 s[4:11], s[0:1], 0x38
	s_mov_b32 s34, s15
	s_mov_b32 s35, 0
	s_waitcnt lgkmcnt(0)
	s_ashr_i32 s3, s4, 31
	s_mov_b32 s2, s4
	s_delay_alu instid0(SALU_CYCLE_1) | instskip(NEXT) | instid1(VALU_DEP_1)
	v_cmp_ge_i64_e64 s2, s[34:35], s[2:3]
	s_and_b32 vcc_lo, exec_lo, s2
	s_cbranch_vccnz .LBB34_44
; %bb.1:
	s_clause 0x1
	s_load_b256 s[12:19], s[0:1], 0x0
	s_load_b256 s[20:27], s[0:1], 0x20
	s_ashr_i32 s1, s6, 31
	s_mul_hi_u32 s2, s6, s34
	s_mul_i32 s1, s1, s34
	s_mul_i32 s0, s6, s34
	s_add_i32 s1, s2, s1
	s_mul_hi_u32 s3, s7, s34
	s_lshl_b64 s[0:1], s[0:1], 1
	s_mul_i32 s2, s7, s34
	v_lshlrev_b32_e32 v19, 4, v0
	s_mov_b32 s31, -1
	s_waitcnt lgkmcnt(0)
	s_add_u32 s28, s18, s0
	s_addc_u32 s0, s19, s1
	s_add_i32 s6, s5, 1
	s_ashr_i32 s7, s7, 31
	s_lshr_b32 s18, s6, 31
	s_mul_i32 s7, s7, s34
	s_add_i32 s6, s6, s18
	s_and_b32 s29, s0, 0xffff
	s_lshl_b32 s0, s6, 1
	s_add_i32 s3, s3, s7
	s_and_b32 s30, s0, -4
	s_lshl_b64 s[2:3], s[2:3], 1
	s_and_b32 s1, s23, 0xffff
	buffer_load_b128 v[5:8], v19, s[28:31], 0 offen glc slc
	s_add_u32 s28, s20, s2
	s_addc_u32 s0, s21, s3
	s_mov_b32 s3, s31
	s_and_b32 s29, s0, 0xffff
	s_mov_b32 s0, s22
	buffer_load_b128 v[9:12], v19, s[28:31], 0 offen glc slc
	s_mov_b32 s2, s30
	s_waitcnt vmcnt(1)
	v_lshrrev_b32_e32 v15, 16, v7
	v_and_b32_e32 v17, 0xffff, v7
	v_lshrrev_b32_e32 v14, 16, v6
	v_lshrrev_b32_e32 v18, 16, v8
	s_waitcnt vmcnt(0)
	v_and_b32_e32 v7, 0xffff, v9
	v_lshrrev_b32_e32 v16, 16, v9
	s_delay_alu instid0(VALU_DEP_2) | instskip(SKIP_2) | instid1(VALU_DEP_4)
	v_cvt_f32_u32_e32 v20, v7
	v_and_b32_e32 v13, 0xffff, v5
	v_lshrrev_b32_e32 v5, 16, v5
	v_cvt_f32_u32_e32 v9, v16
	s_delay_alu instid0(VALU_DEP_2) | instskip(NEXT) | instid1(VALU_DEP_1)
	v_cvt_f32_u32_e32 v5, v5
	v_dual_add_f32 v7, v5, v9 :: v_dual_and_b32 v6, 0xffff, v6
	s_delay_alu instid0(VALU_DEP_1) | instskip(SKIP_3) | instid1(VALU_DEP_2)
	v_cvt_f32_u32_e32 v5, v6
	v_and_b32_e32 v16, 0xffff, v8
	v_cvt_f32_u32_e32 v8, v13
	v_lshrrev_b32_e32 v6, 16, v10
	v_add_f32_e32 v8, v8, v20
	v_mul_f32_e32 v20, v7, v7
	buffer_load_b128 v[1:4], v19, s[0:3], 0 offen
	v_cvt_f32_u32_e32 v6, v6
	s_ashr_i32 s0, s8, 31
	s_mul_hi_u32 s1, s8, s34
	v_dual_fmac_f32 v20, v8, v8 :: v_dual_and_b32 v13, 0xffff, v10
	v_cvt_f32_u32_e32 v10, v14
	s_mul_i32 s2, s0, s34
	s_mul_i32 s0, s8, s34
	s_add_i32 s1, s1, s2
	v_cvt_f32_u32_e32 v9, v13
	v_add_f32_e32 v10, v10, v6
	v_cvt_f32_u32_e32 v6, v15
	s_lshl_b64 s[0:1], s[0:1], 1
	s_delay_alu instid0(VALU_DEP_3) | instskip(SKIP_3) | instid1(VALU_DEP_2)
	v_add_f32_e32 v9, v5, v9
	v_cvt_f32_u32_e32 v5, v17
	s_add_u32 s28, s14, s0
	s_addc_u32 s1, s15, s1
	v_dual_fmac_f32 v20, v9, v9 :: v_dual_and_b32 v13, 0xffff, v11
	v_lshrrev_b32_e32 v11, 16, v11
	s_and_b32 s29, s1, 0xffff
	s_delay_alu instid0(VALU_DEP_2) | instskip(NEXT) | instid1(VALU_DEP_3)
	v_fmac_f32_e32 v20, v10, v10
	v_cvt_f32_u32_e32 v13, v13
	v_and_b32_e32 v14, 0xffff, v12
	v_cvt_f32_u32_e32 v15, v11
	s_delay_alu instid0(VALU_DEP_3)
	v_add_f32_e32 v11, v5, v13
	v_cvt_f32_u32_e32 v5, v16
	v_lshrrev_b32_e32 v13, 16, v12
	v_cvt_f32_u32_e32 v14, v14
	v_add_f32_e32 v12, v6, v15
	v_fmac_f32_e32 v20, v11, v11
	v_cvt_f32_u32_e32 v6, v18
	v_cvt_f32_u32_e32 v15, v13
	v_add_f32_e32 v13, v5, v14
	v_perm_b32 v17, v12, v11, 0x7060302
	v_fmac_f32_e32 v20, v12, v12
	v_perm_b32 v16, v10, v9, 0x7060302
	v_add_f32_e32 v14, v6, v15
	v_perm_b32 v15, v7, v8, 0x7060302
	s_delay_alu instid0(VALU_DEP_4) | instskip(NEXT) | instid1(VALU_DEP_1)
	v_fmac_f32_e32 v20, v13, v13
	v_fmac_f32_e32 v20, v14, v14
	s_delay_alu instid0(VALU_DEP_1) | instskip(NEXT) | instid1(VALU_DEP_1)
	v_mov_b32_dpp v5, v20 quad_perm:[1,0,3,2] row_mask:0xf bank_mask:0xf
	v_dual_add_f32 v5, v20, v5 :: v_dual_and_b32 v20, 31, v0
	v_perm_b32 v18, v14, v13, 0x7060302
	s_delay_alu instid0(VALU_DEP_2) | instskip(NEXT) | instid1(VALU_DEP_3)
	v_mov_b32_dpp v6, v5 quad_perm:[2,3,0,1] row_mask:0xf bank_mask:0xf
	v_cmp_eq_u32_e64 s0, 31, v20
	buffer_store_b128 v[15:18], v19, s[28:31], 0 offen glc slc
	;;#ASMSTART
	s_nop 0
	;;#ASMEND
	v_add_f32_e32 v5, v5, v6
	s_delay_alu instid0(VALU_DEP_1) | instskip(NEXT) | instid1(VALU_DEP_1)
	v_mov_b32_dpp v6, v5 row_xmask:7 row_mask:0xf bank_mask:0xf
	v_add_f32_e32 v5, v5, v6
	s_delay_alu instid0(VALU_DEP_1)
	v_mov_b32_dpp v6, v5 row_xmask:15 row_mask:0xf bank_mask:0xf
	s_and_saveexec_b32 s1, s0
	s_cbranch_execz .LBB34_3
; %bb.2:
	s_delay_alu instid0(VALU_DEP_1) | instskip(SKIP_2) | instid1(VALU_DEP_2)
	v_add_f32_e32 v5, v5, v6
	s_mov_b32 s2, 0x76543210
	v_lshrrev_b32_e32 v6, 3, v0
	v_permlanex16_b32 v15, v5, s2, 0xfedcba98 op_sel:[1,1]
	s_delay_alu instid0(VALU_DEP_1)
	v_dual_add_f32 v5, v5, v15 :: v_dual_and_b32 v6, 0x7c, v6
	ds_store_b32 v6, v5 offset:8
.LBB34_3:
	s_or_b32 exec_lo, exec_lo, s1
	v_and_b32_e32 v5, 1, v0
	s_waitcnt vmcnt(0) lgkmcnt(0)
	s_waitcnt_vscnt null, 0x0
	s_barrier
	buffer_gl0_inv
	v_cvt_f32_i32_e32 v16, s5
	v_lshlrev_b32_e32 v6, 2, v5
	s_cmp_lg_u32 s10, 0
	ds_load_b32 v5, v6 offset:8
	s_waitcnt lgkmcnt(0)
	v_mov_b32_dpp v15, v5 quad_perm:[1,0,3,2] row_mask:0xf bank_mask:0xf
	s_delay_alu instid0(VALU_DEP_1) | instskip(NEXT) | instid1(VALU_DEP_1)
	v_add_f32_e32 v5, v5, v15
	v_div_scale_f32 v15, null, v16, v16, v5
	v_div_scale_f32 v19, vcc_lo, v5, v16, v5
	s_delay_alu instid0(VALU_DEP_2) | instskip(SKIP_2) | instid1(VALU_DEP_1)
	v_rcp_f32_e32 v17, v15
	s_waitcnt_depctr 0xfff
	v_fma_f32 v18, -v15, v17, 1.0
	v_fmac_f32_e32 v17, v18, v17
	s_delay_alu instid0(VALU_DEP_1) | instskip(NEXT) | instid1(VALU_DEP_1)
	v_mul_f32_e32 v18, v19, v17
	v_fma_f32 v20, -v15, v18, v19
	s_delay_alu instid0(VALU_DEP_1) | instskip(SKIP_1) | instid1(VALU_DEP_2)
	v_fmac_f32_e32 v18, v20, v17
	v_mov_b32_e32 v20, 0x2edbe6ff
	v_fma_f32 v15, -v15, v18, v19
	s_delay_alu instid0(VALU_DEP_1) | instskip(SKIP_2) | instid1(VALU_DEP_3)
	v_div_fmas_f32 v15, v15, v17, v18
	v_and_b32_e32 v18, 0xffff, v3
	v_lshrrev_b32_e32 v3, 16, v3
	v_div_fixup_f32 v5, v15, v16, v5
	s_delay_alu instid0(VALU_DEP_3) | instskip(NEXT) | instid1(VALU_DEP_3)
	v_cvt_f32_u32_e32 v18, v18
	v_cvt_f32_u32_e32 v3, v3
	s_delay_alu instid0(VALU_DEP_3) | instskip(NEXT) | instid1(VALU_DEP_1)
	v_cvt_f64_f32_e32 v[15:16], v5
	v_add_f64 v[15:16], v[15:16], s[24:25]
	s_delay_alu instid0(VALU_DEP_1) | instskip(SKIP_2) | instid1(VALU_DEP_2)
	v_cvt_f32_f64_e32 v5, v[15:16]
	v_and_b32_e32 v16, 0xffff, v1
	v_lshrrev_b32_e32 v1, 16, v1
	v_cvt_f32_u32_e32 v16, v16
	s_delay_alu instid0(VALU_DEP_2) | instskip(SKIP_2) | instid1(VALU_DEP_2)
	v_cvt_f32_u32_e32 v1, v1
	v_mul_f32_e32 v15, 0x4b800000, v5
	v_cmp_gt_f32_e32 vcc_lo, 0x800000, v5
	v_cndmask_b32_e32 v15, v5, v15, vcc_lo
	v_lshlrev_b32_e32 v5, 3, v0
	s_delay_alu instid0(VALU_DEP_2) | instskip(SKIP_2) | instid1(VALU_DEP_1)
	v_rsq_f32_e32 v15, v15
	s_waitcnt_depctr 0xfff
	v_mul_f32_e32 v21, 0x45800000, v15
	v_cndmask_b32_e32 v15, v15, v21, vcc_lo
	v_and_b32_e32 v17, 0xffff, v2
	v_lshrrev_b32_e32 v2, 16, v2
	v_and_b32_e32 v19, 0xffff, v4
	v_lshrrev_b32_e32 v4, 16, v4
	v_mul_f32_e32 v10, v15, v10
	s_delay_alu instid0(VALU_DEP_4) | instskip(NEXT) | instid1(VALU_DEP_4)
	v_cvt_f32_u32_e32 v2, v2
	v_cvt_f32_u32_e32 v19, v19
	s_delay_alu instid0(VALU_DEP_4) | instskip(NEXT) | instid1(VALU_DEP_3)
	v_cvt_f32_u32_e32 v4, v4
	v_mul_f32_e32 v10, v10, v2
	v_mul_f32_e32 v8, v8, v15
	;; [unrolled: 1-line block ×3, first 2 shown]
	v_cvt_f32_u32_e32 v17, v17
	v_mul_f32_e32 v7, v7, v15
	s_delay_alu instid0(VALU_DEP_4) | instskip(NEXT) | instid1(VALU_DEP_4)
	v_dual_mul_f32 v9, v15, v9 :: v_dual_mul_f32 v12, v8, v16
	v_mul_f32_e32 v8, v22, v3
	s_delay_alu instid0(VALU_DEP_2) | instskip(SKIP_1) | instid1(VALU_DEP_2)
	v_dual_mul_f32 v14, v15, v14 :: v_dual_mul_f32 v9, v9, v17
	v_mul_f32_e32 v21, v15, v11
	v_dual_mul_f32 v11, v7, v1 :: v_dual_mul_f32 v4, v14, v4
	v_dual_mul_f32 v13, v15, v13 :: v_dual_and_b32 v14, 0x7fffffff, v10
	s_delay_alu instid0(VALU_DEP_3) | instskip(NEXT) | instid1(VALU_DEP_3)
	v_dual_mul_f32 v7, v21, v18 :: v_dual_and_b32 v16, 0x7fffffff, v8
	v_and_b32_e32 v2, 0x7fffffff, v11
	v_and_b32_e32 v1, 0x7fffffff, v12
	s_delay_alu instid0(VALU_DEP_4)
	v_dual_mul_f32 v3, v13, v19 :: v_dual_and_b32 v18, 0x7fffffff, v4
	;;#ASMSTART
	v_max3_f32 v1, v20, v1, v2

	;;#ASMEND
	v_and_b32_e32 v13, 0x7fffffff, v9
	;;#ASMSTART
	v_max3_f32 v1, v1, v13, v14

	;;#ASMEND
	v_and_b32_e32 v15, 0x7fffffff, v7
	v_and_b32_e32 v17, 0x7fffffff, v3
	;;#ASMSTART
	v_max3_f32 v1, v1, v15, v16

	;;#ASMEND
	;;#ASMSTART
	v_max3_f32 v13, v1, v17, v18

	;;#ASMEND
	s_cbranch_scc0 .LBB34_10
; %bb.4:
	s_ashr_i32 s7, s10, 31
	s_delay_alu instid0(SALU_CYCLE_1) | instskip(NEXT) | instid1(SALU_CYCLE_1)
	s_lshr_b32 s1, s7, 29
	s_add_i32 s1, s10, s1
	s_delay_alu instid0(SALU_CYCLE_1) | instskip(NEXT) | instid1(SALU_CYCLE_1)
	s_ashr_i32 s1, s1, 3
	s_cmp_lt_i32 s1, 8
	s_cbranch_scc1 .LBB34_11
; %bb.5:
	s_cmp_lt_i32 s1, 16
	s_cbranch_scc1 .LBB34_12
; %bb.6:
	;; [unrolled: 3-line block ×3, first 2 shown]
	v_mov_b32_e32 v1, v13
	s_cmp_eq_u32 s1, 32
	s_cbranch_scc0 .LBB34_9
; %bb.8:
	s_delay_alu instid0(VALU_DEP_1) | instskip(SKIP_1) | instid1(VALU_DEP_1)
	v_mov_b32_dpp v1, v13 quad_perm:[1,0,3,2] row_mask:0xf bank_mask:0xf
	s_mov_b32 s2, 0x76543210
	v_cmp_gt_f32_e32 vcc_lo, v13, v1
	v_cndmask_b32_e32 v1, v1, v13, vcc_lo
	s_delay_alu instid0(VALU_DEP_1) | instskip(NEXT) | instid1(VALU_DEP_1)
	v_mov_b32_dpp v2, v1 quad_perm:[2,3,0,1] row_mask:0xf bank_mask:0xf
	v_cmp_gt_f32_e32 vcc_lo, v1, v2
	v_cndmask_b32_e32 v1, v2, v1, vcc_lo
	s_delay_alu instid0(VALU_DEP_1) | instskip(NEXT) | instid1(VALU_DEP_1)
	v_mov_b32_dpp v2, v1 row_xmask:7 row_mask:0xf bank_mask:0xf
	v_cmp_gt_f32_e32 vcc_lo, v1, v2
	v_cndmask_b32_e32 v1, v2, v1, vcc_lo
	s_delay_alu instid0(VALU_DEP_1) | instskip(NEXT) | instid1(VALU_DEP_1)
	v_mov_b32_dpp v2, v1 row_xmask:15 row_mask:0xf bank_mask:0xf
	v_cmp_gt_f32_e32 vcc_lo, v1, v2
	v_cndmask_b32_e32 v1, v2, v1, vcc_lo
	s_delay_alu instid0(VALU_DEP_1) | instskip(NEXT) | instid1(VALU_DEP_1)
	v_permlanex16_b32 v2, v1, s2, 0xfedcba98 op_sel:[1,1]
	v_cmp_gt_f32_e32 vcc_lo, v1, v2
	v_cndmask_b32_e32 v1, v2, v1, vcc_lo
.LBB34_9:
	s_mov_b32 s2, 0
	s_branch .LBB34_14
.LBB34_10:
	s_mov_b32 s1, 0
                                        ; implicit-def: $vgpr14
                                        ; implicit-def: $vgpr1_vgpr2
	s_and_b32 vcc_lo, exec_lo, s31
	s_cbranch_vccnz .LBB34_38
	s_branch .LBB34_41
.LBB34_11:
                                        ; implicit-def: $vgpr1
	s_branch .LBB34_21
.LBB34_12:
                                        ; implicit-def: $vgpr1
	s_branch .LBB34_18
.LBB34_13:
	s_mov_b32 s2, -1
                                        ; implicit-def: $vgpr1
.LBB34_14:
	s_delay_alu instid0(SALU_CYCLE_1)
	s_and_not1_b32 vcc_lo, exec_lo, s2
	s_cbranch_vccnz .LBB34_17
; %bb.15:
	v_mov_b32_e32 v1, v13
	s_cmp_eq_u32 s1, 16
	s_cbranch_scc0 .LBB34_17
; %bb.16:
	s_delay_alu instid0(VALU_DEP_1) | instskip(NEXT) | instid1(VALU_DEP_1)
	v_mov_b32_dpp v1, v13 quad_perm:[1,0,3,2] row_mask:0xf bank_mask:0xf
	v_cmp_gt_f32_e32 vcc_lo, v13, v1
	v_cndmask_b32_e32 v1, v1, v13, vcc_lo
	s_delay_alu instid0(VALU_DEP_1) | instskip(NEXT) | instid1(VALU_DEP_1)
	v_mov_b32_dpp v2, v1 quad_perm:[2,3,0,1] row_mask:0xf bank_mask:0xf
	v_cmp_gt_f32_e32 vcc_lo, v1, v2
	v_cndmask_b32_e32 v1, v2, v1, vcc_lo
	s_delay_alu instid0(VALU_DEP_1) | instskip(NEXT) | instid1(VALU_DEP_1)
	v_mov_b32_dpp v2, v1 row_half_mirror row_mask:0xf bank_mask:0xf
	v_cmp_gt_f32_e32 vcc_lo, v1, v2
	v_cndmask_b32_e32 v1, v2, v1, vcc_lo
	s_delay_alu instid0(VALU_DEP_1) | instskip(NEXT) | instid1(VALU_DEP_1)
	v_mov_b32_dpp v2, v1 row_mirror row_mask:0xf bank_mask:0xf
	v_cmp_gt_f32_e32 vcc_lo, v1, v2
	v_cndmask_b32_e32 v1, v2, v1, vcc_lo
.LBB34_17:
	s_cbranch_execnz .LBB34_20
.LBB34_18:
	v_mov_b32_e32 v1, v13
	s_cmp_eq_u32 s1, 8
	s_cbranch_scc0 .LBB34_20
; %bb.19:
	s_delay_alu instid0(VALU_DEP_1) | instskip(NEXT) | instid1(VALU_DEP_1)
	v_mov_b32_dpp v1, v13 quad_perm:[1,0,3,2] row_mask:0xf bank_mask:0xf
	v_cmp_gt_f32_e32 vcc_lo, v13, v1
	v_cndmask_b32_e32 v1, v1, v13, vcc_lo
	s_delay_alu instid0(VALU_DEP_1) | instskip(NEXT) | instid1(VALU_DEP_1)
	v_mov_b32_dpp v2, v1 quad_perm:[2,3,0,1] row_mask:0xf bank_mask:0xf
	v_cmp_gt_f32_e32 vcc_lo, v1, v2
	v_cndmask_b32_e32 v1, v2, v1, vcc_lo
	s_delay_alu instid0(VALU_DEP_1) | instskip(NEXT) | instid1(VALU_DEP_1)
	v_mov_b32_dpp v2, v1 row_half_mirror row_mask:0xf bank_mask:0xf
	v_cmp_gt_f32_e32 vcc_lo, v1, v2
	v_cndmask_b32_e32 v1, v2, v1, vcc_lo
.LBB34_20:
	s_cbranch_execnz .LBB34_28
.LBB34_21:
	s_cmp_lt_i32 s1, 4
	s_cbranch_scc1 .LBB34_24
; %bb.22:
	v_mov_b32_e32 v1, v13
	s_cmp_eq_u32 s1, 4
	s_cbranch_scc0 .LBB34_25
; %bb.23:
	s_delay_alu instid0(VALU_DEP_1) | instskip(NEXT) | instid1(VALU_DEP_1)
	v_mov_b32_dpp v1, v13 quad_perm:[1,0,3,2] row_mask:0xf bank_mask:0xf
	v_cmp_gt_f32_e32 vcc_lo, v13, v1
	v_cndmask_b32_e32 v1, v1, v13, vcc_lo
	s_delay_alu instid0(VALU_DEP_1) | instskip(NEXT) | instid1(VALU_DEP_1)
	v_mov_b32_dpp v2, v1 quad_perm:[2,3,0,1] row_mask:0xf bank_mask:0xf
	v_cmp_gt_f32_e32 vcc_lo, v1, v2
	v_cndmask_b32_e32 v1, v2, v1, vcc_lo
	s_cbranch_execz .LBB34_26
	s_branch .LBB34_28
.LBB34_24:
                                        ; implicit-def: $vgpr1
	s_branch .LBB34_26
.LBB34_25:
	s_cbranch_execnz .LBB34_28
.LBB34_26:
	v_mov_b32_e32 v1, v13
	s_cmp_lg_u32 s1, 2
	s_cbranch_scc1 .LBB34_28
; %bb.27:
	s_delay_alu instid0(VALU_DEP_1) | instskip(NEXT) | instid1(VALU_DEP_1)
	v_mov_b32_dpp v1, v13 quad_perm:[1,0,3,2] row_mask:0xf bank_mask:0xf
	v_cmp_gt_f32_e32 vcc_lo, v13, v1
	v_cndmask_b32_e32 v1, v1, v13, vcc_lo
.LBB34_28:
	v_cvt_f32_u32_e32 v2, s1
	s_sub_i32 s2, 0, s1
	s_mov_b32 s31, 0
	s_delay_alu instid0(VALU_DEP_1) | instskip(SKIP_2) | instid1(VALU_DEP_1)
	v_rcp_iflag_f32_e32 v2, v2
	s_waitcnt_depctr 0xfff
	v_mul_f32_e32 v2, 0x4f7ffffe, v2
	v_cvt_u32_f32_e32 v2, v2
	s_delay_alu instid0(VALU_DEP_1) | instskip(NEXT) | instid1(VALU_DEP_1)
	v_mul_lo_u32 v14, s2, v2
	v_mul_hi_u32 v14, v2, v14
	s_delay_alu instid0(VALU_DEP_1) | instskip(NEXT) | instid1(VALU_DEP_1)
	v_add_nc_u32_e32 v2, v2, v14
	v_mul_hi_u32 v2, v0, v2
	s_delay_alu instid0(VALU_DEP_1) | instskip(NEXT) | instid1(VALU_DEP_1)
	v_mul_lo_u32 v14, v2, s1
	v_sub_nc_u32_e32 v14, v0, v14
	s_delay_alu instid0(VALU_DEP_1) | instskip(SKIP_1) | instid1(VALU_DEP_2)
	v_subrev_nc_u32_e32 v16, s1, v14
	v_cmp_le_u32_e32 vcc_lo, s1, v14
	v_dual_cndmask_b32 v14, v14, v16 :: v_dual_add_nc_u32 v15, 1, v2
	s_delay_alu instid0(VALU_DEP_1) | instskip(NEXT) | instid1(VALU_DEP_2)
	v_cndmask_b32_e32 v2, v2, v15, vcc_lo
	v_cmp_le_u32_e32 vcc_lo, s1, v14
	s_delay_alu instid0(VALU_DEP_2) | instskip(NEXT) | instid1(VALU_DEP_1)
	v_dual_mul_f32 v14, 0x3c010204, v1 :: v_dual_add_nc_u32 v15, 1, v2
	v_cndmask_b32_e32 v15, v2, v15, vcc_lo
	v_cmp_gt_u32_e32 vcc_lo, s5, v5
	s_delay_alu instid0(VALU_DEP_2) | instskip(NEXT) | instid1(VALU_DEP_1)
	v_mul_lo_u32 v2, v15, s1
	v_sub_nc_u32_e32 v2, v0, v2
	s_delay_alu instid0(VALU_DEP_1) | instskip(NEXT) | instid1(VALU_DEP_1)
	v_cmp_eq_u32_e64 s1, 0, v2
                                        ; implicit-def: $vgpr1_vgpr2
	s_and_b32 s2, s1, vcc_lo
	s_mov_b32 s1, 0
	s_and_saveexec_b32 s3, s2
	s_delay_alu instid0(SALU_CYCLE_1)
	s_xor_b32 s8, exec_lo, s3
	s_cbranch_execz .LBB34_37
; %bb.29:
	s_bitcmp0_b32 s11, 0
	s_mov_b32 s6, 0
	s_cbranch_scc0 .LBB34_34
; %bb.30:
	s_ashr_i32 s1, s5, 31
	s_mul_hi_u32 s3, s5, s34
	s_mul_i32 s1, s1, s34
	s_mul_i32 s2, s5, s34
	s_add_i32 s3, s3, s1
	s_mov_b32 s11, s7
	s_delay_alu instid0(SALU_CYCLE_1) | instskip(NEXT) | instid1(SALU_CYCLE_1)
	s_or_b64 s[14:15], s[2:3], s[10:11]
	s_mov_b32 s7, s15
	s_delay_alu instid0(SALU_CYCLE_1)
	s_cmp_lg_u64 s[6:7], 0
	s_cbranch_scc0 .LBB34_45
; %bb.31:
	s_add_u32 s14, s10, s11
	s_mov_b32 s6, s11
	s_mov_b32 s7, s11
	s_addc_u32 s15, s11, s11
	s_delay_alu instid0(SALU_CYCLE_1) | instskip(NEXT) | instid1(SALU_CYCLE_1)
	s_xor_b64 s[14:15], s[14:15], s[6:7]
	v_cvt_f32_u32_e32 v1, s14
	v_cvt_f32_u32_e32 v2, s15
	s_sub_u32 s18, 0, s14
	s_subb_u32 s19, 0, s15
	s_delay_alu instid0(VALU_DEP_1) | instskip(NEXT) | instid1(VALU_DEP_1)
	v_fmamk_f32 v1, v2, 0x4f800000, v1
	v_rcp_f32_e32 v1, v1
	s_waitcnt_depctr 0xfff
	v_mul_f32_e32 v1, 0x5f7ffffc, v1
	s_delay_alu instid0(VALU_DEP_1) | instskip(NEXT) | instid1(VALU_DEP_1)
	v_mul_f32_e32 v2, 0x2f800000, v1
	v_trunc_f32_e32 v2, v2
	s_delay_alu instid0(VALU_DEP_1) | instskip(SKIP_1) | instid1(VALU_DEP_2)
	v_fmamk_f32 v1, v2, 0xcf800000, v1
	v_cvt_u32_f32_e32 v2, v2
	v_cvt_u32_f32_e32 v1, v1
	s_delay_alu instid0(VALU_DEP_2) | instskip(NEXT) | instid1(VALU_DEP_2)
	v_readfirstlane_b32 s1, v2
	v_readfirstlane_b32 s11, v1
	s_delay_alu instid0(VALU_DEP_2) | instskip(NEXT) | instid1(VALU_DEP_1)
	s_mul_i32 s20, s18, s1
	s_mul_hi_u32 s22, s18, s11
	s_mul_i32 s21, s19, s11
	s_add_i32 s20, s22, s20
	s_mul_i32 s23, s18, s11
	s_add_i32 s20, s20, s21
	s_mul_hi_u32 s22, s11, s23
	s_mul_hi_u32 s24, s1, s23
	s_mul_i32 s21, s1, s23
	s_mul_hi_u32 s23, s11, s20
	s_mul_i32 s11, s11, s20
	s_mul_hi_u32 s25, s1, s20
	s_add_u32 s11, s22, s11
	s_addc_u32 s22, 0, s23
	s_add_u32 s11, s11, s21
	s_mul_i32 s20, s1, s20
	s_addc_u32 s11, s22, s24
	s_addc_u32 s21, s25, 0
	s_add_u32 s11, s11, s20
	s_addc_u32 s20, 0, s21
	v_add_co_u32 v1, s11, v1, s11
	s_delay_alu instid0(VALU_DEP_1) | instskip(SKIP_1) | instid1(VALU_DEP_1)
	s_cmp_lg_u32 s11, 0
	s_addc_u32 s1, s1, s20
	v_readfirstlane_b32 s11, v1
	s_mul_i32 s20, s18, s1
	s_delay_alu instid0(VALU_DEP_1)
	s_mul_hi_u32 s21, s18, s11
	s_mul_i32 s19, s19, s11
	s_add_i32 s20, s21, s20
	s_mul_i32 s18, s18, s11
	s_add_i32 s20, s20, s19
	s_mul_hi_u32 s21, s1, s18
	s_mul_i32 s22, s1, s18
	s_mul_hi_u32 s18, s11, s18
	s_mul_hi_u32 s23, s11, s20
	s_mul_i32 s11, s11, s20
	s_mul_hi_u32 s19, s1, s20
	s_add_u32 s11, s18, s11
	s_addc_u32 s18, 0, s23
	s_add_u32 s11, s11, s22
	s_mul_i32 s20, s1, s20
	s_addc_u32 s11, s18, s21
	s_addc_u32 s18, s19, 0
	s_add_u32 s11, s11, s20
	s_addc_u32 s18, 0, s18
	v_add_co_u32 v1, s11, v1, s11
	s_delay_alu instid0(VALU_DEP_1) | instskip(SKIP_2) | instid1(SALU_CYCLE_1)
	s_cmp_lg_u32 s11, 0
	s_addc_u32 s1, s1, s18
	s_ashr_i32 s18, s3, 31
	s_add_u32 s20, s2, s18
	s_addc_u32 s21, s3, s18
	v_readfirstlane_b32 s3, v1
	s_mov_b32 s19, s18
	s_delay_alu instid0(SALU_CYCLE_1) | instskip(NEXT) | instid1(SALU_CYCLE_1)
	s_xor_b64 s[20:21], s[20:21], s[18:19]
	s_mul_i32 s22, s20, s1
	s_delay_alu instid0(VALU_DEP_1)
	s_mul_hi_u32 s23, s20, s3
	s_mul_hi_u32 s11, s20, s1
	;; [unrolled: 1-line block ×3, first 2 shown]
	s_mul_i32 s3, s21, s3
	s_add_u32 s22, s23, s22
	s_addc_u32 s11, 0, s11
	s_mul_hi_u32 s24, s21, s1
	s_add_u32 s3, s22, s3
	s_mul_i32 s1, s21, s1
	s_addc_u32 s3, s11, s25
	s_addc_u32 s11, s24, 0
	s_add_u32 s3, s3, s1
	s_addc_u32 s11, 0, s11
	s_mul_i32 s24, s14, s3
	s_mul_hi_u32 s1, s14, s3
	s_mul_i32 s23, s14, s11
	v_sub_co_u32 v1, s20, s20, s24
	s_mul_i32 s22, s15, s3
	s_add_i32 s1, s1, s23
	s_delay_alu instid0(SALU_CYCLE_1) | instskip(NEXT) | instid1(VALU_DEP_1)
	s_add_i32 s1, s1, s22
	v_sub_co_u32 v2, s23, v1, s14
	s_sub_i32 s22, s21, s1
	s_cmp_lg_u32 s20, 0
	s_subb_u32 s22, s22, s15
	s_cmp_lg_u32 s23, 0
	v_cmp_le_u32_e32 vcc_lo, s14, v2
	s_subb_u32 s22, s22, 0
	s_delay_alu instid0(SALU_CYCLE_1)
	s_cmp_ge_u32 s22, s15
	v_cndmask_b32_e64 v2, 0, -1, vcc_lo
	s_cselect_b32 s23, -1, 0
	s_cmp_eq_u32 s22, s15
	s_cselect_b32 vcc_lo, -1, 0
	s_add_u32 s22, s3, 1
	v_cndmask_b32_e32 v2, s23, v2, vcc_lo
	s_addc_u32 s23, s11, 0
	s_add_u32 s24, s3, 2
	s_addc_u32 s25, s11, 0
	s_cmp_lg_u32 s20, 0
	v_cmp_le_u32_e32 vcc_lo, s14, v1
	s_subb_u32 s1, s21, s1
	v_mov_b32_e32 v16, s24
	s_cmp_ge_u32 s1, s15
	v_cndmask_b32_e64 v1, 0, -1, vcc_lo
	s_cselect_b32 s14, -1, 0
	s_cmp_eq_u32 s1, s15
	v_cmp_ne_u32_e32 vcc_lo, 0, v2
	v_mov_b32_e32 v2, s25
	s_cselect_b32 s1, -1, 0
	s_xor_b64 s[6:7], s[18:19], s[6:7]
	v_cndmask_b32_e64 v1, s14, v1, s1
	v_cndmask_b32_e32 v16, s22, v16, vcc_lo
	v_cndmask_b32_e32 v2, s23, v2, vcc_lo
	s_delay_alu instid0(VALU_DEP_3) | instskip(NEXT) | instid1(VALU_DEP_2)
	v_cmp_ne_u32_e32 vcc_lo, 0, v1
	v_cndmask_b32_e32 v1, s11, v2, vcc_lo
	s_delay_alu instid0(VALU_DEP_4) | instskip(NEXT) | instid1(VALU_DEP_2)
	v_cndmask_b32_e32 v2, s3, v16, vcc_lo
	v_xor_b32_e32 v16, s7, v1
	s_delay_alu instid0(VALU_DEP_2) | instskip(NEXT) | instid1(VALU_DEP_1)
	v_xor_b32_e32 v2, s6, v2
	v_sub_co_u32 v1, vcc_lo, v2, s6
	s_delay_alu instid0(VALU_DEP_3)
	v_subrev_co_ci_u32_e32 v2, vcc_lo, s7, v16, vcc_lo
	s_cbranch_execnz .LBB34_33
.LBB34_32:
	v_cvt_f32_u32_e32 v1, s10
	s_sub_i32 s3, 0, s10
	s_delay_alu instid0(VALU_DEP_1) | instskip(SKIP_2) | instid1(VALU_DEP_1)
	v_rcp_iflag_f32_e32 v1, v1
	s_waitcnt_depctr 0xfff
	v_mul_f32_e32 v1, 0x4f7ffffe, v1
	v_cvt_u32_f32_e32 v1, v1
	s_delay_alu instid0(VALU_DEP_1) | instskip(NEXT) | instid1(VALU_DEP_1)
	v_readfirstlane_b32 s1, v1
	s_mul_i32 s3, s3, s1
	s_delay_alu instid0(SALU_CYCLE_1) | instskip(NEXT) | instid1(SALU_CYCLE_1)
	s_mul_hi_u32 s3, s1, s3
	s_add_i32 s1, s1, s3
	s_delay_alu instid0(SALU_CYCLE_1) | instskip(NEXT) | instid1(SALU_CYCLE_1)
	s_mul_hi_u32 s1, s2, s1
	s_mul_i32 s3, s1, s10
	s_delay_alu instid0(SALU_CYCLE_1)
	s_sub_i32 s2, s2, s3
	s_add_i32 s3, s1, 1
	s_sub_i32 s6, s2, s10
	s_cmp_ge_u32 s2, s10
	s_cselect_b32 s1, s3, s1
	s_cselect_b32 s2, s6, s2
	s_add_i32 s6, s1, 1
	s_cmp_ge_u32 s2, s10
	s_mov_b32 s3, 0
	s_cselect_b32 s2, s6, s1
	s_delay_alu instid0(SALU_CYCLE_1)
	v_dual_mov_b32 v1, s2 :: v_dual_mov_b32 v2, s3
.LBB34_33:
	s_delay_alu instid0(VALU_DEP_1) | instskip(NEXT) | instid1(VALU_DEP_2)
	v_add_co_u32 v1, vcc_lo, v1, v15
	v_add_co_ci_u32_e32 v2, vcc_lo, 0, v2, vcc_lo
	s_branch .LBB34_36
.LBB34_34:
                                        ; implicit-def: $vgpr1_vgpr2
	s_cbranch_execz .LBB34_36
; %bb.35:
	v_mul_lo_u32 v1, v15, s4
	s_delay_alu instid0(VALU_DEP_1) | instskip(SKIP_1) | instid1(VALU_DEP_2)
	v_ashrrev_i32_e32 v2, 31, v1
	v_add_co_u32 v1, vcc_lo, v1, s34
	v_add_co_ci_u32_e32 v2, vcc_lo, 0, v2, vcc_lo
.LBB34_36:
	s_mov_b32 s1, exec_lo
.LBB34_37:
	s_or_b32 exec_lo, exec_lo, s8
	s_delay_alu instid0(SALU_CYCLE_1)
	s_and_b32 vcc_lo, exec_lo, s31
	s_cbranch_vccz .LBB34_41
.LBB34_38:
	v_mov_b32_dpp v1, v13 quad_perm:[1,0,3,2] row_mask:0xf bank_mask:0xf
	s_delay_alu instid0(VALU_DEP_1) | instskip(SKIP_1) | instid1(VALU_DEP_1)
	v_cmp_gt_f32_e32 vcc_lo, v13, v1
	v_cndmask_b32_e32 v1, v1, v13, vcc_lo
	v_mov_b32_dpp v2, v1 quad_perm:[2,3,0,1] row_mask:0xf bank_mask:0xf
	s_delay_alu instid0(VALU_DEP_1) | instskip(SKIP_1) | instid1(VALU_DEP_1)
	v_cmp_gt_f32_e32 vcc_lo, v1, v2
	v_cndmask_b32_e32 v1, v2, v1, vcc_lo
	v_mov_b32_dpp v2, v1 row_xmask:7 row_mask:0xf bank_mask:0xf
	s_delay_alu instid0(VALU_DEP_1) | instskip(SKIP_1) | instid1(VALU_DEP_1)
	v_cmp_gt_f32_e32 vcc_lo, v1, v2
	v_cndmask_b32_e32 v1, v2, v1, vcc_lo
	v_mov_b32_dpp v2, v1 row_xmask:15 row_mask:0xf bank_mask:0xf
	s_delay_alu instid0(VALU_DEP_1)
	v_cmp_gt_f32_e32 vcc_lo, v1, v2
	s_and_saveexec_b32 s1, s0
	s_cbranch_execz .LBB34_40
; %bb.39:
	v_cndmask_b32_e32 v1, v2, v1, vcc_lo
	v_lshrrev_b32_e32 v2, 3, v0
	s_mov_b32 s0, 0x76543210
	s_delay_alu instid0(VALU_DEP_1) | instskip(NEXT) | instid1(VALU_DEP_3)
	v_and_b32_e32 v2, 0x7c, v2
	v_permlanex16_b32 v13, v1, s0, 0xfedcba98 op_sel:[1,1]
	s_delay_alu instid0(VALU_DEP_1)
	v_cmp_gt_f32_e32 vcc_lo, v1, v13
	v_cndmask_b32_e32 v1, v13, v1, vcc_lo
	ds_store_b32 v2, v1
.LBB34_40:
	s_or_b32 exec_lo, exec_lo, s1
	s_waitcnt lgkmcnt(0)
	s_barrier
	buffer_gl0_inv
	ds_load_b32 v1, v6
	v_cmp_eq_u32_e64 s1, 0, v0
	s_waitcnt lgkmcnt(0)
	v_mov_b32_dpp v2, v1 quad_perm:[1,0,3,2] row_mask:0xf bank_mask:0xf
	s_delay_alu instid0(VALU_DEP_1) | instskip(SKIP_1) | instid1(VALU_DEP_1)
	v_cmp_gt_f32_e32 vcc_lo, v1, v2
	v_cndmask_b32_e32 v1, v2, v1, vcc_lo
	v_dual_mul_f32 v14, 0x3c010204, v1 :: v_dual_mov_b32 v1, s34
	v_mov_b32_e32 v2, s35
.LBB34_41:
	s_and_saveexec_b32 s0, s1
	s_cbranch_execz .LBB34_43
; %bb.42:
	s_delay_alu instid0(VALU_DEP_1) | instskip(NEXT) | instid1(VALU_DEP_1)
	v_lshlrev_b64 v[0:1], 2, v[1:2]
	v_add_co_u32 v0, vcc_lo, s16, v0
	s_delay_alu instid0(VALU_DEP_2)
	v_add_co_ci_u32_e32 v1, vcc_lo, s17, v1, vcc_lo
	global_store_b32 v[0:1], v14, off
.LBB34_43:
	s_or_b32 exec_lo, exec_lo, s0
	;;#ASMSTART
	v_rcp_f32 v0, v14
	;;#ASMEND
	v_mul_f32_e32 v7, v7, v0
	v_mul_f32_e32 v1, v12, v0
	;; [unrolled: 1-line block ×4, first 2 shown]
	s_add_i32 s0, s5, 3
	v_cvt_i32_f32_e32 v7, v7
	v_mul_f32_e32 v2, v11, v0
	v_cvt_i32_f32_e32 v1, v1
	v_mul_f32_e32 v6, v9, v0
	v_cvt_i32_f32_e32 v4, v4
	v_and_b32_e32 v7, 0xff, v7
	v_cvt_i32_f32_e32 v2, v2
	v_and_b32_e32 v1, 0xff, v1
	s_ashr_i32 s1, s0, 31
	v_lshlrev_b16 v4, 8, v4
	s_lshr_b32 s1, s1, 30
	v_lshlrev_b16 v2, 8, v2
	s_add_i32 s0, s0, s1
	s_ashr_i32 s1, s9, 31
	s_and_b32 s2, s0, -4
	s_mul_hi_u32 s0, s9, s34
	v_or_b32_e32 v1, v1, v2
	v_mul_f32_e32 v9, v10, v0
	v_mul_f32_e32 v0, v3, v0
	v_cvt_i32_f32_e32 v3, v6
	s_mul_i32 s1, s1, s34
	s_mul_i32 s3, s9, s34
	s_add_i32 s1, s0, s1
	v_cvt_i32_f32_e32 v0, v0
	v_and_b32_e32 v3, 0xff, v3
	v_cvt_i32_f32_e32 v6, v8
	s_add_u32 s0, s12, s3
	s_addc_u32 s1, s13, s1
	v_and_b32_e32 v0, 0xff, v0
	s_and_b32 s1, s1, 0xffff
	v_lshlrev_b16 v6, 8, v6
	s_mov_b32 s3, -1
	s_delay_alu instid0(VALU_DEP_2) | instskip(SKIP_3) | instid1(VALU_DEP_4)
	v_or_b32_e32 v0, v0, v4
	v_and_b32_e32 v4, 0xffff, v1
	v_cvt_i32_f32_e32 v8, v9
	v_or_b32_e32 v6, v7, v6
	v_lshlrev_b32_e32 v0, 16, v0
	s_delay_alu instid0(VALU_DEP_3) | instskip(NEXT) | instid1(VALU_DEP_1)
	v_lshlrev_b16 v8, 8, v8
	v_or_b32_e32 v2, v3, v8
	s_delay_alu instid0(VALU_DEP_4) | instskip(NEXT) | instid1(VALU_DEP_2)
	v_and_b32_e32 v3, 0xffff, v6
	v_lshlrev_b32_e32 v2, 16, v2
	s_delay_alu instid0(VALU_DEP_2) | instskip(NEXT) | instid1(VALU_DEP_2)
	v_or_b32_e32 v1, v3, v0
	v_or_b32_e32 v0, v4, v2
	buffer_store_b64 v[0:1], v5, s[0:3], 0 offen
	;;#ASMSTART
	s_nop 0
	;;#ASMEND
.LBB34_44:
	s_nop 0
	s_sendmsg sendmsg(MSG_DEALLOC_VGPRS)
	s_endpgm
.LBB34_45:
                                        ; implicit-def: $vgpr1_vgpr2
	s_branch .LBB34_32
	.section	.rodata,"a",@progbits
	.p2align	6, 0x0
	.amdhsa_kernel _ZN5aiter24add_rmsnorm_quant_kernelItaLi64ELi8ELb1ELb1ELb1ELi1EEEvPT0_PT_PfS4_S4_S4_diiiiiiib
		.amdhsa_group_segment_fixed_size 16
		.amdhsa_private_segment_fixed_size 0
		.amdhsa_kernarg_size 88
		.amdhsa_user_sgpr_count 15
		.amdhsa_user_sgpr_dispatch_ptr 0
		.amdhsa_user_sgpr_queue_ptr 0
		.amdhsa_user_sgpr_kernarg_segment_ptr 1
		.amdhsa_user_sgpr_dispatch_id 0
		.amdhsa_user_sgpr_private_segment_size 0
		.amdhsa_wavefront_size32 1
		.amdhsa_uses_dynamic_stack 0
		.amdhsa_enable_private_segment 0
		.amdhsa_system_sgpr_workgroup_id_x 1
		.amdhsa_system_sgpr_workgroup_id_y 0
		.amdhsa_system_sgpr_workgroup_id_z 0
		.amdhsa_system_sgpr_workgroup_info 0
		.amdhsa_system_vgpr_workitem_id 0
		.amdhsa_next_free_vgpr 23
		.amdhsa_next_free_sgpr 36
		.amdhsa_reserve_vcc 1
		.amdhsa_float_round_mode_32 0
		.amdhsa_float_round_mode_16_64 0
		.amdhsa_float_denorm_mode_32 3
		.amdhsa_float_denorm_mode_16_64 3
		.amdhsa_dx10_clamp 1
		.amdhsa_ieee_mode 1
		.amdhsa_fp16_overflow 0
		.amdhsa_workgroup_processor_mode 1
		.amdhsa_memory_ordered 1
		.amdhsa_forward_progress 0
		.amdhsa_shared_vgpr_count 0
		.amdhsa_exception_fp_ieee_invalid_op 0
		.amdhsa_exception_fp_denorm_src 0
		.amdhsa_exception_fp_ieee_div_zero 0
		.amdhsa_exception_fp_ieee_overflow 0
		.amdhsa_exception_fp_ieee_underflow 0
		.amdhsa_exception_fp_ieee_inexact 0
		.amdhsa_exception_int_div_zero 0
	.end_amdhsa_kernel
	.section	.text._ZN5aiter24add_rmsnorm_quant_kernelItaLi64ELi8ELb1ELb1ELb1ELi1EEEvPT0_PT_PfS4_S4_S4_diiiiiiib,"axG",@progbits,_ZN5aiter24add_rmsnorm_quant_kernelItaLi64ELi8ELb1ELb1ELb1ELi1EEEvPT0_PT_PfS4_S4_S4_diiiiiiib,comdat
.Lfunc_end34:
	.size	_ZN5aiter24add_rmsnorm_quant_kernelItaLi64ELi8ELb1ELb1ELb1ELi1EEEvPT0_PT_PfS4_S4_S4_diiiiiiib, .Lfunc_end34-_ZN5aiter24add_rmsnorm_quant_kernelItaLi64ELi8ELb1ELb1ELb1ELi1EEEvPT0_PT_PfS4_S4_S4_diiiiiiib
                                        ; -- End function
	.section	.AMDGPU.csdata,"",@progbits
; Kernel info:
; codeLenInByte = 3488
; NumSgprs: 38
; NumVgprs: 23
; ScratchSize: 0
; MemoryBound: 0
; FloatMode: 240
; IeeeMode: 1
; LDSByteSize: 16 bytes/workgroup (compile time only)
; SGPRBlocks: 4
; VGPRBlocks: 2
; NumSGPRsForWavesPerEU: 38
; NumVGPRsForWavesPerEU: 23
; Occupancy: 16
; WaveLimiterHint : 0
; COMPUTE_PGM_RSRC2:SCRATCH_EN: 0
; COMPUTE_PGM_RSRC2:USER_SGPR: 15
; COMPUTE_PGM_RSRC2:TRAP_HANDLER: 0
; COMPUTE_PGM_RSRC2:TGID_X_EN: 1
; COMPUTE_PGM_RSRC2:TGID_Y_EN: 0
; COMPUTE_PGM_RSRC2:TGID_Z_EN: 0
; COMPUTE_PGM_RSRC2:TIDIG_COMP_CNT: 0
	.section	.text._ZN5aiter24add_rmsnorm_quant_kernelIDF16_aLi64ELi8ELb1ELb1ELb0ELi1EEEvPT0_PT_PfS4_S4_S4_diiiiiiib,"axG",@progbits,_ZN5aiter24add_rmsnorm_quant_kernelIDF16_aLi64ELi8ELb1ELb1ELb0ELi1EEEvPT0_PT_PfS4_S4_S4_diiiiiiib,comdat
	.protected	_ZN5aiter24add_rmsnorm_quant_kernelIDF16_aLi64ELi8ELb1ELb1ELb0ELi1EEEvPT0_PT_PfS4_S4_S4_diiiiiiib ; -- Begin function _ZN5aiter24add_rmsnorm_quant_kernelIDF16_aLi64ELi8ELb1ELb1ELb0ELi1EEEvPT0_PT_PfS4_S4_S4_diiiiiiib
	.globl	_ZN5aiter24add_rmsnorm_quant_kernelIDF16_aLi64ELi8ELb1ELb1ELb0ELi1EEEvPT0_PT_PfS4_S4_S4_diiiiiiib
	.p2align	8
	.type	_ZN5aiter24add_rmsnorm_quant_kernelIDF16_aLi64ELi8ELb1ELb1ELb0ELi1EEEvPT0_PT_PfS4_S4_S4_diiiiiiib,@function
_ZN5aiter24add_rmsnorm_quant_kernelIDF16_aLi64ELi8ELb1ELb1ELb0ELi1EEEvPT0_PT_PfS4_S4_S4_diiiiiiib: ; @_ZN5aiter24add_rmsnorm_quant_kernelIDF16_aLi64ELi8ELb1ELb1ELb0ELi1EEEvPT0_PT_PfS4_S4_S4_diiiiiiib
; %bb.0:
	s_load_b256 s[4:11], s[0:1], 0x38
	s_mov_b32 s34, s15
	s_mov_b32 s35, 0
	s_waitcnt lgkmcnt(0)
	s_ashr_i32 s3, s4, 31
	s_mov_b32 s2, s4
	s_delay_alu instid0(SALU_CYCLE_1) | instskip(NEXT) | instid1(VALU_DEP_1)
	v_cmp_ge_i64_e64 s2, s[34:35], s[2:3]
	s_and_b32 vcc_lo, exec_lo, s2
	s_cbranch_vccnz .LBB35_44
; %bb.1:
	s_clause 0x1
	s_load_b256 s[12:19], s[0:1], 0x0
	s_load_b256 s[20:27], s[0:1], 0x20
	s_ashr_i32 s1, s6, 31
	s_mul_hi_u32 s2, s6, s34
	s_mul_i32 s1, s1, s34
	s_mul_i32 s0, s6, s34
	s_add_i32 s1, s2, s1
	s_mul_hi_u32 s3, s7, s34
	s_lshl_b64 s[0:1], s[0:1], 1
	s_mul_i32 s2, s7, s34
	v_lshlrev_b32_e32 v19, 4, v0
	s_mov_b32 s31, -1
	v_and_b32_e32 v20, 31, v0
	s_waitcnt lgkmcnt(0)
	s_add_u32 s28, s18, s0
	s_addc_u32 s0, s19, s1
	s_add_i32 s6, s5, 1
	s_ashr_i32 s7, s7, 31
	s_lshr_b32 s18, s6, 31
	s_mul_i32 s7, s7, s34
	s_add_i32 s6, s6, s18
	s_and_b32 s29, s0, 0xffff
	s_lshl_b32 s0, s6, 1
	s_add_i32 s3, s3, s7
	s_and_b32 s30, s0, -4
	s_lshl_b64 s[2:3], s[2:3], 1
	s_and_b32 s1, s23, 0xffff
	buffer_load_b128 v[9:12], v19, s[28:31], 0 offen glc slc
	s_add_u32 s28, s20, s2
	s_addc_u32 s0, s21, s3
	s_mov_b32 s3, s31
	s_and_b32 s29, s0, 0xffff
	s_mov_b32 s0, s22
	buffer_load_b128 v[13:16], v19, s[28:31], 0 offen glc slc
	s_mov_b32 s2, s30
	s_waitcnt vmcnt(1)
	v_cvt_f32_f16_e32 v8, v9
	v_lshrrev_b32_e32 v5, 16, v9
	v_cvt_f32_f16_e32 v9, v10
	s_waitcnt vmcnt(0)
	v_lshrrev_b32_e32 v6, 16, v13
	v_cvt_f32_f16_e32 v13, v13
	v_cvt_f32_f16_e32 v5, v5
	s_delay_alu instid0(VALU_DEP_3) | instskip(NEXT) | instid1(VALU_DEP_3)
	v_cvt_f32_f16_e32 v6, v6
	v_add_f32_e32 v8, v8, v13
	buffer_load_b128 v[1:4], v19, s[0:3], 0 offen
	v_cvt_f32_f16_e32 v13, v11
	s_ashr_i32 s0, s8, 31
	v_add_f32_e32 v7, v5, v6
	v_lshrrev_b32_e32 v5, 16, v10
	v_cvt_f32_f16_e32 v6, v14
	v_lshrrev_b32_e32 v10, 16, v14
	v_lshrrev_b32_e32 v14, 16, v15
	s_mul_hi_u32 s1, s8, s34
	v_cvt_f32_f16_e32 v5, v5
	v_add_f32_e32 v9, v9, v6
	v_cvt_f32_f16_e32 v10, v10
	v_mul_f32_e32 v17, v7, v7
	v_lshrrev_b32_e32 v6, 16, v11
	v_cvt_f32_f16_e32 v11, v15
	v_cvt_f32_f16_e32 v14, v14
	v_add_f32_e32 v10, v5, v10
	v_cvt_f32_f16_e32 v15, v16
	v_cvt_f32_f16_e32 v6, v6
	v_fmac_f32_e32 v17, v8, v8
	v_add_f32_e32 v11, v13, v11
	v_lshrrev_b32_e32 v13, 16, v12
	v_lshrrev_b32_e32 v16, 16, v16
	v_cvt_f32_f16_e32 v5, v12
	v_add_f32_e32 v12, v6, v14
	s_mul_i32 s2, s0, s34
	v_cvt_f32_f16_e32 v6, v13
	v_cvt_f32_f16_e32 v14, v16
	v_fmac_f32_e32 v17, v9, v9
	v_add_f32_e32 v13, v5, v15
	v_cvt_f16_f32_e32 v15, v9
	v_cvt_f16_f32_e32 v16, v11
	v_add_f32_e32 v14, v6, v14
	v_fmac_f32_e32 v17, v10, v10
	v_cvt_f16_f32_e32 v22, v12
	v_cvt_f16_f32_e32 v23, v10
	;; [unrolled: 1-line block ×4, first 2 shown]
	v_fmac_f32_e32 v17, v11, v11
	s_mul_i32 s0, s8, s34
	s_add_i32 s1, s1, s2
	s_delay_alu instid0(SALU_CYCLE_1) | instskip(NEXT) | instid1(VALU_DEP_1)
	s_lshl_b64 s[0:1], s[0:1], 1
	v_fmac_f32_e32 v17, v12, v12
	s_add_u32 s28, s14, s0
	v_cmp_eq_u32_e64 s0, 31, v20
	s_addc_u32 s1, s15, s1
	s_delay_alu instid0(VALU_DEP_2) | instskip(SKIP_1) | instid1(VALU_DEP_1)
	v_fmac_f32_e32 v17, v13, v13
	s_and_b32 s29, s1, 0xffff
	v_fmac_f32_e32 v17, v14, v14
	s_delay_alu instid0(VALU_DEP_1) | instskip(NEXT) | instid1(VALU_DEP_1)
	v_mov_b32_dpp v5, v17 quad_perm:[1,0,3,2] row_mask:0xf bank_mask:0xf
	v_add_f32_e32 v5, v17, v5
	v_cvt_f16_f32_e32 v17, v13
	s_delay_alu instid0(VALU_DEP_2) | instskip(NEXT) | instid1(VALU_DEP_1)
	v_mov_b32_dpp v6, v5 quad_perm:[2,3,0,1] row_mask:0xf bank_mask:0xf
	v_add_f32_e32 v5, v5, v6
	v_cvt_f16_f32_e32 v6, v8
	s_delay_alu instid0(VALU_DEP_2) | instskip(NEXT) | instid1(VALU_DEP_1)
	v_mov_b32_dpp v18, v5 row_xmask:7 row_mask:0xf bank_mask:0xf
	v_add_f32_e32 v5, v5, v18
	v_pack_b32_f16 v18, v17, v21
	v_pack_b32_f16 v17, v16, v22
	;; [unrolled: 1-line block ×4, first 2 shown]
	v_mov_b32_dpp v6, v5 row_xmask:15 row_mask:0xf bank_mask:0xf
	buffer_store_b128 v[15:18], v19, s[28:31], 0 offen glc slc
	;;#ASMSTART
	s_nop 0
	;;#ASMEND
	s_and_saveexec_b32 s1, s0
	s_cbranch_execz .LBB35_3
; %bb.2:
	v_add_f32_e32 v5, v5, v6
	s_mov_b32 s2, 0x76543210
	v_lshrrev_b32_e32 v6, 3, v0
	s_delay_alu instid0(VALU_DEP_2) | instskip(NEXT) | instid1(VALU_DEP_1)
	v_permlanex16_b32 v15, v5, s2, 0xfedcba98 op_sel:[1,1]
	v_dual_add_f32 v5, v5, v15 :: v_dual_and_b32 v6, 0x7c, v6
	ds_store_b32 v6, v5 offset:8
.LBB35_3:
	s_or_b32 exec_lo, exec_lo, s1
	v_and_b32_e32 v5, 1, v0
	s_waitcnt vmcnt(0) lgkmcnt(0)
	s_waitcnt_vscnt null, 0x0
	s_barrier
	buffer_gl0_inv
	v_cvt_f32_i32_e32 v16, s5
	v_lshlrev_b32_e32 v6, 2, v5
	s_cmp_lg_u32 s10, 0
	ds_load_b32 v5, v6 offset:8
	s_waitcnt lgkmcnt(0)
	v_mov_b32_dpp v15, v5 quad_perm:[1,0,3,2] row_mask:0xf bank_mask:0xf
	s_delay_alu instid0(VALU_DEP_1) | instskip(NEXT) | instid1(VALU_DEP_1)
	v_add_f32_e32 v5, v5, v15
	v_div_scale_f32 v15, null, v16, v16, v5
	v_div_scale_f32 v19, vcc_lo, v5, v16, v5
	s_delay_alu instid0(VALU_DEP_2) | instskip(SKIP_2) | instid1(VALU_DEP_1)
	v_rcp_f32_e32 v17, v15
	s_waitcnt_depctr 0xfff
	v_fma_f32 v18, -v15, v17, 1.0
	v_fmac_f32_e32 v17, v18, v17
	s_delay_alu instid0(VALU_DEP_1) | instskip(NEXT) | instid1(VALU_DEP_1)
	v_mul_f32_e32 v18, v19, v17
	v_fma_f32 v20, -v15, v18, v19
	s_delay_alu instid0(VALU_DEP_1) | instskip(SKIP_2) | instid1(VALU_DEP_3)
	v_fmac_f32_e32 v18, v20, v17
	v_cvt_f32_f16_e32 v20, v4
	v_lshrrev_b32_e32 v4, 16, v4
	v_fma_f32 v15, -v15, v18, v19
	s_delay_alu instid0(VALU_DEP_2) | instskip(NEXT) | instid1(VALU_DEP_2)
	v_cvt_f32_f16_e32 v4, v4
	v_div_fmas_f32 v15, v15, v17, v18
	v_cvt_f32_f16_e32 v17, v2
	v_lshrrev_b32_e32 v2, 16, v2
	v_cvt_f32_f16_e32 v18, v3
	v_lshrrev_b32_e32 v3, 16, v3
	v_div_fixup_f32 v5, v15, v16, v5
	s_delay_alu instid0(VALU_DEP_4) | instskip(NEXT) | instid1(VALU_DEP_3)
	v_cvt_f32_f16_e32 v2, v2
	v_cvt_f32_f16_e32 v3, v3
	s_delay_alu instid0(VALU_DEP_3) | instskip(NEXT) | instid1(VALU_DEP_1)
	v_cvt_f64_f32_e32 v[15:16], v5
	v_add_f64 v[15:16], v[15:16], s[24:25]
	s_delay_alu instid0(VALU_DEP_1) | instskip(SKIP_2) | instid1(VALU_DEP_1)
	v_cvt_f32_f64_e32 v5, v[15:16]
	v_cvt_f32_f16_e32 v16, v1
	v_lshrrev_b32_e32 v1, 16, v1
	v_cvt_f32_f16_e32 v1, v1
	s_delay_alu instid0(VALU_DEP_4) | instskip(SKIP_1) | instid1(VALU_DEP_2)
	v_mul_f32_e32 v15, 0x4b800000, v5
	v_cmp_gt_f32_e32 vcc_lo, 0x800000, v5
	v_cndmask_b32_e32 v5, v5, v15, vcc_lo
	s_delay_alu instid0(VALU_DEP_1) | instskip(SKIP_2) | instid1(VALU_DEP_1)
	v_rsq_f32_e32 v15, v5
	s_waitcnt_depctr 0xfff
	v_mul_f32_e32 v19, 0x45800000, v15
	v_cndmask_b32_e32 v15, v15, v19, vcc_lo
	s_delay_alu instid0(VALU_DEP_1) | instskip(NEXT) | instid1(VALU_DEP_1)
	v_mul_f32_e32 v14, v14, v15
	v_mul_f32_e32 v4, v14, v4
	v_dual_mul_f32 v10, v10, v15 :: v_dual_lshlrev_b32 v5, 3, v0
	v_dual_mov_b32 v21, 0x2edbe6ff :: v_dual_mul_f32 v22, v12, v15
	v_mul_f32_e32 v8, v8, v15
	s_delay_alu instid0(VALU_DEP_3) | instskip(SKIP_1) | instid1(VALU_DEP_3)
	v_dual_mul_f32 v19, v11, v15 :: v_dual_mul_f32 v10, v10, v2
	v_mul_f32_e32 v7, v7, v15
	v_dual_mul_f32 v13, v13, v15 :: v_dual_mul_f32 v12, v8, v16
	v_mul_f32_e32 v8, v22, v3
	s_delay_alu instid0(VALU_DEP_4) | instskip(NEXT) | instid1(VALU_DEP_4)
	v_dual_mul_f32 v9, v9, v15 :: v_dual_and_b32 v14, 0x7fffffff, v10
	v_mul_f32_e32 v11, v7, v1
	s_delay_alu instid0(VALU_DEP_3) | instskip(SKIP_1) | instid1(VALU_DEP_3)
	v_dual_mul_f32 v7, v19, v18 :: v_dual_and_b32 v16, 0x7fffffff, v8
	v_mul_f32_e32 v3, v13, v20
	v_dual_mul_f32 v9, v9, v17 :: v_dual_and_b32 v2, 0x7fffffff, v11
	v_and_b32_e32 v1, 0x7fffffff, v12
	;;#ASMSTART
	v_max3_f32 v1, v21, v1, v2

	;;#ASMEND
	v_and_b32_e32 v15, 0x7fffffff, v7
	s_delay_alu instid0(VALU_DEP_3)
	v_and_b32_e32 v13, 0x7fffffff, v9
	;;#ASMSTART
	v_max3_f32 v1, v1, v13, v14

	;;#ASMEND
	v_and_b32_e32 v17, 0x7fffffff, v3
	v_and_b32_e32 v18, 0x7fffffff, v4
	;;#ASMSTART
	v_max3_f32 v1, v1, v15, v16

	;;#ASMEND
	;;#ASMSTART
	v_max3_f32 v13, v1, v17, v18

	;;#ASMEND
	s_cbranch_scc0 .LBB35_10
; %bb.4:
	s_ashr_i32 s7, s10, 31
	s_delay_alu instid0(SALU_CYCLE_1) | instskip(NEXT) | instid1(SALU_CYCLE_1)
	s_lshr_b32 s1, s7, 29
	s_add_i32 s1, s10, s1
	s_delay_alu instid0(SALU_CYCLE_1) | instskip(NEXT) | instid1(SALU_CYCLE_1)
	s_ashr_i32 s1, s1, 3
	s_cmp_lt_i32 s1, 8
	s_cbranch_scc1 .LBB35_11
; %bb.5:
	s_cmp_lt_i32 s1, 16
	s_cbranch_scc1 .LBB35_12
; %bb.6:
	s_cmp_lt_i32 s1, 32
	s_cbranch_scc1 .LBB35_13
; %bb.7:
	v_mov_b32_e32 v1, v13
	s_cmp_eq_u32 s1, 32
	s_cbranch_scc0 .LBB35_9
; %bb.8:
	s_delay_alu instid0(VALU_DEP_1) | instskip(SKIP_1) | instid1(VALU_DEP_1)
	v_mov_b32_dpp v1, v13 quad_perm:[1,0,3,2] row_mask:0xf bank_mask:0xf
	s_mov_b32 s2, 0x76543210
	v_cmp_gt_f32_e32 vcc_lo, v13, v1
	v_cndmask_b32_e32 v1, v1, v13, vcc_lo
	s_delay_alu instid0(VALU_DEP_1) | instskip(NEXT) | instid1(VALU_DEP_1)
	v_mov_b32_dpp v2, v1 quad_perm:[2,3,0,1] row_mask:0xf bank_mask:0xf
	v_cmp_gt_f32_e32 vcc_lo, v1, v2
	v_cndmask_b32_e32 v1, v2, v1, vcc_lo
	s_delay_alu instid0(VALU_DEP_1) | instskip(NEXT) | instid1(VALU_DEP_1)
	v_mov_b32_dpp v2, v1 row_xmask:7 row_mask:0xf bank_mask:0xf
	v_cmp_gt_f32_e32 vcc_lo, v1, v2
	v_cndmask_b32_e32 v1, v2, v1, vcc_lo
	s_delay_alu instid0(VALU_DEP_1) | instskip(NEXT) | instid1(VALU_DEP_1)
	v_mov_b32_dpp v2, v1 row_xmask:15 row_mask:0xf bank_mask:0xf
	v_cmp_gt_f32_e32 vcc_lo, v1, v2
	v_cndmask_b32_e32 v1, v2, v1, vcc_lo
	s_delay_alu instid0(VALU_DEP_1) | instskip(NEXT) | instid1(VALU_DEP_1)
	v_permlanex16_b32 v2, v1, s2, 0xfedcba98 op_sel:[1,1]
	v_cmp_gt_f32_e32 vcc_lo, v1, v2
	v_cndmask_b32_e32 v1, v2, v1, vcc_lo
.LBB35_9:
	s_mov_b32 s2, 0
	s_branch .LBB35_14
.LBB35_10:
	s_mov_b32 s1, 0
                                        ; implicit-def: $vgpr14
                                        ; implicit-def: $vgpr1_vgpr2
	s_and_b32 vcc_lo, exec_lo, s31
	s_cbranch_vccnz .LBB35_38
	s_branch .LBB35_41
.LBB35_11:
                                        ; implicit-def: $vgpr1
	s_branch .LBB35_21
.LBB35_12:
                                        ; implicit-def: $vgpr1
	s_branch .LBB35_18
.LBB35_13:
	s_mov_b32 s2, -1
                                        ; implicit-def: $vgpr1
.LBB35_14:
	s_delay_alu instid0(SALU_CYCLE_1)
	s_and_not1_b32 vcc_lo, exec_lo, s2
	s_cbranch_vccnz .LBB35_17
; %bb.15:
	v_mov_b32_e32 v1, v13
	s_cmp_eq_u32 s1, 16
	s_cbranch_scc0 .LBB35_17
; %bb.16:
	s_delay_alu instid0(VALU_DEP_1) | instskip(NEXT) | instid1(VALU_DEP_1)
	v_mov_b32_dpp v1, v13 quad_perm:[1,0,3,2] row_mask:0xf bank_mask:0xf
	v_cmp_gt_f32_e32 vcc_lo, v13, v1
	v_cndmask_b32_e32 v1, v1, v13, vcc_lo
	s_delay_alu instid0(VALU_DEP_1) | instskip(NEXT) | instid1(VALU_DEP_1)
	v_mov_b32_dpp v2, v1 quad_perm:[2,3,0,1] row_mask:0xf bank_mask:0xf
	v_cmp_gt_f32_e32 vcc_lo, v1, v2
	v_cndmask_b32_e32 v1, v2, v1, vcc_lo
	s_delay_alu instid0(VALU_DEP_1) | instskip(NEXT) | instid1(VALU_DEP_1)
	v_mov_b32_dpp v2, v1 row_half_mirror row_mask:0xf bank_mask:0xf
	v_cmp_gt_f32_e32 vcc_lo, v1, v2
	v_cndmask_b32_e32 v1, v2, v1, vcc_lo
	s_delay_alu instid0(VALU_DEP_1) | instskip(NEXT) | instid1(VALU_DEP_1)
	v_mov_b32_dpp v2, v1 row_mirror row_mask:0xf bank_mask:0xf
	v_cmp_gt_f32_e32 vcc_lo, v1, v2
	v_cndmask_b32_e32 v1, v2, v1, vcc_lo
.LBB35_17:
	s_cbranch_execnz .LBB35_20
.LBB35_18:
	v_mov_b32_e32 v1, v13
	s_cmp_eq_u32 s1, 8
	s_cbranch_scc0 .LBB35_20
; %bb.19:
	s_delay_alu instid0(VALU_DEP_1) | instskip(NEXT) | instid1(VALU_DEP_1)
	v_mov_b32_dpp v1, v13 quad_perm:[1,0,3,2] row_mask:0xf bank_mask:0xf
	v_cmp_gt_f32_e32 vcc_lo, v13, v1
	v_cndmask_b32_e32 v1, v1, v13, vcc_lo
	s_delay_alu instid0(VALU_DEP_1) | instskip(NEXT) | instid1(VALU_DEP_1)
	v_mov_b32_dpp v2, v1 quad_perm:[2,3,0,1] row_mask:0xf bank_mask:0xf
	v_cmp_gt_f32_e32 vcc_lo, v1, v2
	v_cndmask_b32_e32 v1, v2, v1, vcc_lo
	s_delay_alu instid0(VALU_DEP_1) | instskip(NEXT) | instid1(VALU_DEP_1)
	v_mov_b32_dpp v2, v1 row_half_mirror row_mask:0xf bank_mask:0xf
	v_cmp_gt_f32_e32 vcc_lo, v1, v2
	v_cndmask_b32_e32 v1, v2, v1, vcc_lo
.LBB35_20:
	s_cbranch_execnz .LBB35_28
.LBB35_21:
	s_cmp_lt_i32 s1, 4
	s_cbranch_scc1 .LBB35_24
; %bb.22:
	v_mov_b32_e32 v1, v13
	s_cmp_eq_u32 s1, 4
	s_cbranch_scc0 .LBB35_25
; %bb.23:
	s_delay_alu instid0(VALU_DEP_1) | instskip(NEXT) | instid1(VALU_DEP_1)
	v_mov_b32_dpp v1, v13 quad_perm:[1,0,3,2] row_mask:0xf bank_mask:0xf
	v_cmp_gt_f32_e32 vcc_lo, v13, v1
	v_cndmask_b32_e32 v1, v1, v13, vcc_lo
	s_delay_alu instid0(VALU_DEP_1) | instskip(NEXT) | instid1(VALU_DEP_1)
	v_mov_b32_dpp v2, v1 quad_perm:[2,3,0,1] row_mask:0xf bank_mask:0xf
	v_cmp_gt_f32_e32 vcc_lo, v1, v2
	v_cndmask_b32_e32 v1, v2, v1, vcc_lo
	s_cbranch_execz .LBB35_26
	s_branch .LBB35_28
.LBB35_24:
                                        ; implicit-def: $vgpr1
	s_branch .LBB35_26
.LBB35_25:
	s_cbranch_execnz .LBB35_28
.LBB35_26:
	v_mov_b32_e32 v1, v13
	s_cmp_lg_u32 s1, 2
	s_cbranch_scc1 .LBB35_28
; %bb.27:
	s_delay_alu instid0(VALU_DEP_1) | instskip(NEXT) | instid1(VALU_DEP_1)
	v_mov_b32_dpp v1, v13 quad_perm:[1,0,3,2] row_mask:0xf bank_mask:0xf
	v_cmp_gt_f32_e32 vcc_lo, v13, v1
	v_cndmask_b32_e32 v1, v1, v13, vcc_lo
.LBB35_28:
	v_cvt_f32_u32_e32 v2, s1
	s_sub_i32 s2, 0, s1
	s_mov_b32 s31, 0
	s_delay_alu instid0(VALU_DEP_1) | instskip(SKIP_2) | instid1(VALU_DEP_1)
	v_rcp_iflag_f32_e32 v2, v2
	s_waitcnt_depctr 0xfff
	v_mul_f32_e32 v2, 0x4f7ffffe, v2
	v_cvt_u32_f32_e32 v2, v2
	s_delay_alu instid0(VALU_DEP_1) | instskip(NEXT) | instid1(VALU_DEP_1)
	v_mul_lo_u32 v14, s2, v2
	v_mul_hi_u32 v14, v2, v14
	s_delay_alu instid0(VALU_DEP_1) | instskip(NEXT) | instid1(VALU_DEP_1)
	v_add_nc_u32_e32 v2, v2, v14
	v_mul_hi_u32 v2, v0, v2
	s_delay_alu instid0(VALU_DEP_1) | instskip(NEXT) | instid1(VALU_DEP_1)
	v_mul_lo_u32 v14, v2, s1
	v_sub_nc_u32_e32 v14, v0, v14
	s_delay_alu instid0(VALU_DEP_1) | instskip(SKIP_1) | instid1(VALU_DEP_2)
	v_subrev_nc_u32_e32 v16, s1, v14
	v_cmp_le_u32_e32 vcc_lo, s1, v14
	v_dual_cndmask_b32 v14, v14, v16 :: v_dual_add_nc_u32 v15, 1, v2
	s_delay_alu instid0(VALU_DEP_1) | instskip(NEXT) | instid1(VALU_DEP_2)
	v_cndmask_b32_e32 v2, v2, v15, vcc_lo
	v_cmp_le_u32_e32 vcc_lo, s1, v14
	s_delay_alu instid0(VALU_DEP_2) | instskip(NEXT) | instid1(VALU_DEP_1)
	v_dual_mul_f32 v14, 0x3c010204, v1 :: v_dual_add_nc_u32 v15, 1, v2
	v_cndmask_b32_e32 v15, v2, v15, vcc_lo
	v_cmp_gt_u32_e32 vcc_lo, s5, v5
	s_delay_alu instid0(VALU_DEP_2) | instskip(NEXT) | instid1(VALU_DEP_1)
	v_mul_lo_u32 v2, v15, s1
	v_sub_nc_u32_e32 v2, v0, v2
	s_delay_alu instid0(VALU_DEP_1) | instskip(NEXT) | instid1(VALU_DEP_1)
	v_cmp_eq_u32_e64 s1, 0, v2
                                        ; implicit-def: $vgpr1_vgpr2
	s_and_b32 s2, s1, vcc_lo
	s_mov_b32 s1, 0
	s_and_saveexec_b32 s3, s2
	s_delay_alu instid0(SALU_CYCLE_1)
	s_xor_b32 s8, exec_lo, s3
	s_cbranch_execz .LBB35_37
; %bb.29:
	s_bitcmp0_b32 s11, 0
	s_mov_b32 s6, 0
	s_cbranch_scc0 .LBB35_34
; %bb.30:
	s_ashr_i32 s1, s5, 31
	s_mul_hi_u32 s3, s5, s34
	s_mul_i32 s1, s1, s34
	s_mul_i32 s2, s5, s34
	s_add_i32 s3, s3, s1
	s_mov_b32 s11, s7
	s_delay_alu instid0(SALU_CYCLE_1) | instskip(NEXT) | instid1(SALU_CYCLE_1)
	s_or_b64 s[14:15], s[2:3], s[10:11]
	s_mov_b32 s7, s15
	s_delay_alu instid0(SALU_CYCLE_1)
	s_cmp_lg_u64 s[6:7], 0
	s_cbranch_scc0 .LBB35_45
; %bb.31:
	s_add_u32 s14, s10, s11
	s_mov_b32 s6, s11
	s_mov_b32 s7, s11
	s_addc_u32 s15, s11, s11
	s_delay_alu instid0(SALU_CYCLE_1) | instskip(NEXT) | instid1(SALU_CYCLE_1)
	s_xor_b64 s[14:15], s[14:15], s[6:7]
	v_cvt_f32_u32_e32 v1, s14
	v_cvt_f32_u32_e32 v2, s15
	s_sub_u32 s18, 0, s14
	s_subb_u32 s19, 0, s15
	s_delay_alu instid0(VALU_DEP_1) | instskip(NEXT) | instid1(VALU_DEP_1)
	v_fmamk_f32 v1, v2, 0x4f800000, v1
	v_rcp_f32_e32 v1, v1
	s_waitcnt_depctr 0xfff
	v_mul_f32_e32 v1, 0x5f7ffffc, v1
	s_delay_alu instid0(VALU_DEP_1) | instskip(NEXT) | instid1(VALU_DEP_1)
	v_mul_f32_e32 v2, 0x2f800000, v1
	v_trunc_f32_e32 v2, v2
	s_delay_alu instid0(VALU_DEP_1) | instskip(SKIP_1) | instid1(VALU_DEP_2)
	v_fmamk_f32 v1, v2, 0xcf800000, v1
	v_cvt_u32_f32_e32 v2, v2
	v_cvt_u32_f32_e32 v1, v1
	s_delay_alu instid0(VALU_DEP_2) | instskip(NEXT) | instid1(VALU_DEP_2)
	v_readfirstlane_b32 s1, v2
	v_readfirstlane_b32 s11, v1
	s_delay_alu instid0(VALU_DEP_2) | instskip(NEXT) | instid1(VALU_DEP_1)
	s_mul_i32 s20, s18, s1
	s_mul_hi_u32 s22, s18, s11
	s_mul_i32 s21, s19, s11
	s_add_i32 s20, s22, s20
	s_mul_i32 s23, s18, s11
	s_add_i32 s20, s20, s21
	s_mul_hi_u32 s22, s11, s23
	s_mul_hi_u32 s24, s1, s23
	s_mul_i32 s21, s1, s23
	s_mul_hi_u32 s23, s11, s20
	s_mul_i32 s11, s11, s20
	s_mul_hi_u32 s25, s1, s20
	s_add_u32 s11, s22, s11
	s_addc_u32 s22, 0, s23
	s_add_u32 s11, s11, s21
	s_mul_i32 s20, s1, s20
	s_addc_u32 s11, s22, s24
	s_addc_u32 s21, s25, 0
	s_add_u32 s11, s11, s20
	s_addc_u32 s20, 0, s21
	v_add_co_u32 v1, s11, v1, s11
	s_delay_alu instid0(VALU_DEP_1) | instskip(SKIP_1) | instid1(VALU_DEP_1)
	s_cmp_lg_u32 s11, 0
	s_addc_u32 s1, s1, s20
	v_readfirstlane_b32 s11, v1
	s_mul_i32 s20, s18, s1
	s_delay_alu instid0(VALU_DEP_1)
	s_mul_hi_u32 s21, s18, s11
	s_mul_i32 s19, s19, s11
	s_add_i32 s20, s21, s20
	s_mul_i32 s18, s18, s11
	s_add_i32 s20, s20, s19
	s_mul_hi_u32 s21, s1, s18
	s_mul_i32 s22, s1, s18
	s_mul_hi_u32 s18, s11, s18
	s_mul_hi_u32 s23, s11, s20
	s_mul_i32 s11, s11, s20
	s_mul_hi_u32 s19, s1, s20
	s_add_u32 s11, s18, s11
	s_addc_u32 s18, 0, s23
	s_add_u32 s11, s11, s22
	s_mul_i32 s20, s1, s20
	s_addc_u32 s11, s18, s21
	s_addc_u32 s18, s19, 0
	s_add_u32 s11, s11, s20
	s_addc_u32 s18, 0, s18
	v_add_co_u32 v1, s11, v1, s11
	s_delay_alu instid0(VALU_DEP_1) | instskip(SKIP_2) | instid1(SALU_CYCLE_1)
	s_cmp_lg_u32 s11, 0
	s_addc_u32 s1, s1, s18
	s_ashr_i32 s18, s3, 31
	s_add_u32 s20, s2, s18
	s_addc_u32 s21, s3, s18
	v_readfirstlane_b32 s3, v1
	s_mov_b32 s19, s18
	s_delay_alu instid0(SALU_CYCLE_1) | instskip(NEXT) | instid1(SALU_CYCLE_1)
	s_xor_b64 s[20:21], s[20:21], s[18:19]
	s_mul_i32 s22, s20, s1
	s_delay_alu instid0(VALU_DEP_1)
	s_mul_hi_u32 s23, s20, s3
	s_mul_hi_u32 s11, s20, s1
	;; [unrolled: 1-line block ×3, first 2 shown]
	s_mul_i32 s3, s21, s3
	s_add_u32 s22, s23, s22
	s_addc_u32 s11, 0, s11
	s_mul_hi_u32 s24, s21, s1
	s_add_u32 s3, s22, s3
	s_mul_i32 s1, s21, s1
	s_addc_u32 s3, s11, s25
	s_addc_u32 s11, s24, 0
	s_add_u32 s3, s3, s1
	s_addc_u32 s11, 0, s11
	s_mul_i32 s24, s14, s3
	s_mul_hi_u32 s1, s14, s3
	s_mul_i32 s23, s14, s11
	v_sub_co_u32 v1, s20, s20, s24
	s_mul_i32 s22, s15, s3
	s_add_i32 s1, s1, s23
	s_delay_alu instid0(SALU_CYCLE_1) | instskip(NEXT) | instid1(VALU_DEP_1)
	s_add_i32 s1, s1, s22
	v_sub_co_u32 v2, s23, v1, s14
	s_sub_i32 s22, s21, s1
	s_cmp_lg_u32 s20, 0
	s_subb_u32 s22, s22, s15
	s_cmp_lg_u32 s23, 0
	v_cmp_le_u32_e32 vcc_lo, s14, v2
	s_subb_u32 s22, s22, 0
	s_delay_alu instid0(SALU_CYCLE_1)
	s_cmp_ge_u32 s22, s15
	v_cndmask_b32_e64 v2, 0, -1, vcc_lo
	s_cselect_b32 s23, -1, 0
	s_cmp_eq_u32 s22, s15
	s_cselect_b32 vcc_lo, -1, 0
	s_add_u32 s22, s3, 1
	v_cndmask_b32_e32 v2, s23, v2, vcc_lo
	s_addc_u32 s23, s11, 0
	s_add_u32 s24, s3, 2
	s_addc_u32 s25, s11, 0
	s_cmp_lg_u32 s20, 0
	v_cmp_le_u32_e32 vcc_lo, s14, v1
	s_subb_u32 s1, s21, s1
	v_mov_b32_e32 v16, s24
	s_cmp_ge_u32 s1, s15
	v_cndmask_b32_e64 v1, 0, -1, vcc_lo
	s_cselect_b32 s14, -1, 0
	s_cmp_eq_u32 s1, s15
	v_cmp_ne_u32_e32 vcc_lo, 0, v2
	v_mov_b32_e32 v2, s25
	s_cselect_b32 s1, -1, 0
	s_xor_b64 s[6:7], s[18:19], s[6:7]
	v_cndmask_b32_e64 v1, s14, v1, s1
	v_cndmask_b32_e32 v16, s22, v16, vcc_lo
	v_cndmask_b32_e32 v2, s23, v2, vcc_lo
	s_delay_alu instid0(VALU_DEP_3) | instskip(NEXT) | instid1(VALU_DEP_2)
	v_cmp_ne_u32_e32 vcc_lo, 0, v1
	v_cndmask_b32_e32 v1, s11, v2, vcc_lo
	s_delay_alu instid0(VALU_DEP_4) | instskip(NEXT) | instid1(VALU_DEP_2)
	v_cndmask_b32_e32 v2, s3, v16, vcc_lo
	v_xor_b32_e32 v16, s7, v1
	s_delay_alu instid0(VALU_DEP_2) | instskip(NEXT) | instid1(VALU_DEP_1)
	v_xor_b32_e32 v2, s6, v2
	v_sub_co_u32 v1, vcc_lo, v2, s6
	s_delay_alu instid0(VALU_DEP_3)
	v_subrev_co_ci_u32_e32 v2, vcc_lo, s7, v16, vcc_lo
	s_cbranch_execnz .LBB35_33
.LBB35_32:
	v_cvt_f32_u32_e32 v1, s10
	s_sub_i32 s3, 0, s10
	s_delay_alu instid0(VALU_DEP_1) | instskip(SKIP_2) | instid1(VALU_DEP_1)
	v_rcp_iflag_f32_e32 v1, v1
	s_waitcnt_depctr 0xfff
	v_mul_f32_e32 v1, 0x4f7ffffe, v1
	v_cvt_u32_f32_e32 v1, v1
	s_delay_alu instid0(VALU_DEP_1) | instskip(NEXT) | instid1(VALU_DEP_1)
	v_readfirstlane_b32 s1, v1
	s_mul_i32 s3, s3, s1
	s_delay_alu instid0(SALU_CYCLE_1) | instskip(NEXT) | instid1(SALU_CYCLE_1)
	s_mul_hi_u32 s3, s1, s3
	s_add_i32 s1, s1, s3
	s_delay_alu instid0(SALU_CYCLE_1) | instskip(NEXT) | instid1(SALU_CYCLE_1)
	s_mul_hi_u32 s1, s2, s1
	s_mul_i32 s3, s1, s10
	s_delay_alu instid0(SALU_CYCLE_1)
	s_sub_i32 s2, s2, s3
	s_add_i32 s3, s1, 1
	s_sub_i32 s6, s2, s10
	s_cmp_ge_u32 s2, s10
	s_cselect_b32 s1, s3, s1
	s_cselect_b32 s2, s6, s2
	s_add_i32 s6, s1, 1
	s_cmp_ge_u32 s2, s10
	s_mov_b32 s3, 0
	s_cselect_b32 s2, s6, s1
	s_delay_alu instid0(SALU_CYCLE_1)
	v_dual_mov_b32 v1, s2 :: v_dual_mov_b32 v2, s3
.LBB35_33:
	s_delay_alu instid0(VALU_DEP_1) | instskip(NEXT) | instid1(VALU_DEP_2)
	v_add_co_u32 v1, vcc_lo, v1, v15
	v_add_co_ci_u32_e32 v2, vcc_lo, 0, v2, vcc_lo
	s_branch .LBB35_36
.LBB35_34:
                                        ; implicit-def: $vgpr1_vgpr2
	s_cbranch_execz .LBB35_36
; %bb.35:
	v_mul_lo_u32 v1, v15, s4
	s_delay_alu instid0(VALU_DEP_1) | instskip(SKIP_1) | instid1(VALU_DEP_2)
	v_ashrrev_i32_e32 v2, 31, v1
	v_add_co_u32 v1, vcc_lo, v1, s34
	v_add_co_ci_u32_e32 v2, vcc_lo, 0, v2, vcc_lo
.LBB35_36:
	s_mov_b32 s1, exec_lo
.LBB35_37:
	s_or_b32 exec_lo, exec_lo, s8
	s_delay_alu instid0(SALU_CYCLE_1)
	s_and_b32 vcc_lo, exec_lo, s31
	s_cbranch_vccz .LBB35_41
.LBB35_38:
	v_mov_b32_dpp v1, v13 quad_perm:[1,0,3,2] row_mask:0xf bank_mask:0xf
	s_delay_alu instid0(VALU_DEP_1) | instskip(SKIP_1) | instid1(VALU_DEP_1)
	v_cmp_gt_f32_e32 vcc_lo, v13, v1
	v_cndmask_b32_e32 v1, v1, v13, vcc_lo
	v_mov_b32_dpp v2, v1 quad_perm:[2,3,0,1] row_mask:0xf bank_mask:0xf
	s_delay_alu instid0(VALU_DEP_1) | instskip(SKIP_1) | instid1(VALU_DEP_1)
	v_cmp_gt_f32_e32 vcc_lo, v1, v2
	v_cndmask_b32_e32 v1, v2, v1, vcc_lo
	v_mov_b32_dpp v2, v1 row_xmask:7 row_mask:0xf bank_mask:0xf
	s_delay_alu instid0(VALU_DEP_1) | instskip(SKIP_1) | instid1(VALU_DEP_1)
	v_cmp_gt_f32_e32 vcc_lo, v1, v2
	v_cndmask_b32_e32 v1, v2, v1, vcc_lo
	v_mov_b32_dpp v2, v1 row_xmask:15 row_mask:0xf bank_mask:0xf
	s_delay_alu instid0(VALU_DEP_1)
	v_cmp_gt_f32_e32 vcc_lo, v1, v2
	s_and_saveexec_b32 s1, s0
	s_cbranch_execz .LBB35_40
; %bb.39:
	v_cndmask_b32_e32 v1, v2, v1, vcc_lo
	v_lshrrev_b32_e32 v2, 3, v0
	s_mov_b32 s0, 0x76543210
	s_delay_alu instid0(VALU_DEP_1) | instskip(NEXT) | instid1(VALU_DEP_3)
	v_and_b32_e32 v2, 0x7c, v2
	v_permlanex16_b32 v13, v1, s0, 0xfedcba98 op_sel:[1,1]
	s_delay_alu instid0(VALU_DEP_1)
	v_cmp_gt_f32_e32 vcc_lo, v1, v13
	v_cndmask_b32_e32 v1, v13, v1, vcc_lo
	ds_store_b32 v2, v1
.LBB35_40:
	s_or_b32 exec_lo, exec_lo, s1
	s_waitcnt lgkmcnt(0)
	s_barrier
	buffer_gl0_inv
	ds_load_b32 v1, v6
	v_cmp_eq_u32_e64 s1, 0, v0
	s_waitcnt lgkmcnt(0)
	v_mov_b32_dpp v2, v1 quad_perm:[1,0,3,2] row_mask:0xf bank_mask:0xf
	s_delay_alu instid0(VALU_DEP_1) | instskip(SKIP_1) | instid1(VALU_DEP_1)
	v_cmp_gt_f32_e32 vcc_lo, v1, v2
	v_cndmask_b32_e32 v1, v2, v1, vcc_lo
	v_dual_mul_f32 v14, 0x3c010204, v1 :: v_dual_mov_b32 v1, s34
	v_mov_b32_e32 v2, s35
.LBB35_41:
	s_and_saveexec_b32 s0, s1
	s_cbranch_execz .LBB35_43
; %bb.42:
	s_delay_alu instid0(VALU_DEP_1) | instskip(NEXT) | instid1(VALU_DEP_1)
	v_lshlrev_b64 v[0:1], 2, v[1:2]
	v_add_co_u32 v0, vcc_lo, s16, v0
	s_delay_alu instid0(VALU_DEP_2)
	v_add_co_ci_u32_e32 v1, vcc_lo, s17, v1, vcc_lo
	global_store_b32 v[0:1], v14, off
.LBB35_43:
	s_or_b32 exec_lo, exec_lo, s0
	;;#ASMSTART
	v_rcp_f32 v0, v14
	;;#ASMEND
	v_mul_f32_e32 v7, v7, v0
	v_mul_f32_e32 v1, v12, v0
	;; [unrolled: 1-line block ×4, first 2 shown]
	s_add_i32 s0, s5, 3
	v_cvt_i32_f32_e32 v7, v7
	v_mul_f32_e32 v2, v11, v0
	v_cvt_i32_f32_e32 v1, v1
	v_mul_f32_e32 v6, v9, v0
	v_cvt_i32_f32_e32 v4, v4
	v_and_b32_e32 v7, 0xff, v7
	v_cvt_i32_f32_e32 v2, v2
	v_and_b32_e32 v1, 0xff, v1
	s_ashr_i32 s1, s0, 31
	v_lshlrev_b16 v4, 8, v4
	s_lshr_b32 s1, s1, 30
	v_lshlrev_b16 v2, 8, v2
	s_add_i32 s0, s0, s1
	s_ashr_i32 s1, s9, 31
	s_and_b32 s2, s0, -4
	s_mul_hi_u32 s0, s9, s34
	v_or_b32_e32 v1, v1, v2
	v_mul_f32_e32 v9, v10, v0
	v_mul_f32_e32 v0, v3, v0
	v_cvt_i32_f32_e32 v3, v6
	s_mul_i32 s1, s1, s34
	s_mul_i32 s3, s9, s34
	s_add_i32 s1, s0, s1
	v_cvt_i32_f32_e32 v0, v0
	v_and_b32_e32 v3, 0xff, v3
	v_cvt_i32_f32_e32 v6, v8
	s_add_u32 s0, s12, s3
	s_addc_u32 s1, s13, s1
	v_and_b32_e32 v0, 0xff, v0
	s_and_b32 s1, s1, 0xffff
	v_lshlrev_b16 v6, 8, v6
	s_mov_b32 s3, -1
	s_delay_alu instid0(VALU_DEP_2) | instskip(SKIP_3) | instid1(VALU_DEP_4)
	v_or_b32_e32 v0, v0, v4
	v_and_b32_e32 v4, 0xffff, v1
	v_cvt_i32_f32_e32 v8, v9
	v_or_b32_e32 v6, v7, v6
	v_lshlrev_b32_e32 v0, 16, v0
	s_delay_alu instid0(VALU_DEP_3) | instskip(NEXT) | instid1(VALU_DEP_1)
	v_lshlrev_b16 v8, 8, v8
	v_or_b32_e32 v2, v3, v8
	s_delay_alu instid0(VALU_DEP_4) | instskip(NEXT) | instid1(VALU_DEP_2)
	v_and_b32_e32 v3, 0xffff, v6
	v_lshlrev_b32_e32 v2, 16, v2
	s_delay_alu instid0(VALU_DEP_2) | instskip(NEXT) | instid1(VALU_DEP_2)
	v_or_b32_e32 v1, v3, v0
	v_or_b32_e32 v0, v4, v2
	buffer_store_b64 v[0:1], v5, s[0:3], 0 offen
	;;#ASMSTART
	s_nop 0
	;;#ASMEND
.LBB35_44:
	s_nop 0
	s_sendmsg sendmsg(MSG_DEALLOC_VGPRS)
	s_endpgm
.LBB35_45:
                                        ; implicit-def: $vgpr1_vgpr2
	s_branch .LBB35_32
	.section	.rodata,"a",@progbits
	.p2align	6, 0x0
	.amdhsa_kernel _ZN5aiter24add_rmsnorm_quant_kernelIDF16_aLi64ELi8ELb1ELb1ELb0ELi1EEEvPT0_PT_PfS4_S4_S4_diiiiiiib
		.amdhsa_group_segment_fixed_size 16
		.amdhsa_private_segment_fixed_size 0
		.amdhsa_kernarg_size 88
		.amdhsa_user_sgpr_count 15
		.amdhsa_user_sgpr_dispatch_ptr 0
		.amdhsa_user_sgpr_queue_ptr 0
		.amdhsa_user_sgpr_kernarg_segment_ptr 1
		.amdhsa_user_sgpr_dispatch_id 0
		.amdhsa_user_sgpr_private_segment_size 0
		.amdhsa_wavefront_size32 1
		.amdhsa_uses_dynamic_stack 0
		.amdhsa_enable_private_segment 0
		.amdhsa_system_sgpr_workgroup_id_x 1
		.amdhsa_system_sgpr_workgroup_id_y 0
		.amdhsa_system_sgpr_workgroup_id_z 0
		.amdhsa_system_sgpr_workgroup_info 0
		.amdhsa_system_vgpr_workitem_id 0
		.amdhsa_next_free_vgpr 25
		.amdhsa_next_free_sgpr 36
		.amdhsa_reserve_vcc 1
		.amdhsa_float_round_mode_32 0
		.amdhsa_float_round_mode_16_64 0
		.amdhsa_float_denorm_mode_32 3
		.amdhsa_float_denorm_mode_16_64 3
		.amdhsa_dx10_clamp 1
		.amdhsa_ieee_mode 1
		.amdhsa_fp16_overflow 0
		.amdhsa_workgroup_processor_mode 1
		.amdhsa_memory_ordered 1
		.amdhsa_forward_progress 0
		.amdhsa_shared_vgpr_count 0
		.amdhsa_exception_fp_ieee_invalid_op 0
		.amdhsa_exception_fp_denorm_src 0
		.amdhsa_exception_fp_ieee_div_zero 0
		.amdhsa_exception_fp_ieee_overflow 0
		.amdhsa_exception_fp_ieee_underflow 0
		.amdhsa_exception_fp_ieee_inexact 0
		.amdhsa_exception_int_div_zero 0
	.end_amdhsa_kernel
	.section	.text._ZN5aiter24add_rmsnorm_quant_kernelIDF16_aLi64ELi8ELb1ELb1ELb0ELi1EEEvPT0_PT_PfS4_S4_S4_diiiiiiib,"axG",@progbits,_ZN5aiter24add_rmsnorm_quant_kernelIDF16_aLi64ELi8ELb1ELb1ELb0ELi1EEEvPT0_PT_PfS4_S4_S4_diiiiiiib,comdat
.Lfunc_end35:
	.size	_ZN5aiter24add_rmsnorm_quant_kernelIDF16_aLi64ELi8ELb1ELb1ELb0ELi1EEEvPT0_PT_PfS4_S4_S4_diiiiiiib, .Lfunc_end35-_ZN5aiter24add_rmsnorm_quant_kernelIDF16_aLi64ELi8ELb1ELb1ELb0ELi1EEEvPT0_PT_PfS4_S4_S4_diiiiiiib
                                        ; -- End function
	.section	.AMDGPU.csdata,"",@progbits
; Kernel info:
; codeLenInByte = 3380
; NumSgprs: 38
; NumVgprs: 25
; ScratchSize: 0
; MemoryBound: 0
; FloatMode: 240
; IeeeMode: 1
; LDSByteSize: 16 bytes/workgroup (compile time only)
; SGPRBlocks: 4
; VGPRBlocks: 3
; NumSGPRsForWavesPerEU: 38
; NumVGPRsForWavesPerEU: 25
; Occupancy: 16
; WaveLimiterHint : 0
; COMPUTE_PGM_RSRC2:SCRATCH_EN: 0
; COMPUTE_PGM_RSRC2:USER_SGPR: 15
; COMPUTE_PGM_RSRC2:TRAP_HANDLER: 0
; COMPUTE_PGM_RSRC2:TGID_X_EN: 1
; COMPUTE_PGM_RSRC2:TGID_Y_EN: 0
; COMPUTE_PGM_RSRC2:TGID_Z_EN: 0
; COMPUTE_PGM_RSRC2:TIDIG_COMP_CNT: 0
	.section	.text._ZN5aiter24add_rmsnorm_quant_kernelItaLi64ELi8ELb1ELb1ELb0ELi1EEEvPT0_PT_PfS4_S4_S4_diiiiiiib,"axG",@progbits,_ZN5aiter24add_rmsnorm_quant_kernelItaLi64ELi8ELb1ELb1ELb0ELi1EEEvPT0_PT_PfS4_S4_S4_diiiiiiib,comdat
	.protected	_ZN5aiter24add_rmsnorm_quant_kernelItaLi64ELi8ELb1ELb1ELb0ELi1EEEvPT0_PT_PfS4_S4_S4_diiiiiiib ; -- Begin function _ZN5aiter24add_rmsnorm_quant_kernelItaLi64ELi8ELb1ELb1ELb0ELi1EEEvPT0_PT_PfS4_S4_S4_diiiiiiib
	.globl	_ZN5aiter24add_rmsnorm_quant_kernelItaLi64ELi8ELb1ELb1ELb0ELi1EEEvPT0_PT_PfS4_S4_S4_diiiiiiib
	.p2align	8
	.type	_ZN5aiter24add_rmsnorm_quant_kernelItaLi64ELi8ELb1ELb1ELb0ELi1EEEvPT0_PT_PfS4_S4_S4_diiiiiiib,@function
_ZN5aiter24add_rmsnorm_quant_kernelItaLi64ELi8ELb1ELb1ELb0ELi1EEEvPT0_PT_PfS4_S4_S4_diiiiiiib: ; @_ZN5aiter24add_rmsnorm_quant_kernelItaLi64ELi8ELb1ELb1ELb0ELi1EEEvPT0_PT_PfS4_S4_S4_diiiiiiib
; %bb.0:
	s_load_b256 s[4:11], s[0:1], 0x38
	s_mov_b32 s34, s15
	s_mov_b32 s35, 0
	s_waitcnt lgkmcnt(0)
	s_ashr_i32 s3, s4, 31
	s_mov_b32 s2, s4
	s_delay_alu instid0(SALU_CYCLE_1) | instskip(NEXT) | instid1(VALU_DEP_1)
	v_cmp_ge_i64_e64 s2, s[34:35], s[2:3]
	s_and_b32 vcc_lo, exec_lo, s2
	s_cbranch_vccnz .LBB36_44
; %bb.1:
	s_clause 0x1
	s_load_b256 s[12:19], s[0:1], 0x0
	s_load_b256 s[20:27], s[0:1], 0x20
	s_ashr_i32 s1, s6, 31
	s_mul_hi_u32 s2, s6, s34
	s_mul_i32 s1, s1, s34
	s_mul_i32 s0, s6, s34
	s_add_i32 s1, s2, s1
	s_mul_hi_u32 s3, s7, s34
	s_lshl_b64 s[0:1], s[0:1], 1
	s_mul_i32 s2, s7, s34
	v_lshlrev_b32_e32 v19, 4, v0
	s_mov_b32 s31, -1
	s_waitcnt lgkmcnt(0)
	s_add_u32 s28, s18, s0
	s_addc_u32 s0, s19, s1
	s_add_i32 s6, s5, 1
	s_ashr_i32 s7, s7, 31
	s_lshr_b32 s18, s6, 31
	s_mul_i32 s7, s7, s34
	s_add_i32 s6, s6, s18
	s_and_b32 s29, s0, 0xffff
	s_lshl_b32 s0, s6, 1
	s_add_i32 s3, s3, s7
	s_and_b32 s30, s0, -4
	s_lshl_b64 s[2:3], s[2:3], 1
	s_and_b32 s1, s23, 0xffff
	buffer_load_b128 v[5:8], v19, s[28:31], 0 offen glc slc
	s_add_u32 s28, s20, s2
	s_addc_u32 s0, s21, s3
	s_mov_b32 s3, s31
	s_and_b32 s29, s0, 0xffff
	s_mov_b32 s0, s22
	buffer_load_b128 v[9:12], v19, s[28:31], 0 offen glc slc
	s_mov_b32 s2, s30
	s_waitcnt vmcnt(1)
	v_lshrrev_b32_e32 v15, 16, v7
	v_and_b32_e32 v17, 0xffff, v7
	v_lshrrev_b32_e32 v14, 16, v6
	v_lshrrev_b32_e32 v18, 16, v8
	s_waitcnt vmcnt(0)
	v_and_b32_e32 v7, 0xffff, v9
	v_lshrrev_b32_e32 v16, 16, v9
	s_delay_alu instid0(VALU_DEP_2) | instskip(SKIP_2) | instid1(VALU_DEP_4)
	v_cvt_f32_u32_e32 v20, v7
	v_and_b32_e32 v13, 0xffff, v5
	v_lshrrev_b32_e32 v5, 16, v5
	v_cvt_f32_u32_e32 v9, v16
	s_delay_alu instid0(VALU_DEP_2) | instskip(NEXT) | instid1(VALU_DEP_1)
	v_cvt_f32_u32_e32 v5, v5
	v_dual_add_f32 v7, v5, v9 :: v_dual_and_b32 v6, 0xffff, v6
	s_delay_alu instid0(VALU_DEP_1) | instskip(SKIP_3) | instid1(VALU_DEP_2)
	v_cvt_f32_u32_e32 v5, v6
	v_and_b32_e32 v16, 0xffff, v8
	v_cvt_f32_u32_e32 v8, v13
	v_lshrrev_b32_e32 v6, 16, v10
	v_add_f32_e32 v8, v8, v20
	v_mul_f32_e32 v20, v7, v7
	buffer_load_b128 v[1:4], v19, s[0:3], 0 offen
	v_cvt_f32_u32_e32 v6, v6
	s_ashr_i32 s0, s8, 31
	s_mul_hi_u32 s1, s8, s34
	v_dual_fmac_f32 v20, v8, v8 :: v_dual_and_b32 v13, 0xffff, v10
	v_cvt_f32_u32_e32 v10, v14
	s_mul_i32 s2, s0, s34
	s_mul_i32 s0, s8, s34
	s_add_i32 s1, s1, s2
	v_cvt_f32_u32_e32 v9, v13
	v_add_f32_e32 v10, v10, v6
	v_cvt_f32_u32_e32 v6, v15
	s_lshl_b64 s[0:1], s[0:1], 1
	s_delay_alu instid0(VALU_DEP_3) | instskip(SKIP_3) | instid1(VALU_DEP_2)
	v_add_f32_e32 v9, v5, v9
	v_cvt_f32_u32_e32 v5, v17
	s_add_u32 s28, s14, s0
	s_addc_u32 s1, s15, s1
	v_dual_fmac_f32 v20, v9, v9 :: v_dual_and_b32 v13, 0xffff, v11
	v_lshrrev_b32_e32 v11, 16, v11
	s_and_b32 s29, s1, 0xffff
	s_delay_alu instid0(VALU_DEP_2) | instskip(NEXT) | instid1(VALU_DEP_3)
	v_fmac_f32_e32 v20, v10, v10
	v_cvt_f32_u32_e32 v13, v13
	v_and_b32_e32 v14, 0xffff, v12
	v_cvt_f32_u32_e32 v15, v11
	s_delay_alu instid0(VALU_DEP_3)
	v_add_f32_e32 v11, v5, v13
	v_cvt_f32_u32_e32 v5, v16
	v_lshrrev_b32_e32 v13, 16, v12
	v_cvt_f32_u32_e32 v14, v14
	v_add_f32_e32 v12, v6, v15
	v_fmac_f32_e32 v20, v11, v11
	v_cvt_f32_u32_e32 v6, v18
	v_cvt_f32_u32_e32 v15, v13
	v_add_f32_e32 v13, v5, v14
	v_perm_b32 v17, v12, v11, 0x7060302
	v_fmac_f32_e32 v20, v12, v12
	v_perm_b32 v16, v10, v9, 0x7060302
	v_add_f32_e32 v14, v6, v15
	v_perm_b32 v15, v7, v8, 0x7060302
	s_delay_alu instid0(VALU_DEP_4) | instskip(NEXT) | instid1(VALU_DEP_1)
	v_fmac_f32_e32 v20, v13, v13
	v_fmac_f32_e32 v20, v14, v14
	s_delay_alu instid0(VALU_DEP_1) | instskip(NEXT) | instid1(VALU_DEP_1)
	v_mov_b32_dpp v5, v20 quad_perm:[1,0,3,2] row_mask:0xf bank_mask:0xf
	v_dual_add_f32 v5, v20, v5 :: v_dual_and_b32 v20, 31, v0
	v_perm_b32 v18, v14, v13, 0x7060302
	s_delay_alu instid0(VALU_DEP_2) | instskip(NEXT) | instid1(VALU_DEP_3)
	v_mov_b32_dpp v6, v5 quad_perm:[2,3,0,1] row_mask:0xf bank_mask:0xf
	v_cmp_eq_u32_e64 s0, 31, v20
	buffer_store_b128 v[15:18], v19, s[28:31], 0 offen glc slc
	;;#ASMSTART
	s_nop 0
	;;#ASMEND
	v_add_f32_e32 v5, v5, v6
	s_delay_alu instid0(VALU_DEP_1) | instskip(NEXT) | instid1(VALU_DEP_1)
	v_mov_b32_dpp v6, v5 row_xmask:7 row_mask:0xf bank_mask:0xf
	v_add_f32_e32 v5, v5, v6
	s_delay_alu instid0(VALU_DEP_1)
	v_mov_b32_dpp v6, v5 row_xmask:15 row_mask:0xf bank_mask:0xf
	s_and_saveexec_b32 s1, s0
	s_cbranch_execz .LBB36_3
; %bb.2:
	s_delay_alu instid0(VALU_DEP_1) | instskip(SKIP_2) | instid1(VALU_DEP_2)
	v_add_f32_e32 v5, v5, v6
	s_mov_b32 s2, 0x76543210
	v_lshrrev_b32_e32 v6, 3, v0
	v_permlanex16_b32 v15, v5, s2, 0xfedcba98 op_sel:[1,1]
	s_delay_alu instid0(VALU_DEP_1)
	v_dual_add_f32 v5, v5, v15 :: v_dual_and_b32 v6, 0x7c, v6
	ds_store_b32 v6, v5 offset:8
.LBB36_3:
	s_or_b32 exec_lo, exec_lo, s1
	v_and_b32_e32 v5, 1, v0
	s_waitcnt vmcnt(0) lgkmcnt(0)
	s_waitcnt_vscnt null, 0x0
	s_barrier
	buffer_gl0_inv
	v_cvt_f32_i32_e32 v16, s5
	v_lshlrev_b32_e32 v6, 2, v5
	s_cmp_lg_u32 s10, 0
	ds_load_b32 v5, v6 offset:8
	s_waitcnt lgkmcnt(0)
	v_mov_b32_dpp v15, v5 quad_perm:[1,0,3,2] row_mask:0xf bank_mask:0xf
	s_delay_alu instid0(VALU_DEP_1) | instskip(NEXT) | instid1(VALU_DEP_1)
	v_add_f32_e32 v5, v5, v15
	v_div_scale_f32 v15, null, v16, v16, v5
	v_div_scale_f32 v19, vcc_lo, v5, v16, v5
	s_delay_alu instid0(VALU_DEP_2) | instskip(SKIP_2) | instid1(VALU_DEP_1)
	v_rcp_f32_e32 v17, v15
	s_waitcnt_depctr 0xfff
	v_fma_f32 v18, -v15, v17, 1.0
	v_fmac_f32_e32 v17, v18, v17
	s_delay_alu instid0(VALU_DEP_1) | instskip(NEXT) | instid1(VALU_DEP_1)
	v_mul_f32_e32 v18, v19, v17
	v_fma_f32 v20, -v15, v18, v19
	s_delay_alu instid0(VALU_DEP_1) | instskip(SKIP_1) | instid1(VALU_DEP_2)
	v_fmac_f32_e32 v18, v20, v17
	v_mov_b32_e32 v20, 0x2edbe6ff
	v_fma_f32 v15, -v15, v18, v19
	s_delay_alu instid0(VALU_DEP_1) | instskip(SKIP_2) | instid1(VALU_DEP_3)
	v_div_fmas_f32 v15, v15, v17, v18
	v_and_b32_e32 v18, 0xffff, v3
	v_lshrrev_b32_e32 v3, 16, v3
	v_div_fixup_f32 v5, v15, v16, v5
	s_delay_alu instid0(VALU_DEP_3) | instskip(NEXT) | instid1(VALU_DEP_3)
	v_cvt_f32_u32_e32 v18, v18
	v_cvt_f32_u32_e32 v3, v3
	s_delay_alu instid0(VALU_DEP_3) | instskip(NEXT) | instid1(VALU_DEP_1)
	v_cvt_f64_f32_e32 v[15:16], v5
	v_add_f64 v[15:16], v[15:16], s[24:25]
	s_delay_alu instid0(VALU_DEP_1) | instskip(SKIP_2) | instid1(VALU_DEP_2)
	v_cvt_f32_f64_e32 v5, v[15:16]
	v_and_b32_e32 v16, 0xffff, v1
	v_lshrrev_b32_e32 v1, 16, v1
	v_cvt_f32_u32_e32 v16, v16
	s_delay_alu instid0(VALU_DEP_2) | instskip(SKIP_2) | instid1(VALU_DEP_2)
	v_cvt_f32_u32_e32 v1, v1
	v_mul_f32_e32 v15, 0x4b800000, v5
	v_cmp_gt_f32_e32 vcc_lo, 0x800000, v5
	v_cndmask_b32_e32 v15, v5, v15, vcc_lo
	v_lshlrev_b32_e32 v5, 3, v0
	s_delay_alu instid0(VALU_DEP_2) | instskip(SKIP_2) | instid1(VALU_DEP_1)
	v_rsq_f32_e32 v15, v15
	s_waitcnt_depctr 0xfff
	v_mul_f32_e32 v21, 0x45800000, v15
	v_cndmask_b32_e32 v15, v15, v21, vcc_lo
	v_and_b32_e32 v17, 0xffff, v2
	v_lshrrev_b32_e32 v2, 16, v2
	v_and_b32_e32 v19, 0xffff, v4
	v_lshrrev_b32_e32 v4, 16, v4
	v_mul_f32_e32 v10, v15, v10
	s_delay_alu instid0(VALU_DEP_4) | instskip(NEXT) | instid1(VALU_DEP_4)
	v_cvt_f32_u32_e32 v2, v2
	v_cvt_f32_u32_e32 v19, v19
	s_delay_alu instid0(VALU_DEP_4) | instskip(NEXT) | instid1(VALU_DEP_3)
	v_cvt_f32_u32_e32 v4, v4
	v_mul_f32_e32 v10, v10, v2
	v_mul_f32_e32 v8, v8, v15
	v_mul_f32_e32 v22, v15, v12
	v_cvt_f32_u32_e32 v17, v17
	v_mul_f32_e32 v7, v7, v15
	s_delay_alu instid0(VALU_DEP_4) | instskip(NEXT) | instid1(VALU_DEP_4)
	v_dual_mul_f32 v9, v15, v9 :: v_dual_mul_f32 v12, v8, v16
	v_mul_f32_e32 v8, v22, v3
	s_delay_alu instid0(VALU_DEP_2) | instskip(SKIP_1) | instid1(VALU_DEP_2)
	v_dual_mul_f32 v14, v15, v14 :: v_dual_mul_f32 v9, v9, v17
	v_mul_f32_e32 v21, v15, v11
	v_dual_mul_f32 v11, v7, v1 :: v_dual_mul_f32 v4, v14, v4
	v_dual_mul_f32 v13, v15, v13 :: v_dual_and_b32 v14, 0x7fffffff, v10
	s_delay_alu instid0(VALU_DEP_3) | instskip(NEXT) | instid1(VALU_DEP_3)
	v_dual_mul_f32 v7, v21, v18 :: v_dual_and_b32 v16, 0x7fffffff, v8
	v_and_b32_e32 v2, 0x7fffffff, v11
	v_and_b32_e32 v1, 0x7fffffff, v12
	s_delay_alu instid0(VALU_DEP_4)
	v_dual_mul_f32 v3, v13, v19 :: v_dual_and_b32 v18, 0x7fffffff, v4
	;;#ASMSTART
	v_max3_f32 v1, v20, v1, v2

	;;#ASMEND
	v_and_b32_e32 v13, 0x7fffffff, v9
	;;#ASMSTART
	v_max3_f32 v1, v1, v13, v14

	;;#ASMEND
	v_and_b32_e32 v15, 0x7fffffff, v7
	v_and_b32_e32 v17, 0x7fffffff, v3
	;;#ASMSTART
	v_max3_f32 v1, v1, v15, v16

	;;#ASMEND
	;;#ASMSTART
	v_max3_f32 v13, v1, v17, v18

	;;#ASMEND
	s_cbranch_scc0 .LBB36_10
; %bb.4:
	s_ashr_i32 s7, s10, 31
	s_delay_alu instid0(SALU_CYCLE_1) | instskip(NEXT) | instid1(SALU_CYCLE_1)
	s_lshr_b32 s1, s7, 29
	s_add_i32 s1, s10, s1
	s_delay_alu instid0(SALU_CYCLE_1) | instskip(NEXT) | instid1(SALU_CYCLE_1)
	s_ashr_i32 s1, s1, 3
	s_cmp_lt_i32 s1, 8
	s_cbranch_scc1 .LBB36_11
; %bb.5:
	s_cmp_lt_i32 s1, 16
	s_cbranch_scc1 .LBB36_12
; %bb.6:
	;; [unrolled: 3-line block ×3, first 2 shown]
	v_mov_b32_e32 v1, v13
	s_cmp_eq_u32 s1, 32
	s_cbranch_scc0 .LBB36_9
; %bb.8:
	s_delay_alu instid0(VALU_DEP_1) | instskip(SKIP_1) | instid1(VALU_DEP_1)
	v_mov_b32_dpp v1, v13 quad_perm:[1,0,3,2] row_mask:0xf bank_mask:0xf
	s_mov_b32 s2, 0x76543210
	v_cmp_gt_f32_e32 vcc_lo, v13, v1
	v_cndmask_b32_e32 v1, v1, v13, vcc_lo
	s_delay_alu instid0(VALU_DEP_1) | instskip(NEXT) | instid1(VALU_DEP_1)
	v_mov_b32_dpp v2, v1 quad_perm:[2,3,0,1] row_mask:0xf bank_mask:0xf
	v_cmp_gt_f32_e32 vcc_lo, v1, v2
	v_cndmask_b32_e32 v1, v2, v1, vcc_lo
	s_delay_alu instid0(VALU_DEP_1) | instskip(NEXT) | instid1(VALU_DEP_1)
	v_mov_b32_dpp v2, v1 row_xmask:7 row_mask:0xf bank_mask:0xf
	v_cmp_gt_f32_e32 vcc_lo, v1, v2
	v_cndmask_b32_e32 v1, v2, v1, vcc_lo
	s_delay_alu instid0(VALU_DEP_1) | instskip(NEXT) | instid1(VALU_DEP_1)
	v_mov_b32_dpp v2, v1 row_xmask:15 row_mask:0xf bank_mask:0xf
	v_cmp_gt_f32_e32 vcc_lo, v1, v2
	v_cndmask_b32_e32 v1, v2, v1, vcc_lo
	s_delay_alu instid0(VALU_DEP_1) | instskip(NEXT) | instid1(VALU_DEP_1)
	v_permlanex16_b32 v2, v1, s2, 0xfedcba98 op_sel:[1,1]
	v_cmp_gt_f32_e32 vcc_lo, v1, v2
	v_cndmask_b32_e32 v1, v2, v1, vcc_lo
.LBB36_9:
	s_mov_b32 s2, 0
	s_branch .LBB36_14
.LBB36_10:
	s_mov_b32 s1, 0
                                        ; implicit-def: $vgpr14
                                        ; implicit-def: $vgpr1_vgpr2
	s_and_b32 vcc_lo, exec_lo, s31
	s_cbranch_vccnz .LBB36_38
	s_branch .LBB36_41
.LBB36_11:
                                        ; implicit-def: $vgpr1
	s_branch .LBB36_21
.LBB36_12:
                                        ; implicit-def: $vgpr1
	s_branch .LBB36_18
.LBB36_13:
	s_mov_b32 s2, -1
                                        ; implicit-def: $vgpr1
.LBB36_14:
	s_delay_alu instid0(SALU_CYCLE_1)
	s_and_not1_b32 vcc_lo, exec_lo, s2
	s_cbranch_vccnz .LBB36_17
; %bb.15:
	v_mov_b32_e32 v1, v13
	s_cmp_eq_u32 s1, 16
	s_cbranch_scc0 .LBB36_17
; %bb.16:
	s_delay_alu instid0(VALU_DEP_1) | instskip(NEXT) | instid1(VALU_DEP_1)
	v_mov_b32_dpp v1, v13 quad_perm:[1,0,3,2] row_mask:0xf bank_mask:0xf
	v_cmp_gt_f32_e32 vcc_lo, v13, v1
	v_cndmask_b32_e32 v1, v1, v13, vcc_lo
	s_delay_alu instid0(VALU_DEP_1) | instskip(NEXT) | instid1(VALU_DEP_1)
	v_mov_b32_dpp v2, v1 quad_perm:[2,3,0,1] row_mask:0xf bank_mask:0xf
	v_cmp_gt_f32_e32 vcc_lo, v1, v2
	v_cndmask_b32_e32 v1, v2, v1, vcc_lo
	s_delay_alu instid0(VALU_DEP_1) | instskip(NEXT) | instid1(VALU_DEP_1)
	v_mov_b32_dpp v2, v1 row_half_mirror row_mask:0xf bank_mask:0xf
	v_cmp_gt_f32_e32 vcc_lo, v1, v2
	v_cndmask_b32_e32 v1, v2, v1, vcc_lo
	s_delay_alu instid0(VALU_DEP_1) | instskip(NEXT) | instid1(VALU_DEP_1)
	v_mov_b32_dpp v2, v1 row_mirror row_mask:0xf bank_mask:0xf
	v_cmp_gt_f32_e32 vcc_lo, v1, v2
	v_cndmask_b32_e32 v1, v2, v1, vcc_lo
.LBB36_17:
	s_cbranch_execnz .LBB36_20
.LBB36_18:
	v_mov_b32_e32 v1, v13
	s_cmp_eq_u32 s1, 8
	s_cbranch_scc0 .LBB36_20
; %bb.19:
	s_delay_alu instid0(VALU_DEP_1) | instskip(NEXT) | instid1(VALU_DEP_1)
	v_mov_b32_dpp v1, v13 quad_perm:[1,0,3,2] row_mask:0xf bank_mask:0xf
	v_cmp_gt_f32_e32 vcc_lo, v13, v1
	v_cndmask_b32_e32 v1, v1, v13, vcc_lo
	s_delay_alu instid0(VALU_DEP_1) | instskip(NEXT) | instid1(VALU_DEP_1)
	v_mov_b32_dpp v2, v1 quad_perm:[2,3,0,1] row_mask:0xf bank_mask:0xf
	v_cmp_gt_f32_e32 vcc_lo, v1, v2
	v_cndmask_b32_e32 v1, v2, v1, vcc_lo
	s_delay_alu instid0(VALU_DEP_1) | instskip(NEXT) | instid1(VALU_DEP_1)
	v_mov_b32_dpp v2, v1 row_half_mirror row_mask:0xf bank_mask:0xf
	v_cmp_gt_f32_e32 vcc_lo, v1, v2
	v_cndmask_b32_e32 v1, v2, v1, vcc_lo
.LBB36_20:
	s_cbranch_execnz .LBB36_28
.LBB36_21:
	s_cmp_lt_i32 s1, 4
	s_cbranch_scc1 .LBB36_24
; %bb.22:
	v_mov_b32_e32 v1, v13
	s_cmp_eq_u32 s1, 4
	s_cbranch_scc0 .LBB36_25
; %bb.23:
	s_delay_alu instid0(VALU_DEP_1) | instskip(NEXT) | instid1(VALU_DEP_1)
	v_mov_b32_dpp v1, v13 quad_perm:[1,0,3,2] row_mask:0xf bank_mask:0xf
	v_cmp_gt_f32_e32 vcc_lo, v13, v1
	v_cndmask_b32_e32 v1, v1, v13, vcc_lo
	s_delay_alu instid0(VALU_DEP_1) | instskip(NEXT) | instid1(VALU_DEP_1)
	v_mov_b32_dpp v2, v1 quad_perm:[2,3,0,1] row_mask:0xf bank_mask:0xf
	v_cmp_gt_f32_e32 vcc_lo, v1, v2
	v_cndmask_b32_e32 v1, v2, v1, vcc_lo
	s_cbranch_execz .LBB36_26
	s_branch .LBB36_28
.LBB36_24:
                                        ; implicit-def: $vgpr1
	s_branch .LBB36_26
.LBB36_25:
	s_cbranch_execnz .LBB36_28
.LBB36_26:
	v_mov_b32_e32 v1, v13
	s_cmp_lg_u32 s1, 2
	s_cbranch_scc1 .LBB36_28
; %bb.27:
	s_delay_alu instid0(VALU_DEP_1) | instskip(NEXT) | instid1(VALU_DEP_1)
	v_mov_b32_dpp v1, v13 quad_perm:[1,0,3,2] row_mask:0xf bank_mask:0xf
	v_cmp_gt_f32_e32 vcc_lo, v13, v1
	v_cndmask_b32_e32 v1, v1, v13, vcc_lo
.LBB36_28:
	v_cvt_f32_u32_e32 v2, s1
	s_sub_i32 s2, 0, s1
	s_mov_b32 s31, 0
	s_delay_alu instid0(VALU_DEP_1) | instskip(SKIP_2) | instid1(VALU_DEP_1)
	v_rcp_iflag_f32_e32 v2, v2
	s_waitcnt_depctr 0xfff
	v_mul_f32_e32 v2, 0x4f7ffffe, v2
	v_cvt_u32_f32_e32 v2, v2
	s_delay_alu instid0(VALU_DEP_1) | instskip(NEXT) | instid1(VALU_DEP_1)
	v_mul_lo_u32 v14, s2, v2
	v_mul_hi_u32 v14, v2, v14
	s_delay_alu instid0(VALU_DEP_1) | instskip(NEXT) | instid1(VALU_DEP_1)
	v_add_nc_u32_e32 v2, v2, v14
	v_mul_hi_u32 v2, v0, v2
	s_delay_alu instid0(VALU_DEP_1) | instskip(NEXT) | instid1(VALU_DEP_1)
	v_mul_lo_u32 v14, v2, s1
	v_sub_nc_u32_e32 v14, v0, v14
	s_delay_alu instid0(VALU_DEP_1) | instskip(SKIP_1) | instid1(VALU_DEP_2)
	v_subrev_nc_u32_e32 v16, s1, v14
	v_cmp_le_u32_e32 vcc_lo, s1, v14
	v_dual_cndmask_b32 v14, v14, v16 :: v_dual_add_nc_u32 v15, 1, v2
	s_delay_alu instid0(VALU_DEP_1) | instskip(NEXT) | instid1(VALU_DEP_2)
	v_cndmask_b32_e32 v2, v2, v15, vcc_lo
	v_cmp_le_u32_e32 vcc_lo, s1, v14
	s_delay_alu instid0(VALU_DEP_2) | instskip(NEXT) | instid1(VALU_DEP_1)
	v_dual_mul_f32 v14, 0x3c010204, v1 :: v_dual_add_nc_u32 v15, 1, v2
	v_cndmask_b32_e32 v15, v2, v15, vcc_lo
	v_cmp_gt_u32_e32 vcc_lo, s5, v5
	s_delay_alu instid0(VALU_DEP_2) | instskip(NEXT) | instid1(VALU_DEP_1)
	v_mul_lo_u32 v2, v15, s1
	v_sub_nc_u32_e32 v2, v0, v2
	s_delay_alu instid0(VALU_DEP_1) | instskip(NEXT) | instid1(VALU_DEP_1)
	v_cmp_eq_u32_e64 s1, 0, v2
                                        ; implicit-def: $vgpr1_vgpr2
	s_and_b32 s2, s1, vcc_lo
	s_mov_b32 s1, 0
	s_and_saveexec_b32 s3, s2
	s_delay_alu instid0(SALU_CYCLE_1)
	s_xor_b32 s8, exec_lo, s3
	s_cbranch_execz .LBB36_37
; %bb.29:
	s_bitcmp0_b32 s11, 0
	s_mov_b32 s6, 0
	s_cbranch_scc0 .LBB36_34
; %bb.30:
	s_ashr_i32 s1, s5, 31
	s_mul_hi_u32 s3, s5, s34
	s_mul_i32 s1, s1, s34
	s_mul_i32 s2, s5, s34
	s_add_i32 s3, s3, s1
	s_mov_b32 s11, s7
	s_delay_alu instid0(SALU_CYCLE_1) | instskip(NEXT) | instid1(SALU_CYCLE_1)
	s_or_b64 s[14:15], s[2:3], s[10:11]
	s_mov_b32 s7, s15
	s_delay_alu instid0(SALU_CYCLE_1)
	s_cmp_lg_u64 s[6:7], 0
	s_cbranch_scc0 .LBB36_45
; %bb.31:
	s_add_u32 s14, s10, s11
	s_mov_b32 s6, s11
	s_mov_b32 s7, s11
	s_addc_u32 s15, s11, s11
	s_delay_alu instid0(SALU_CYCLE_1) | instskip(NEXT) | instid1(SALU_CYCLE_1)
	s_xor_b64 s[14:15], s[14:15], s[6:7]
	v_cvt_f32_u32_e32 v1, s14
	v_cvt_f32_u32_e32 v2, s15
	s_sub_u32 s18, 0, s14
	s_subb_u32 s19, 0, s15
	s_delay_alu instid0(VALU_DEP_1) | instskip(NEXT) | instid1(VALU_DEP_1)
	v_fmamk_f32 v1, v2, 0x4f800000, v1
	v_rcp_f32_e32 v1, v1
	s_waitcnt_depctr 0xfff
	v_mul_f32_e32 v1, 0x5f7ffffc, v1
	s_delay_alu instid0(VALU_DEP_1) | instskip(NEXT) | instid1(VALU_DEP_1)
	v_mul_f32_e32 v2, 0x2f800000, v1
	v_trunc_f32_e32 v2, v2
	s_delay_alu instid0(VALU_DEP_1) | instskip(SKIP_1) | instid1(VALU_DEP_2)
	v_fmamk_f32 v1, v2, 0xcf800000, v1
	v_cvt_u32_f32_e32 v2, v2
	v_cvt_u32_f32_e32 v1, v1
	s_delay_alu instid0(VALU_DEP_2) | instskip(NEXT) | instid1(VALU_DEP_2)
	v_readfirstlane_b32 s1, v2
	v_readfirstlane_b32 s11, v1
	s_delay_alu instid0(VALU_DEP_2) | instskip(NEXT) | instid1(VALU_DEP_1)
	s_mul_i32 s20, s18, s1
	s_mul_hi_u32 s22, s18, s11
	s_mul_i32 s21, s19, s11
	s_add_i32 s20, s22, s20
	s_mul_i32 s23, s18, s11
	s_add_i32 s20, s20, s21
	s_mul_hi_u32 s22, s11, s23
	s_mul_hi_u32 s24, s1, s23
	s_mul_i32 s21, s1, s23
	s_mul_hi_u32 s23, s11, s20
	s_mul_i32 s11, s11, s20
	s_mul_hi_u32 s25, s1, s20
	s_add_u32 s11, s22, s11
	s_addc_u32 s22, 0, s23
	s_add_u32 s11, s11, s21
	s_mul_i32 s20, s1, s20
	s_addc_u32 s11, s22, s24
	s_addc_u32 s21, s25, 0
	s_add_u32 s11, s11, s20
	s_addc_u32 s20, 0, s21
	v_add_co_u32 v1, s11, v1, s11
	s_delay_alu instid0(VALU_DEP_1) | instskip(SKIP_1) | instid1(VALU_DEP_1)
	s_cmp_lg_u32 s11, 0
	s_addc_u32 s1, s1, s20
	v_readfirstlane_b32 s11, v1
	s_mul_i32 s20, s18, s1
	s_delay_alu instid0(VALU_DEP_1)
	s_mul_hi_u32 s21, s18, s11
	s_mul_i32 s19, s19, s11
	s_add_i32 s20, s21, s20
	s_mul_i32 s18, s18, s11
	s_add_i32 s20, s20, s19
	s_mul_hi_u32 s21, s1, s18
	s_mul_i32 s22, s1, s18
	s_mul_hi_u32 s18, s11, s18
	s_mul_hi_u32 s23, s11, s20
	s_mul_i32 s11, s11, s20
	s_mul_hi_u32 s19, s1, s20
	s_add_u32 s11, s18, s11
	s_addc_u32 s18, 0, s23
	s_add_u32 s11, s11, s22
	s_mul_i32 s20, s1, s20
	s_addc_u32 s11, s18, s21
	s_addc_u32 s18, s19, 0
	s_add_u32 s11, s11, s20
	s_addc_u32 s18, 0, s18
	v_add_co_u32 v1, s11, v1, s11
	s_delay_alu instid0(VALU_DEP_1) | instskip(SKIP_2) | instid1(SALU_CYCLE_1)
	s_cmp_lg_u32 s11, 0
	s_addc_u32 s1, s1, s18
	s_ashr_i32 s18, s3, 31
	s_add_u32 s20, s2, s18
	s_addc_u32 s21, s3, s18
	v_readfirstlane_b32 s3, v1
	s_mov_b32 s19, s18
	s_delay_alu instid0(SALU_CYCLE_1) | instskip(NEXT) | instid1(SALU_CYCLE_1)
	s_xor_b64 s[20:21], s[20:21], s[18:19]
	s_mul_i32 s22, s20, s1
	s_delay_alu instid0(VALU_DEP_1)
	s_mul_hi_u32 s23, s20, s3
	s_mul_hi_u32 s11, s20, s1
	;; [unrolled: 1-line block ×3, first 2 shown]
	s_mul_i32 s3, s21, s3
	s_add_u32 s22, s23, s22
	s_addc_u32 s11, 0, s11
	s_mul_hi_u32 s24, s21, s1
	s_add_u32 s3, s22, s3
	s_mul_i32 s1, s21, s1
	s_addc_u32 s3, s11, s25
	s_addc_u32 s11, s24, 0
	s_add_u32 s3, s3, s1
	s_addc_u32 s11, 0, s11
	s_mul_i32 s24, s14, s3
	s_mul_hi_u32 s1, s14, s3
	s_mul_i32 s23, s14, s11
	v_sub_co_u32 v1, s20, s20, s24
	s_mul_i32 s22, s15, s3
	s_add_i32 s1, s1, s23
	s_delay_alu instid0(SALU_CYCLE_1) | instskip(NEXT) | instid1(VALU_DEP_1)
	s_add_i32 s1, s1, s22
	v_sub_co_u32 v2, s23, v1, s14
	s_sub_i32 s22, s21, s1
	s_cmp_lg_u32 s20, 0
	s_subb_u32 s22, s22, s15
	s_cmp_lg_u32 s23, 0
	v_cmp_le_u32_e32 vcc_lo, s14, v2
	s_subb_u32 s22, s22, 0
	s_delay_alu instid0(SALU_CYCLE_1)
	s_cmp_ge_u32 s22, s15
	v_cndmask_b32_e64 v2, 0, -1, vcc_lo
	s_cselect_b32 s23, -1, 0
	s_cmp_eq_u32 s22, s15
	s_cselect_b32 vcc_lo, -1, 0
	s_add_u32 s22, s3, 1
	v_cndmask_b32_e32 v2, s23, v2, vcc_lo
	s_addc_u32 s23, s11, 0
	s_add_u32 s24, s3, 2
	s_addc_u32 s25, s11, 0
	s_cmp_lg_u32 s20, 0
	v_cmp_le_u32_e32 vcc_lo, s14, v1
	s_subb_u32 s1, s21, s1
	v_mov_b32_e32 v16, s24
	s_cmp_ge_u32 s1, s15
	v_cndmask_b32_e64 v1, 0, -1, vcc_lo
	s_cselect_b32 s14, -1, 0
	s_cmp_eq_u32 s1, s15
	v_cmp_ne_u32_e32 vcc_lo, 0, v2
	v_mov_b32_e32 v2, s25
	s_cselect_b32 s1, -1, 0
	s_xor_b64 s[6:7], s[18:19], s[6:7]
	v_cndmask_b32_e64 v1, s14, v1, s1
	v_cndmask_b32_e32 v16, s22, v16, vcc_lo
	v_cndmask_b32_e32 v2, s23, v2, vcc_lo
	s_delay_alu instid0(VALU_DEP_3) | instskip(NEXT) | instid1(VALU_DEP_2)
	v_cmp_ne_u32_e32 vcc_lo, 0, v1
	v_cndmask_b32_e32 v1, s11, v2, vcc_lo
	s_delay_alu instid0(VALU_DEP_4) | instskip(NEXT) | instid1(VALU_DEP_2)
	v_cndmask_b32_e32 v2, s3, v16, vcc_lo
	v_xor_b32_e32 v16, s7, v1
	s_delay_alu instid0(VALU_DEP_2) | instskip(NEXT) | instid1(VALU_DEP_1)
	v_xor_b32_e32 v2, s6, v2
	v_sub_co_u32 v1, vcc_lo, v2, s6
	s_delay_alu instid0(VALU_DEP_3)
	v_subrev_co_ci_u32_e32 v2, vcc_lo, s7, v16, vcc_lo
	s_cbranch_execnz .LBB36_33
.LBB36_32:
	v_cvt_f32_u32_e32 v1, s10
	s_sub_i32 s3, 0, s10
	s_delay_alu instid0(VALU_DEP_1) | instskip(SKIP_2) | instid1(VALU_DEP_1)
	v_rcp_iflag_f32_e32 v1, v1
	s_waitcnt_depctr 0xfff
	v_mul_f32_e32 v1, 0x4f7ffffe, v1
	v_cvt_u32_f32_e32 v1, v1
	s_delay_alu instid0(VALU_DEP_1) | instskip(NEXT) | instid1(VALU_DEP_1)
	v_readfirstlane_b32 s1, v1
	s_mul_i32 s3, s3, s1
	s_delay_alu instid0(SALU_CYCLE_1) | instskip(NEXT) | instid1(SALU_CYCLE_1)
	s_mul_hi_u32 s3, s1, s3
	s_add_i32 s1, s1, s3
	s_delay_alu instid0(SALU_CYCLE_1) | instskip(NEXT) | instid1(SALU_CYCLE_1)
	s_mul_hi_u32 s1, s2, s1
	s_mul_i32 s3, s1, s10
	s_delay_alu instid0(SALU_CYCLE_1)
	s_sub_i32 s2, s2, s3
	s_add_i32 s3, s1, 1
	s_sub_i32 s6, s2, s10
	s_cmp_ge_u32 s2, s10
	s_cselect_b32 s1, s3, s1
	s_cselect_b32 s2, s6, s2
	s_add_i32 s6, s1, 1
	s_cmp_ge_u32 s2, s10
	s_mov_b32 s3, 0
	s_cselect_b32 s2, s6, s1
	s_delay_alu instid0(SALU_CYCLE_1)
	v_dual_mov_b32 v1, s2 :: v_dual_mov_b32 v2, s3
.LBB36_33:
	s_delay_alu instid0(VALU_DEP_1) | instskip(NEXT) | instid1(VALU_DEP_2)
	v_add_co_u32 v1, vcc_lo, v1, v15
	v_add_co_ci_u32_e32 v2, vcc_lo, 0, v2, vcc_lo
	s_branch .LBB36_36
.LBB36_34:
                                        ; implicit-def: $vgpr1_vgpr2
	s_cbranch_execz .LBB36_36
; %bb.35:
	v_mul_lo_u32 v1, v15, s4
	s_delay_alu instid0(VALU_DEP_1) | instskip(SKIP_1) | instid1(VALU_DEP_2)
	v_ashrrev_i32_e32 v2, 31, v1
	v_add_co_u32 v1, vcc_lo, v1, s34
	v_add_co_ci_u32_e32 v2, vcc_lo, 0, v2, vcc_lo
.LBB36_36:
	s_mov_b32 s1, exec_lo
.LBB36_37:
	s_or_b32 exec_lo, exec_lo, s8
	s_delay_alu instid0(SALU_CYCLE_1)
	s_and_b32 vcc_lo, exec_lo, s31
	s_cbranch_vccz .LBB36_41
.LBB36_38:
	v_mov_b32_dpp v1, v13 quad_perm:[1,0,3,2] row_mask:0xf bank_mask:0xf
	s_delay_alu instid0(VALU_DEP_1) | instskip(SKIP_1) | instid1(VALU_DEP_1)
	v_cmp_gt_f32_e32 vcc_lo, v13, v1
	v_cndmask_b32_e32 v1, v1, v13, vcc_lo
	v_mov_b32_dpp v2, v1 quad_perm:[2,3,0,1] row_mask:0xf bank_mask:0xf
	s_delay_alu instid0(VALU_DEP_1) | instskip(SKIP_1) | instid1(VALU_DEP_1)
	v_cmp_gt_f32_e32 vcc_lo, v1, v2
	v_cndmask_b32_e32 v1, v2, v1, vcc_lo
	v_mov_b32_dpp v2, v1 row_xmask:7 row_mask:0xf bank_mask:0xf
	s_delay_alu instid0(VALU_DEP_1) | instskip(SKIP_1) | instid1(VALU_DEP_1)
	v_cmp_gt_f32_e32 vcc_lo, v1, v2
	v_cndmask_b32_e32 v1, v2, v1, vcc_lo
	v_mov_b32_dpp v2, v1 row_xmask:15 row_mask:0xf bank_mask:0xf
	s_delay_alu instid0(VALU_DEP_1)
	v_cmp_gt_f32_e32 vcc_lo, v1, v2
	s_and_saveexec_b32 s1, s0
	s_cbranch_execz .LBB36_40
; %bb.39:
	v_cndmask_b32_e32 v1, v2, v1, vcc_lo
	v_lshrrev_b32_e32 v2, 3, v0
	s_mov_b32 s0, 0x76543210
	s_delay_alu instid0(VALU_DEP_1) | instskip(NEXT) | instid1(VALU_DEP_3)
	v_and_b32_e32 v2, 0x7c, v2
	v_permlanex16_b32 v13, v1, s0, 0xfedcba98 op_sel:[1,1]
	s_delay_alu instid0(VALU_DEP_1)
	v_cmp_gt_f32_e32 vcc_lo, v1, v13
	v_cndmask_b32_e32 v1, v13, v1, vcc_lo
	ds_store_b32 v2, v1
.LBB36_40:
	s_or_b32 exec_lo, exec_lo, s1
	s_waitcnt lgkmcnt(0)
	s_barrier
	buffer_gl0_inv
	ds_load_b32 v1, v6
	v_cmp_eq_u32_e64 s1, 0, v0
	s_waitcnt lgkmcnt(0)
	v_mov_b32_dpp v2, v1 quad_perm:[1,0,3,2] row_mask:0xf bank_mask:0xf
	s_delay_alu instid0(VALU_DEP_1) | instskip(SKIP_1) | instid1(VALU_DEP_1)
	v_cmp_gt_f32_e32 vcc_lo, v1, v2
	v_cndmask_b32_e32 v1, v2, v1, vcc_lo
	v_dual_mul_f32 v14, 0x3c010204, v1 :: v_dual_mov_b32 v1, s34
	v_mov_b32_e32 v2, s35
.LBB36_41:
	s_and_saveexec_b32 s0, s1
	s_cbranch_execz .LBB36_43
; %bb.42:
	s_delay_alu instid0(VALU_DEP_1) | instskip(NEXT) | instid1(VALU_DEP_1)
	v_lshlrev_b64 v[0:1], 2, v[1:2]
	v_add_co_u32 v0, vcc_lo, s16, v0
	s_delay_alu instid0(VALU_DEP_2)
	v_add_co_ci_u32_e32 v1, vcc_lo, s17, v1, vcc_lo
	global_store_b32 v[0:1], v14, off
.LBB36_43:
	s_or_b32 exec_lo, exec_lo, s0
	;;#ASMSTART
	v_rcp_f32 v0, v14
	;;#ASMEND
	v_mul_f32_e32 v7, v7, v0
	v_mul_f32_e32 v1, v12, v0
	;; [unrolled: 1-line block ×4, first 2 shown]
	s_add_i32 s0, s5, 3
	v_cvt_i32_f32_e32 v7, v7
	v_mul_f32_e32 v2, v11, v0
	v_cvt_i32_f32_e32 v1, v1
	v_mul_f32_e32 v6, v9, v0
	v_cvt_i32_f32_e32 v4, v4
	v_and_b32_e32 v7, 0xff, v7
	v_cvt_i32_f32_e32 v2, v2
	v_and_b32_e32 v1, 0xff, v1
	s_ashr_i32 s1, s0, 31
	v_lshlrev_b16 v4, 8, v4
	s_lshr_b32 s1, s1, 30
	v_lshlrev_b16 v2, 8, v2
	s_add_i32 s0, s0, s1
	s_ashr_i32 s1, s9, 31
	s_and_b32 s2, s0, -4
	s_mul_hi_u32 s0, s9, s34
	v_or_b32_e32 v1, v1, v2
	v_mul_f32_e32 v9, v10, v0
	v_mul_f32_e32 v0, v3, v0
	v_cvt_i32_f32_e32 v3, v6
	s_mul_i32 s1, s1, s34
	s_mul_i32 s3, s9, s34
	s_add_i32 s1, s0, s1
	v_cvt_i32_f32_e32 v0, v0
	v_and_b32_e32 v3, 0xff, v3
	v_cvt_i32_f32_e32 v6, v8
	s_add_u32 s0, s12, s3
	s_addc_u32 s1, s13, s1
	v_and_b32_e32 v0, 0xff, v0
	s_and_b32 s1, s1, 0xffff
	v_lshlrev_b16 v6, 8, v6
	s_mov_b32 s3, -1
	s_delay_alu instid0(VALU_DEP_2) | instskip(SKIP_3) | instid1(VALU_DEP_4)
	v_or_b32_e32 v0, v0, v4
	v_and_b32_e32 v4, 0xffff, v1
	v_cvt_i32_f32_e32 v8, v9
	v_or_b32_e32 v6, v7, v6
	v_lshlrev_b32_e32 v0, 16, v0
	s_delay_alu instid0(VALU_DEP_3) | instskip(NEXT) | instid1(VALU_DEP_1)
	v_lshlrev_b16 v8, 8, v8
	v_or_b32_e32 v2, v3, v8
	s_delay_alu instid0(VALU_DEP_4) | instskip(NEXT) | instid1(VALU_DEP_2)
	v_and_b32_e32 v3, 0xffff, v6
	v_lshlrev_b32_e32 v2, 16, v2
	s_delay_alu instid0(VALU_DEP_2) | instskip(NEXT) | instid1(VALU_DEP_2)
	v_or_b32_e32 v1, v3, v0
	v_or_b32_e32 v0, v4, v2
	buffer_store_b64 v[0:1], v5, s[0:3], 0 offen
	;;#ASMSTART
	s_nop 0
	;;#ASMEND
.LBB36_44:
	s_nop 0
	s_sendmsg sendmsg(MSG_DEALLOC_VGPRS)
	s_endpgm
.LBB36_45:
                                        ; implicit-def: $vgpr1_vgpr2
	s_branch .LBB36_32
	.section	.rodata,"a",@progbits
	.p2align	6, 0x0
	.amdhsa_kernel _ZN5aiter24add_rmsnorm_quant_kernelItaLi64ELi8ELb1ELb1ELb0ELi1EEEvPT0_PT_PfS4_S4_S4_diiiiiiib
		.amdhsa_group_segment_fixed_size 16
		.amdhsa_private_segment_fixed_size 0
		.amdhsa_kernarg_size 88
		.amdhsa_user_sgpr_count 15
		.amdhsa_user_sgpr_dispatch_ptr 0
		.amdhsa_user_sgpr_queue_ptr 0
		.amdhsa_user_sgpr_kernarg_segment_ptr 1
		.amdhsa_user_sgpr_dispatch_id 0
		.amdhsa_user_sgpr_private_segment_size 0
		.amdhsa_wavefront_size32 1
		.amdhsa_uses_dynamic_stack 0
		.amdhsa_enable_private_segment 0
		.amdhsa_system_sgpr_workgroup_id_x 1
		.amdhsa_system_sgpr_workgroup_id_y 0
		.amdhsa_system_sgpr_workgroup_id_z 0
		.amdhsa_system_sgpr_workgroup_info 0
		.amdhsa_system_vgpr_workitem_id 0
		.amdhsa_next_free_vgpr 23
		.amdhsa_next_free_sgpr 36
		.amdhsa_reserve_vcc 1
		.amdhsa_float_round_mode_32 0
		.amdhsa_float_round_mode_16_64 0
		.amdhsa_float_denorm_mode_32 3
		.amdhsa_float_denorm_mode_16_64 3
		.amdhsa_dx10_clamp 1
		.amdhsa_ieee_mode 1
		.amdhsa_fp16_overflow 0
		.amdhsa_workgroup_processor_mode 1
		.amdhsa_memory_ordered 1
		.amdhsa_forward_progress 0
		.amdhsa_shared_vgpr_count 0
		.amdhsa_exception_fp_ieee_invalid_op 0
		.amdhsa_exception_fp_denorm_src 0
		.amdhsa_exception_fp_ieee_div_zero 0
		.amdhsa_exception_fp_ieee_overflow 0
		.amdhsa_exception_fp_ieee_underflow 0
		.amdhsa_exception_fp_ieee_inexact 0
		.amdhsa_exception_int_div_zero 0
	.end_amdhsa_kernel
	.section	.text._ZN5aiter24add_rmsnorm_quant_kernelItaLi64ELi8ELb1ELb1ELb0ELi1EEEvPT0_PT_PfS4_S4_S4_diiiiiiib,"axG",@progbits,_ZN5aiter24add_rmsnorm_quant_kernelItaLi64ELi8ELb1ELb1ELb0ELi1EEEvPT0_PT_PfS4_S4_S4_diiiiiiib,comdat
.Lfunc_end36:
	.size	_ZN5aiter24add_rmsnorm_quant_kernelItaLi64ELi8ELb1ELb1ELb0ELi1EEEvPT0_PT_PfS4_S4_S4_diiiiiiib, .Lfunc_end36-_ZN5aiter24add_rmsnorm_quant_kernelItaLi64ELi8ELb1ELb1ELb0ELi1EEEvPT0_PT_PfS4_S4_S4_diiiiiiib
                                        ; -- End function
	.section	.AMDGPU.csdata,"",@progbits
; Kernel info:
; codeLenInByte = 3488
; NumSgprs: 38
; NumVgprs: 23
; ScratchSize: 0
; MemoryBound: 0
; FloatMode: 240
; IeeeMode: 1
; LDSByteSize: 16 bytes/workgroup (compile time only)
; SGPRBlocks: 4
; VGPRBlocks: 2
; NumSGPRsForWavesPerEU: 38
; NumVGPRsForWavesPerEU: 23
; Occupancy: 16
; WaveLimiterHint : 0
; COMPUTE_PGM_RSRC2:SCRATCH_EN: 0
; COMPUTE_PGM_RSRC2:USER_SGPR: 15
; COMPUTE_PGM_RSRC2:TRAP_HANDLER: 0
; COMPUTE_PGM_RSRC2:TGID_X_EN: 1
; COMPUTE_PGM_RSRC2:TGID_Y_EN: 0
; COMPUTE_PGM_RSRC2:TGID_Z_EN: 0
; COMPUTE_PGM_RSRC2:TIDIG_COMP_CNT: 0
	.section	.text._ZN5aiter24add_rmsnorm_quant_kernelIDF16_aLi128ELi8ELb1ELb1ELb1ELi1EEEvPT0_PT_PfS4_S4_S4_diiiiiiib,"axG",@progbits,_ZN5aiter24add_rmsnorm_quant_kernelIDF16_aLi128ELi8ELb1ELb1ELb1ELi1EEEvPT0_PT_PfS4_S4_S4_diiiiiiib,comdat
	.protected	_ZN5aiter24add_rmsnorm_quant_kernelIDF16_aLi128ELi8ELb1ELb1ELb1ELi1EEEvPT0_PT_PfS4_S4_S4_diiiiiiib ; -- Begin function _ZN5aiter24add_rmsnorm_quant_kernelIDF16_aLi128ELi8ELb1ELb1ELb1ELi1EEEvPT0_PT_PfS4_S4_S4_diiiiiiib
	.globl	_ZN5aiter24add_rmsnorm_quant_kernelIDF16_aLi128ELi8ELb1ELb1ELb1ELi1EEEvPT0_PT_PfS4_S4_S4_diiiiiiib
	.p2align	8
	.type	_ZN5aiter24add_rmsnorm_quant_kernelIDF16_aLi128ELi8ELb1ELb1ELb1ELi1EEEvPT0_PT_PfS4_S4_S4_diiiiiiib,@function
_ZN5aiter24add_rmsnorm_quant_kernelIDF16_aLi128ELi8ELb1ELb1ELb1ELi1EEEvPT0_PT_PfS4_S4_S4_diiiiiiib: ; @_ZN5aiter24add_rmsnorm_quant_kernelIDF16_aLi128ELi8ELb1ELb1ELb1ELi1EEEvPT0_PT_PfS4_S4_S4_diiiiiiib
; %bb.0:
	s_load_b256 s[4:11], s[0:1], 0x38
	s_mov_b32 s34, s15
	s_mov_b32 s35, 0
	s_waitcnt lgkmcnt(0)
	s_ashr_i32 s3, s4, 31
	s_mov_b32 s2, s4
	s_delay_alu instid0(SALU_CYCLE_1) | instskip(NEXT) | instid1(VALU_DEP_1)
	v_cmp_ge_i64_e64 s2, s[34:35], s[2:3]
	s_and_b32 vcc_lo, exec_lo, s2
	s_cbranch_vccnz .LBB37_44
; %bb.1:
	s_clause 0x1
	s_load_b256 s[12:19], s[0:1], 0x0
	s_load_b256 s[20:27], s[0:1], 0x20
	s_ashr_i32 s1, s6, 31
	s_mul_hi_u32 s2, s6, s34
	s_mul_i32 s1, s1, s34
	s_mul_i32 s0, s6, s34
	s_add_i32 s1, s2, s1
	s_mul_hi_u32 s3, s7, s34
	s_lshl_b64 s[0:1], s[0:1], 1
	s_mul_i32 s2, s7, s34
	v_lshlrev_b32_e32 v19, 4, v0
	s_mov_b32 s31, -1
	v_and_b32_e32 v20, 31, v0
	s_waitcnt lgkmcnt(0)
	s_add_u32 s28, s18, s0
	s_addc_u32 s0, s19, s1
	s_add_i32 s6, s5, 1
	s_ashr_i32 s7, s7, 31
	s_lshr_b32 s18, s6, 31
	s_mul_i32 s7, s7, s34
	s_add_i32 s6, s6, s18
	s_and_b32 s29, s0, 0xffff
	s_lshl_b32 s0, s6, 1
	s_add_i32 s3, s3, s7
	s_and_b32 s30, s0, -4
	s_lshl_b64 s[2:3], s[2:3], 1
	s_and_b32 s1, s23, 0xffff
	buffer_load_b128 v[9:12], v19, s[28:31], 0 offen glc slc
	s_add_u32 s28, s20, s2
	s_addc_u32 s0, s21, s3
	s_mov_b32 s3, s31
	s_and_b32 s29, s0, 0xffff
	s_mov_b32 s0, s22
	buffer_load_b128 v[13:16], v19, s[28:31], 0 offen glc slc
	s_mov_b32 s2, s30
	s_waitcnt vmcnt(1)
	v_cvt_f32_f16_e32 v8, v9
	v_lshrrev_b32_e32 v5, 16, v9
	v_cvt_f32_f16_e32 v9, v10
	s_waitcnt vmcnt(0)
	v_lshrrev_b32_e32 v6, 16, v13
	v_cvt_f32_f16_e32 v13, v13
	v_cvt_f32_f16_e32 v5, v5
	s_delay_alu instid0(VALU_DEP_3) | instskip(NEXT) | instid1(VALU_DEP_3)
	v_cvt_f32_f16_e32 v6, v6
	v_add_f32_e32 v8, v8, v13
	buffer_load_b128 v[1:4], v19, s[0:3], 0 offen
	v_cvt_f32_f16_e32 v13, v11
	s_ashr_i32 s0, s8, 31
	v_add_f32_e32 v7, v5, v6
	v_lshrrev_b32_e32 v5, 16, v10
	v_cvt_f32_f16_e32 v6, v14
	v_lshrrev_b32_e32 v10, 16, v14
	v_lshrrev_b32_e32 v14, 16, v15
	s_mul_hi_u32 s1, s8, s34
	v_cvt_f32_f16_e32 v5, v5
	v_add_f32_e32 v9, v9, v6
	v_cvt_f32_f16_e32 v10, v10
	v_mul_f32_e32 v17, v7, v7
	v_lshrrev_b32_e32 v6, 16, v11
	v_cvt_f32_f16_e32 v11, v15
	v_cvt_f32_f16_e32 v14, v14
	v_add_f32_e32 v10, v5, v10
	v_cvt_f32_f16_e32 v15, v16
	v_cvt_f32_f16_e32 v6, v6
	v_fmac_f32_e32 v17, v8, v8
	v_add_f32_e32 v11, v13, v11
	v_lshrrev_b32_e32 v13, 16, v12
	v_lshrrev_b32_e32 v16, 16, v16
	v_cvt_f32_f16_e32 v5, v12
	v_add_f32_e32 v12, v6, v14
	s_mul_i32 s2, s0, s34
	v_cvt_f32_f16_e32 v6, v13
	v_cvt_f32_f16_e32 v14, v16
	v_fmac_f32_e32 v17, v9, v9
	v_add_f32_e32 v13, v5, v15
	v_cvt_f16_f32_e32 v15, v9
	v_cvt_f16_f32_e32 v16, v11
	v_add_f32_e32 v14, v6, v14
	v_fmac_f32_e32 v17, v10, v10
	v_cvt_f16_f32_e32 v22, v12
	v_cvt_f16_f32_e32 v23, v10
	;; [unrolled: 1-line block ×4, first 2 shown]
	v_fmac_f32_e32 v17, v11, v11
	s_mul_i32 s0, s8, s34
	s_add_i32 s1, s1, s2
	s_delay_alu instid0(SALU_CYCLE_1) | instskip(NEXT) | instid1(VALU_DEP_1)
	s_lshl_b64 s[0:1], s[0:1], 1
	v_fmac_f32_e32 v17, v12, v12
	s_add_u32 s28, s14, s0
	v_cmp_eq_u32_e64 s0, 31, v20
	s_addc_u32 s1, s15, s1
	s_delay_alu instid0(VALU_DEP_2) | instskip(SKIP_1) | instid1(VALU_DEP_1)
	v_fmac_f32_e32 v17, v13, v13
	s_and_b32 s29, s1, 0xffff
	v_fmac_f32_e32 v17, v14, v14
	s_delay_alu instid0(VALU_DEP_1) | instskip(NEXT) | instid1(VALU_DEP_1)
	v_mov_b32_dpp v5, v17 quad_perm:[1,0,3,2] row_mask:0xf bank_mask:0xf
	v_add_f32_e32 v5, v17, v5
	v_cvt_f16_f32_e32 v17, v13
	s_delay_alu instid0(VALU_DEP_2) | instskip(NEXT) | instid1(VALU_DEP_1)
	v_mov_b32_dpp v6, v5 quad_perm:[2,3,0,1] row_mask:0xf bank_mask:0xf
	v_add_f32_e32 v5, v5, v6
	v_cvt_f16_f32_e32 v6, v8
	s_delay_alu instid0(VALU_DEP_2) | instskip(NEXT) | instid1(VALU_DEP_1)
	v_mov_b32_dpp v18, v5 row_xmask:7 row_mask:0xf bank_mask:0xf
	v_add_f32_e32 v5, v5, v18
	v_pack_b32_f16 v18, v17, v21
	v_pack_b32_f16 v17, v16, v22
	;; [unrolled: 1-line block ×4, first 2 shown]
	v_mov_b32_dpp v6, v5 row_xmask:15 row_mask:0xf bank_mask:0xf
	buffer_store_b128 v[15:18], v19, s[28:31], 0 offen glc slc
	;;#ASMSTART
	s_nop 0
	;;#ASMEND
	s_and_saveexec_b32 s1, s0
	s_cbranch_execz .LBB37_3
; %bb.2:
	v_add_f32_e32 v5, v5, v6
	s_mov_b32 s2, 0x76543210
	v_lshrrev_b32_e32 v6, 3, v0
	s_delay_alu instid0(VALU_DEP_2) | instskip(NEXT) | instid1(VALU_DEP_1)
	v_permlanex16_b32 v15, v5, s2, 0xfedcba98 op_sel:[1,1]
	v_dual_add_f32 v5, v5, v15 :: v_dual_and_b32 v6, 0x7c, v6
	ds_store_b32 v6, v5 offset:16
.LBB37_3:
	s_or_b32 exec_lo, exec_lo, s1
	v_and_b32_e32 v5, 3, v0
	s_waitcnt vmcnt(0) lgkmcnt(0)
	s_waitcnt_vscnt null, 0x0
	s_barrier
	buffer_gl0_inv
	v_cvt_f32_i32_e32 v16, s5
	v_lshlrev_b32_e32 v6, 2, v5
	s_cmp_lg_u32 s10, 0
	ds_load_b32 v5, v6 offset:16
	s_waitcnt lgkmcnt(0)
	v_mov_b32_dpp v15, v5 quad_perm:[1,0,3,2] row_mask:0xf bank_mask:0xf
	s_delay_alu instid0(VALU_DEP_1) | instskip(NEXT) | instid1(VALU_DEP_1)
	v_add_f32_e32 v5, v5, v15
	v_mov_b32_dpp v15, v5 quad_perm:[2,3,0,1] row_mask:0xf bank_mask:0xf
	s_delay_alu instid0(VALU_DEP_1) | instskip(NEXT) | instid1(VALU_DEP_1)
	v_add_f32_e32 v5, v5, v15
	v_div_scale_f32 v15, null, v16, v16, v5
	v_div_scale_f32 v19, vcc_lo, v5, v16, v5
	s_delay_alu instid0(VALU_DEP_2) | instskip(SKIP_2) | instid1(VALU_DEP_1)
	v_rcp_f32_e32 v17, v15
	s_waitcnt_depctr 0xfff
	v_fma_f32 v18, -v15, v17, 1.0
	v_fmac_f32_e32 v17, v18, v17
	s_delay_alu instid0(VALU_DEP_1) | instskip(NEXT) | instid1(VALU_DEP_1)
	v_mul_f32_e32 v18, v19, v17
	v_fma_f32 v20, -v15, v18, v19
	s_delay_alu instid0(VALU_DEP_1) | instskip(SKIP_2) | instid1(VALU_DEP_3)
	v_fmac_f32_e32 v18, v20, v17
	v_cvt_f32_f16_e32 v20, v4
	v_lshrrev_b32_e32 v4, 16, v4
	v_fma_f32 v15, -v15, v18, v19
	s_delay_alu instid0(VALU_DEP_2) | instskip(NEXT) | instid1(VALU_DEP_2)
	v_cvt_f32_f16_e32 v4, v4
	v_div_fmas_f32 v15, v15, v17, v18
	v_cvt_f32_f16_e32 v17, v2
	v_lshrrev_b32_e32 v2, 16, v2
	v_cvt_f32_f16_e32 v18, v3
	v_lshrrev_b32_e32 v3, 16, v3
	v_div_fixup_f32 v5, v15, v16, v5
	s_delay_alu instid0(VALU_DEP_4) | instskip(NEXT) | instid1(VALU_DEP_3)
	v_cvt_f32_f16_e32 v2, v2
	v_cvt_f32_f16_e32 v3, v3
	s_delay_alu instid0(VALU_DEP_3) | instskip(NEXT) | instid1(VALU_DEP_1)
	v_cvt_f64_f32_e32 v[15:16], v5
	v_add_f64 v[15:16], v[15:16], s[24:25]
	s_delay_alu instid0(VALU_DEP_1) | instskip(SKIP_2) | instid1(VALU_DEP_1)
	v_cvt_f32_f64_e32 v5, v[15:16]
	v_cvt_f32_f16_e32 v16, v1
	v_lshrrev_b32_e32 v1, 16, v1
	v_cvt_f32_f16_e32 v1, v1
	s_delay_alu instid0(VALU_DEP_4) | instskip(SKIP_1) | instid1(VALU_DEP_2)
	v_mul_f32_e32 v15, 0x4b800000, v5
	v_cmp_gt_f32_e32 vcc_lo, 0x800000, v5
	v_cndmask_b32_e32 v5, v5, v15, vcc_lo
	s_delay_alu instid0(VALU_DEP_1) | instskip(SKIP_2) | instid1(VALU_DEP_1)
	v_rsq_f32_e32 v15, v5
	s_waitcnt_depctr 0xfff
	v_mul_f32_e32 v19, 0x45800000, v15
	v_cndmask_b32_e32 v15, v15, v19, vcc_lo
	s_delay_alu instid0(VALU_DEP_1) | instskip(SKIP_1) | instid1(VALU_DEP_2)
	v_dual_mul_f32 v10, v10, v15 :: v_dual_lshlrev_b32 v5, 3, v0
	v_mul_f32_e32 v14, v14, v15
	v_mul_f32_e32 v10, v10, v2
	s_delay_alu instid0(VALU_DEP_2) | instskip(NEXT) | instid1(VALU_DEP_2)
	v_mul_f32_e32 v4, v14, v4
	v_and_b32_e32 v14, 0x7fffffff, v10
	v_dual_mov_b32 v21, 0x2edbe6ff :: v_dual_mul_f32 v22, v12, v15
	v_mul_f32_e32 v8, v8, v15
	v_mul_f32_e32 v13, v13, v15
	;; [unrolled: 1-line block ×3, first 2 shown]
	s_delay_alu instid0(VALU_DEP_3) | instskip(NEXT) | instid1(VALU_DEP_3)
	v_dual_mul_f32 v19, v11, v15 :: v_dual_mul_f32 v12, v8, v16
	v_dual_mul_f32 v8, v22, v3 :: v_dual_mul_f32 v3, v13, v20
	s_delay_alu instid0(VALU_DEP_1) | instskip(NEXT) | instid1(VALU_DEP_1)
	v_dual_mul_f32 v7, v7, v15 :: v_dual_and_b32 v16, 0x7fffffff, v8
	v_mul_f32_e32 v11, v7, v1
	s_delay_alu instid0(VALU_DEP_4) | instskip(SKIP_2) | instid1(VALU_DEP_4)
	v_dual_mul_f32 v7, v19, v18 :: v_dual_and_b32 v18, 0x7fffffff, v4
	v_mul_f32_e32 v9, v9, v17
	v_and_b32_e32 v1, 0x7fffffff, v12
	v_and_b32_e32 v2, 0x7fffffff, v11
	;;#ASMSTART
	v_max3_f32 v1, v21, v1, v2

	;;#ASMEND
	v_and_b32_e32 v15, 0x7fffffff, v7
	v_and_b32_e32 v13, 0x7fffffff, v9
	;;#ASMSTART
	v_max3_f32 v1, v1, v13, v14

	;;#ASMEND
	v_and_b32_e32 v17, 0x7fffffff, v3
	;;#ASMSTART
	v_max3_f32 v1, v1, v15, v16

	;;#ASMEND
	;;#ASMSTART
	v_max3_f32 v13, v1, v17, v18

	;;#ASMEND
	s_cbranch_scc0 .LBB37_10
; %bb.4:
	s_ashr_i32 s7, s10, 31
	s_delay_alu instid0(SALU_CYCLE_1) | instskip(NEXT) | instid1(SALU_CYCLE_1)
	s_lshr_b32 s1, s7, 29
	s_add_i32 s1, s10, s1
	s_delay_alu instid0(SALU_CYCLE_1) | instskip(NEXT) | instid1(SALU_CYCLE_1)
	s_ashr_i32 s1, s1, 3
	s_cmp_lt_i32 s1, 8
	s_cbranch_scc1 .LBB37_11
; %bb.5:
	s_cmp_lt_i32 s1, 16
	s_cbranch_scc1 .LBB37_12
; %bb.6:
	s_cmp_lt_i32 s1, 32
	s_cbranch_scc1 .LBB37_13
; %bb.7:
	v_mov_b32_e32 v1, v13
	s_cmp_eq_u32 s1, 32
	s_cbranch_scc0 .LBB37_9
; %bb.8:
	s_delay_alu instid0(VALU_DEP_1) | instskip(SKIP_1) | instid1(VALU_DEP_1)
	v_mov_b32_dpp v1, v13 quad_perm:[1,0,3,2] row_mask:0xf bank_mask:0xf
	s_mov_b32 s2, 0x76543210
	v_cmp_gt_f32_e32 vcc_lo, v13, v1
	v_cndmask_b32_e32 v1, v1, v13, vcc_lo
	s_delay_alu instid0(VALU_DEP_1) | instskip(NEXT) | instid1(VALU_DEP_1)
	v_mov_b32_dpp v2, v1 quad_perm:[2,3,0,1] row_mask:0xf bank_mask:0xf
	v_cmp_gt_f32_e32 vcc_lo, v1, v2
	v_cndmask_b32_e32 v1, v2, v1, vcc_lo
	s_delay_alu instid0(VALU_DEP_1) | instskip(NEXT) | instid1(VALU_DEP_1)
	v_mov_b32_dpp v2, v1 row_xmask:7 row_mask:0xf bank_mask:0xf
	v_cmp_gt_f32_e32 vcc_lo, v1, v2
	v_cndmask_b32_e32 v1, v2, v1, vcc_lo
	s_delay_alu instid0(VALU_DEP_1) | instskip(NEXT) | instid1(VALU_DEP_1)
	v_mov_b32_dpp v2, v1 row_xmask:15 row_mask:0xf bank_mask:0xf
	v_cmp_gt_f32_e32 vcc_lo, v1, v2
	v_cndmask_b32_e32 v1, v2, v1, vcc_lo
	s_delay_alu instid0(VALU_DEP_1) | instskip(NEXT) | instid1(VALU_DEP_1)
	v_permlanex16_b32 v2, v1, s2, 0xfedcba98 op_sel:[1,1]
	v_cmp_gt_f32_e32 vcc_lo, v1, v2
	v_cndmask_b32_e32 v1, v2, v1, vcc_lo
.LBB37_9:
	s_mov_b32 s2, 0
	s_branch .LBB37_14
.LBB37_10:
	s_mov_b32 s1, 0
                                        ; implicit-def: $vgpr14
                                        ; implicit-def: $vgpr1_vgpr2
	s_and_b32 vcc_lo, exec_lo, s31
	s_cbranch_vccnz .LBB37_38
	s_branch .LBB37_41
.LBB37_11:
                                        ; implicit-def: $vgpr1
	s_branch .LBB37_21
.LBB37_12:
                                        ; implicit-def: $vgpr1
	s_branch .LBB37_18
.LBB37_13:
	s_mov_b32 s2, -1
                                        ; implicit-def: $vgpr1
.LBB37_14:
	s_delay_alu instid0(SALU_CYCLE_1)
	s_and_not1_b32 vcc_lo, exec_lo, s2
	s_cbranch_vccnz .LBB37_17
; %bb.15:
	v_mov_b32_e32 v1, v13
	s_cmp_eq_u32 s1, 16
	s_cbranch_scc0 .LBB37_17
; %bb.16:
	s_delay_alu instid0(VALU_DEP_1) | instskip(NEXT) | instid1(VALU_DEP_1)
	v_mov_b32_dpp v1, v13 quad_perm:[1,0,3,2] row_mask:0xf bank_mask:0xf
	v_cmp_gt_f32_e32 vcc_lo, v13, v1
	v_cndmask_b32_e32 v1, v1, v13, vcc_lo
	s_delay_alu instid0(VALU_DEP_1) | instskip(NEXT) | instid1(VALU_DEP_1)
	v_mov_b32_dpp v2, v1 quad_perm:[2,3,0,1] row_mask:0xf bank_mask:0xf
	v_cmp_gt_f32_e32 vcc_lo, v1, v2
	v_cndmask_b32_e32 v1, v2, v1, vcc_lo
	s_delay_alu instid0(VALU_DEP_1) | instskip(NEXT) | instid1(VALU_DEP_1)
	v_mov_b32_dpp v2, v1 row_half_mirror row_mask:0xf bank_mask:0xf
	v_cmp_gt_f32_e32 vcc_lo, v1, v2
	v_cndmask_b32_e32 v1, v2, v1, vcc_lo
	s_delay_alu instid0(VALU_DEP_1) | instskip(NEXT) | instid1(VALU_DEP_1)
	v_mov_b32_dpp v2, v1 row_mirror row_mask:0xf bank_mask:0xf
	v_cmp_gt_f32_e32 vcc_lo, v1, v2
	v_cndmask_b32_e32 v1, v2, v1, vcc_lo
.LBB37_17:
	s_cbranch_execnz .LBB37_20
.LBB37_18:
	v_mov_b32_e32 v1, v13
	s_cmp_eq_u32 s1, 8
	s_cbranch_scc0 .LBB37_20
; %bb.19:
	s_delay_alu instid0(VALU_DEP_1) | instskip(NEXT) | instid1(VALU_DEP_1)
	v_mov_b32_dpp v1, v13 quad_perm:[1,0,3,2] row_mask:0xf bank_mask:0xf
	v_cmp_gt_f32_e32 vcc_lo, v13, v1
	v_cndmask_b32_e32 v1, v1, v13, vcc_lo
	s_delay_alu instid0(VALU_DEP_1) | instskip(NEXT) | instid1(VALU_DEP_1)
	v_mov_b32_dpp v2, v1 quad_perm:[2,3,0,1] row_mask:0xf bank_mask:0xf
	v_cmp_gt_f32_e32 vcc_lo, v1, v2
	v_cndmask_b32_e32 v1, v2, v1, vcc_lo
	s_delay_alu instid0(VALU_DEP_1) | instskip(NEXT) | instid1(VALU_DEP_1)
	v_mov_b32_dpp v2, v1 row_half_mirror row_mask:0xf bank_mask:0xf
	v_cmp_gt_f32_e32 vcc_lo, v1, v2
	v_cndmask_b32_e32 v1, v2, v1, vcc_lo
.LBB37_20:
	s_cbranch_execnz .LBB37_28
.LBB37_21:
	s_cmp_lt_i32 s1, 4
	s_cbranch_scc1 .LBB37_24
; %bb.22:
	v_mov_b32_e32 v1, v13
	s_cmp_eq_u32 s1, 4
	s_cbranch_scc0 .LBB37_25
; %bb.23:
	s_delay_alu instid0(VALU_DEP_1) | instskip(NEXT) | instid1(VALU_DEP_1)
	v_mov_b32_dpp v1, v13 quad_perm:[1,0,3,2] row_mask:0xf bank_mask:0xf
	v_cmp_gt_f32_e32 vcc_lo, v13, v1
	v_cndmask_b32_e32 v1, v1, v13, vcc_lo
	s_delay_alu instid0(VALU_DEP_1) | instskip(NEXT) | instid1(VALU_DEP_1)
	v_mov_b32_dpp v2, v1 quad_perm:[2,3,0,1] row_mask:0xf bank_mask:0xf
	v_cmp_gt_f32_e32 vcc_lo, v1, v2
	v_cndmask_b32_e32 v1, v2, v1, vcc_lo
	s_cbranch_execz .LBB37_26
	s_branch .LBB37_28
.LBB37_24:
                                        ; implicit-def: $vgpr1
	s_branch .LBB37_26
.LBB37_25:
	s_cbranch_execnz .LBB37_28
.LBB37_26:
	v_mov_b32_e32 v1, v13
	s_cmp_lg_u32 s1, 2
	s_cbranch_scc1 .LBB37_28
; %bb.27:
	s_delay_alu instid0(VALU_DEP_1) | instskip(NEXT) | instid1(VALU_DEP_1)
	v_mov_b32_dpp v1, v13 quad_perm:[1,0,3,2] row_mask:0xf bank_mask:0xf
	v_cmp_gt_f32_e32 vcc_lo, v13, v1
	v_cndmask_b32_e32 v1, v1, v13, vcc_lo
.LBB37_28:
	v_cvt_f32_u32_e32 v2, s1
	s_sub_i32 s2, 0, s1
	s_mov_b32 s31, 0
	s_delay_alu instid0(VALU_DEP_1) | instskip(SKIP_2) | instid1(VALU_DEP_1)
	v_rcp_iflag_f32_e32 v2, v2
	s_waitcnt_depctr 0xfff
	v_mul_f32_e32 v2, 0x4f7ffffe, v2
	v_cvt_u32_f32_e32 v2, v2
	s_delay_alu instid0(VALU_DEP_1) | instskip(NEXT) | instid1(VALU_DEP_1)
	v_mul_lo_u32 v14, s2, v2
	v_mul_hi_u32 v14, v2, v14
	s_delay_alu instid0(VALU_DEP_1) | instskip(NEXT) | instid1(VALU_DEP_1)
	v_add_nc_u32_e32 v2, v2, v14
	v_mul_hi_u32 v2, v0, v2
	s_delay_alu instid0(VALU_DEP_1) | instskip(NEXT) | instid1(VALU_DEP_1)
	v_mul_lo_u32 v14, v2, s1
	v_sub_nc_u32_e32 v14, v0, v14
	s_delay_alu instid0(VALU_DEP_1) | instskip(SKIP_1) | instid1(VALU_DEP_2)
	v_subrev_nc_u32_e32 v16, s1, v14
	v_cmp_le_u32_e32 vcc_lo, s1, v14
	v_dual_cndmask_b32 v14, v14, v16 :: v_dual_add_nc_u32 v15, 1, v2
	s_delay_alu instid0(VALU_DEP_1) | instskip(NEXT) | instid1(VALU_DEP_2)
	v_cndmask_b32_e32 v2, v2, v15, vcc_lo
	v_cmp_le_u32_e32 vcc_lo, s1, v14
	s_delay_alu instid0(VALU_DEP_2) | instskip(NEXT) | instid1(VALU_DEP_1)
	v_dual_mul_f32 v14, 0x3c010204, v1 :: v_dual_add_nc_u32 v15, 1, v2
	v_cndmask_b32_e32 v15, v2, v15, vcc_lo
	v_cmp_gt_u32_e32 vcc_lo, s5, v5
	s_delay_alu instid0(VALU_DEP_2) | instskip(NEXT) | instid1(VALU_DEP_1)
	v_mul_lo_u32 v2, v15, s1
	v_sub_nc_u32_e32 v2, v0, v2
	s_delay_alu instid0(VALU_DEP_1) | instskip(NEXT) | instid1(VALU_DEP_1)
	v_cmp_eq_u32_e64 s1, 0, v2
                                        ; implicit-def: $vgpr1_vgpr2
	s_and_b32 s2, s1, vcc_lo
	s_mov_b32 s1, 0
	s_and_saveexec_b32 s3, s2
	s_delay_alu instid0(SALU_CYCLE_1)
	s_xor_b32 s8, exec_lo, s3
	s_cbranch_execz .LBB37_37
; %bb.29:
	s_bitcmp0_b32 s11, 0
	s_mov_b32 s6, 0
	s_cbranch_scc0 .LBB37_34
; %bb.30:
	s_ashr_i32 s1, s5, 31
	s_mul_hi_u32 s3, s5, s34
	s_mul_i32 s1, s1, s34
	s_mul_i32 s2, s5, s34
	s_add_i32 s3, s3, s1
	s_mov_b32 s11, s7
	s_delay_alu instid0(SALU_CYCLE_1) | instskip(NEXT) | instid1(SALU_CYCLE_1)
	s_or_b64 s[14:15], s[2:3], s[10:11]
	s_mov_b32 s7, s15
	s_delay_alu instid0(SALU_CYCLE_1)
	s_cmp_lg_u64 s[6:7], 0
	s_cbranch_scc0 .LBB37_45
; %bb.31:
	s_add_u32 s14, s10, s11
	s_mov_b32 s6, s11
	s_mov_b32 s7, s11
	s_addc_u32 s15, s11, s11
	s_delay_alu instid0(SALU_CYCLE_1) | instskip(NEXT) | instid1(SALU_CYCLE_1)
	s_xor_b64 s[14:15], s[14:15], s[6:7]
	v_cvt_f32_u32_e32 v1, s14
	v_cvt_f32_u32_e32 v2, s15
	s_sub_u32 s18, 0, s14
	s_subb_u32 s19, 0, s15
	s_delay_alu instid0(VALU_DEP_1) | instskip(NEXT) | instid1(VALU_DEP_1)
	v_fmamk_f32 v1, v2, 0x4f800000, v1
	v_rcp_f32_e32 v1, v1
	s_waitcnt_depctr 0xfff
	v_mul_f32_e32 v1, 0x5f7ffffc, v1
	s_delay_alu instid0(VALU_DEP_1) | instskip(NEXT) | instid1(VALU_DEP_1)
	v_mul_f32_e32 v2, 0x2f800000, v1
	v_trunc_f32_e32 v2, v2
	s_delay_alu instid0(VALU_DEP_1) | instskip(SKIP_1) | instid1(VALU_DEP_2)
	v_fmamk_f32 v1, v2, 0xcf800000, v1
	v_cvt_u32_f32_e32 v2, v2
	v_cvt_u32_f32_e32 v1, v1
	s_delay_alu instid0(VALU_DEP_2) | instskip(NEXT) | instid1(VALU_DEP_2)
	v_readfirstlane_b32 s1, v2
	v_readfirstlane_b32 s11, v1
	s_delay_alu instid0(VALU_DEP_2) | instskip(NEXT) | instid1(VALU_DEP_1)
	s_mul_i32 s20, s18, s1
	s_mul_hi_u32 s22, s18, s11
	s_mul_i32 s21, s19, s11
	s_add_i32 s20, s22, s20
	s_mul_i32 s23, s18, s11
	s_add_i32 s20, s20, s21
	s_mul_hi_u32 s22, s11, s23
	s_mul_hi_u32 s24, s1, s23
	s_mul_i32 s21, s1, s23
	s_mul_hi_u32 s23, s11, s20
	s_mul_i32 s11, s11, s20
	s_mul_hi_u32 s25, s1, s20
	s_add_u32 s11, s22, s11
	s_addc_u32 s22, 0, s23
	s_add_u32 s11, s11, s21
	s_mul_i32 s20, s1, s20
	s_addc_u32 s11, s22, s24
	s_addc_u32 s21, s25, 0
	s_add_u32 s11, s11, s20
	s_addc_u32 s20, 0, s21
	v_add_co_u32 v1, s11, v1, s11
	s_delay_alu instid0(VALU_DEP_1) | instskip(SKIP_1) | instid1(VALU_DEP_1)
	s_cmp_lg_u32 s11, 0
	s_addc_u32 s1, s1, s20
	v_readfirstlane_b32 s11, v1
	s_mul_i32 s20, s18, s1
	s_delay_alu instid0(VALU_DEP_1)
	s_mul_hi_u32 s21, s18, s11
	s_mul_i32 s19, s19, s11
	s_add_i32 s20, s21, s20
	s_mul_i32 s18, s18, s11
	s_add_i32 s20, s20, s19
	s_mul_hi_u32 s21, s1, s18
	s_mul_i32 s22, s1, s18
	s_mul_hi_u32 s18, s11, s18
	s_mul_hi_u32 s23, s11, s20
	s_mul_i32 s11, s11, s20
	s_mul_hi_u32 s19, s1, s20
	s_add_u32 s11, s18, s11
	s_addc_u32 s18, 0, s23
	s_add_u32 s11, s11, s22
	s_mul_i32 s20, s1, s20
	s_addc_u32 s11, s18, s21
	s_addc_u32 s18, s19, 0
	s_add_u32 s11, s11, s20
	s_addc_u32 s18, 0, s18
	v_add_co_u32 v1, s11, v1, s11
	s_delay_alu instid0(VALU_DEP_1) | instskip(SKIP_2) | instid1(SALU_CYCLE_1)
	s_cmp_lg_u32 s11, 0
	s_addc_u32 s1, s1, s18
	s_ashr_i32 s18, s3, 31
	s_add_u32 s20, s2, s18
	s_addc_u32 s21, s3, s18
	v_readfirstlane_b32 s3, v1
	s_mov_b32 s19, s18
	s_delay_alu instid0(SALU_CYCLE_1) | instskip(NEXT) | instid1(SALU_CYCLE_1)
	s_xor_b64 s[20:21], s[20:21], s[18:19]
	s_mul_i32 s22, s20, s1
	s_delay_alu instid0(VALU_DEP_1)
	s_mul_hi_u32 s23, s20, s3
	s_mul_hi_u32 s11, s20, s1
	;; [unrolled: 1-line block ×3, first 2 shown]
	s_mul_i32 s3, s21, s3
	s_add_u32 s22, s23, s22
	s_addc_u32 s11, 0, s11
	s_mul_hi_u32 s24, s21, s1
	s_add_u32 s3, s22, s3
	s_mul_i32 s1, s21, s1
	s_addc_u32 s3, s11, s25
	s_addc_u32 s11, s24, 0
	s_add_u32 s3, s3, s1
	s_addc_u32 s11, 0, s11
	s_mul_i32 s24, s14, s3
	s_mul_hi_u32 s1, s14, s3
	s_mul_i32 s23, s14, s11
	v_sub_co_u32 v1, s20, s20, s24
	s_mul_i32 s22, s15, s3
	s_add_i32 s1, s1, s23
	s_delay_alu instid0(SALU_CYCLE_1) | instskip(NEXT) | instid1(VALU_DEP_1)
	s_add_i32 s1, s1, s22
	v_sub_co_u32 v2, s23, v1, s14
	s_sub_i32 s22, s21, s1
	s_cmp_lg_u32 s20, 0
	s_subb_u32 s22, s22, s15
	s_cmp_lg_u32 s23, 0
	v_cmp_le_u32_e32 vcc_lo, s14, v2
	s_subb_u32 s22, s22, 0
	s_delay_alu instid0(SALU_CYCLE_1)
	s_cmp_ge_u32 s22, s15
	v_cndmask_b32_e64 v2, 0, -1, vcc_lo
	s_cselect_b32 s23, -1, 0
	s_cmp_eq_u32 s22, s15
	s_cselect_b32 vcc_lo, -1, 0
	s_add_u32 s22, s3, 1
	v_cndmask_b32_e32 v2, s23, v2, vcc_lo
	s_addc_u32 s23, s11, 0
	s_add_u32 s24, s3, 2
	s_addc_u32 s25, s11, 0
	s_cmp_lg_u32 s20, 0
	v_cmp_le_u32_e32 vcc_lo, s14, v1
	s_subb_u32 s1, s21, s1
	v_mov_b32_e32 v16, s24
	s_cmp_ge_u32 s1, s15
	v_cndmask_b32_e64 v1, 0, -1, vcc_lo
	s_cselect_b32 s14, -1, 0
	s_cmp_eq_u32 s1, s15
	v_cmp_ne_u32_e32 vcc_lo, 0, v2
	v_mov_b32_e32 v2, s25
	s_cselect_b32 s1, -1, 0
	s_xor_b64 s[6:7], s[18:19], s[6:7]
	v_cndmask_b32_e64 v1, s14, v1, s1
	v_cndmask_b32_e32 v16, s22, v16, vcc_lo
	v_cndmask_b32_e32 v2, s23, v2, vcc_lo
	s_delay_alu instid0(VALU_DEP_3) | instskip(NEXT) | instid1(VALU_DEP_2)
	v_cmp_ne_u32_e32 vcc_lo, 0, v1
	v_cndmask_b32_e32 v1, s11, v2, vcc_lo
	s_delay_alu instid0(VALU_DEP_4) | instskip(NEXT) | instid1(VALU_DEP_2)
	v_cndmask_b32_e32 v2, s3, v16, vcc_lo
	v_xor_b32_e32 v16, s7, v1
	s_delay_alu instid0(VALU_DEP_2) | instskip(NEXT) | instid1(VALU_DEP_1)
	v_xor_b32_e32 v2, s6, v2
	v_sub_co_u32 v1, vcc_lo, v2, s6
	s_delay_alu instid0(VALU_DEP_3)
	v_subrev_co_ci_u32_e32 v2, vcc_lo, s7, v16, vcc_lo
	s_cbranch_execnz .LBB37_33
.LBB37_32:
	v_cvt_f32_u32_e32 v1, s10
	s_sub_i32 s3, 0, s10
	s_delay_alu instid0(VALU_DEP_1) | instskip(SKIP_2) | instid1(VALU_DEP_1)
	v_rcp_iflag_f32_e32 v1, v1
	s_waitcnt_depctr 0xfff
	v_mul_f32_e32 v1, 0x4f7ffffe, v1
	v_cvt_u32_f32_e32 v1, v1
	s_delay_alu instid0(VALU_DEP_1) | instskip(NEXT) | instid1(VALU_DEP_1)
	v_readfirstlane_b32 s1, v1
	s_mul_i32 s3, s3, s1
	s_delay_alu instid0(SALU_CYCLE_1) | instskip(NEXT) | instid1(SALU_CYCLE_1)
	s_mul_hi_u32 s3, s1, s3
	s_add_i32 s1, s1, s3
	s_delay_alu instid0(SALU_CYCLE_1) | instskip(NEXT) | instid1(SALU_CYCLE_1)
	s_mul_hi_u32 s1, s2, s1
	s_mul_i32 s3, s1, s10
	s_delay_alu instid0(SALU_CYCLE_1)
	s_sub_i32 s2, s2, s3
	s_add_i32 s3, s1, 1
	s_sub_i32 s6, s2, s10
	s_cmp_ge_u32 s2, s10
	s_cselect_b32 s1, s3, s1
	s_cselect_b32 s2, s6, s2
	s_add_i32 s6, s1, 1
	s_cmp_ge_u32 s2, s10
	s_mov_b32 s3, 0
	s_cselect_b32 s2, s6, s1
	s_delay_alu instid0(SALU_CYCLE_1)
	v_dual_mov_b32 v1, s2 :: v_dual_mov_b32 v2, s3
.LBB37_33:
	s_delay_alu instid0(VALU_DEP_1) | instskip(NEXT) | instid1(VALU_DEP_2)
	v_add_co_u32 v1, vcc_lo, v1, v15
	v_add_co_ci_u32_e32 v2, vcc_lo, 0, v2, vcc_lo
	s_branch .LBB37_36
.LBB37_34:
                                        ; implicit-def: $vgpr1_vgpr2
	s_cbranch_execz .LBB37_36
; %bb.35:
	v_mul_lo_u32 v1, v15, s4
	s_delay_alu instid0(VALU_DEP_1) | instskip(SKIP_1) | instid1(VALU_DEP_2)
	v_ashrrev_i32_e32 v2, 31, v1
	v_add_co_u32 v1, vcc_lo, v1, s34
	v_add_co_ci_u32_e32 v2, vcc_lo, 0, v2, vcc_lo
.LBB37_36:
	s_mov_b32 s1, exec_lo
.LBB37_37:
	s_or_b32 exec_lo, exec_lo, s8
	s_delay_alu instid0(SALU_CYCLE_1)
	s_and_b32 vcc_lo, exec_lo, s31
	s_cbranch_vccz .LBB37_41
.LBB37_38:
	v_mov_b32_dpp v1, v13 quad_perm:[1,0,3,2] row_mask:0xf bank_mask:0xf
	s_delay_alu instid0(VALU_DEP_1) | instskip(SKIP_1) | instid1(VALU_DEP_1)
	v_cmp_gt_f32_e32 vcc_lo, v13, v1
	v_cndmask_b32_e32 v1, v1, v13, vcc_lo
	v_mov_b32_dpp v2, v1 quad_perm:[2,3,0,1] row_mask:0xf bank_mask:0xf
	s_delay_alu instid0(VALU_DEP_1) | instskip(SKIP_1) | instid1(VALU_DEP_1)
	v_cmp_gt_f32_e32 vcc_lo, v1, v2
	v_cndmask_b32_e32 v1, v2, v1, vcc_lo
	v_mov_b32_dpp v2, v1 row_xmask:7 row_mask:0xf bank_mask:0xf
	s_delay_alu instid0(VALU_DEP_1) | instskip(SKIP_1) | instid1(VALU_DEP_1)
	v_cmp_gt_f32_e32 vcc_lo, v1, v2
	v_cndmask_b32_e32 v1, v2, v1, vcc_lo
	v_mov_b32_dpp v2, v1 row_xmask:15 row_mask:0xf bank_mask:0xf
	s_delay_alu instid0(VALU_DEP_1)
	v_cmp_gt_f32_e32 vcc_lo, v1, v2
	s_and_saveexec_b32 s1, s0
	s_cbranch_execz .LBB37_40
; %bb.39:
	v_cndmask_b32_e32 v1, v2, v1, vcc_lo
	v_lshrrev_b32_e32 v2, 3, v0
	s_mov_b32 s0, 0x76543210
	s_delay_alu instid0(VALU_DEP_1) | instskip(NEXT) | instid1(VALU_DEP_3)
	v_and_b32_e32 v2, 0x7c, v2
	v_permlanex16_b32 v13, v1, s0, 0xfedcba98 op_sel:[1,1]
	s_delay_alu instid0(VALU_DEP_1)
	v_cmp_gt_f32_e32 vcc_lo, v1, v13
	v_cndmask_b32_e32 v1, v13, v1, vcc_lo
	ds_store_b32 v2, v1
.LBB37_40:
	s_or_b32 exec_lo, exec_lo, s1
	s_waitcnt lgkmcnt(0)
	s_barrier
	buffer_gl0_inv
	ds_load_b32 v1, v6
	v_cmp_eq_u32_e64 s1, 0, v0
	s_waitcnt lgkmcnt(0)
	v_mov_b32_dpp v2, v1 quad_perm:[1,0,3,2] row_mask:0xf bank_mask:0xf
	s_delay_alu instid0(VALU_DEP_1) | instskip(SKIP_1) | instid1(VALU_DEP_1)
	v_cmp_gt_f32_e32 vcc_lo, v1, v2
	v_cndmask_b32_e32 v1, v2, v1, vcc_lo
	v_mov_b32_dpp v2, v1 quad_perm:[2,3,0,1] row_mask:0xf bank_mask:0xf
	s_delay_alu instid0(VALU_DEP_1) | instskip(SKIP_1) | instid1(VALU_DEP_1)
	v_cmp_gt_f32_e32 vcc_lo, v1, v2
	v_cndmask_b32_e32 v1, v2, v1, vcc_lo
	v_dual_mul_f32 v14, 0x3c010204, v1 :: v_dual_mov_b32 v1, s34
	v_mov_b32_e32 v2, s35
.LBB37_41:
	s_and_saveexec_b32 s0, s1
	s_cbranch_execz .LBB37_43
; %bb.42:
	s_delay_alu instid0(VALU_DEP_1) | instskip(NEXT) | instid1(VALU_DEP_1)
	v_lshlrev_b64 v[0:1], 2, v[1:2]
	v_add_co_u32 v0, vcc_lo, s16, v0
	s_delay_alu instid0(VALU_DEP_2)
	v_add_co_ci_u32_e32 v1, vcc_lo, s17, v1, vcc_lo
	global_store_b32 v[0:1], v14, off
.LBB37_43:
	s_or_b32 exec_lo, exec_lo, s0
	;;#ASMSTART
	v_rcp_f32 v0, v14
	;;#ASMEND
	v_mul_f32_e32 v7, v7, v0
	v_mul_f32_e32 v1, v12, v0
	;; [unrolled: 1-line block ×4, first 2 shown]
	s_add_i32 s0, s5, 3
	v_cvt_i32_f32_e32 v7, v7
	v_mul_f32_e32 v2, v11, v0
	v_cvt_i32_f32_e32 v1, v1
	v_mul_f32_e32 v6, v9, v0
	v_cvt_i32_f32_e32 v4, v4
	v_and_b32_e32 v7, 0xff, v7
	v_cvt_i32_f32_e32 v2, v2
	v_and_b32_e32 v1, 0xff, v1
	s_ashr_i32 s1, s0, 31
	v_lshlrev_b16 v4, 8, v4
	s_lshr_b32 s1, s1, 30
	v_lshlrev_b16 v2, 8, v2
	s_add_i32 s0, s0, s1
	s_ashr_i32 s1, s9, 31
	s_and_b32 s2, s0, -4
	s_mul_hi_u32 s0, s9, s34
	v_or_b32_e32 v1, v1, v2
	v_mul_f32_e32 v9, v10, v0
	v_mul_f32_e32 v0, v3, v0
	v_cvt_i32_f32_e32 v3, v6
	s_mul_i32 s1, s1, s34
	s_mul_i32 s3, s9, s34
	s_add_i32 s1, s0, s1
	v_cvt_i32_f32_e32 v0, v0
	v_and_b32_e32 v3, 0xff, v3
	v_cvt_i32_f32_e32 v6, v8
	s_add_u32 s0, s12, s3
	s_addc_u32 s1, s13, s1
	v_and_b32_e32 v0, 0xff, v0
	s_and_b32 s1, s1, 0xffff
	v_lshlrev_b16 v6, 8, v6
	s_mov_b32 s3, -1
	s_delay_alu instid0(VALU_DEP_2) | instskip(SKIP_3) | instid1(VALU_DEP_4)
	v_or_b32_e32 v0, v0, v4
	v_and_b32_e32 v4, 0xffff, v1
	v_cvt_i32_f32_e32 v8, v9
	v_or_b32_e32 v6, v7, v6
	v_lshlrev_b32_e32 v0, 16, v0
	s_delay_alu instid0(VALU_DEP_3) | instskip(NEXT) | instid1(VALU_DEP_1)
	v_lshlrev_b16 v8, 8, v8
	v_or_b32_e32 v2, v3, v8
	s_delay_alu instid0(VALU_DEP_4) | instskip(NEXT) | instid1(VALU_DEP_2)
	v_and_b32_e32 v3, 0xffff, v6
	v_lshlrev_b32_e32 v2, 16, v2
	s_delay_alu instid0(VALU_DEP_2) | instskip(NEXT) | instid1(VALU_DEP_2)
	v_or_b32_e32 v1, v3, v0
	v_or_b32_e32 v0, v4, v2
	buffer_store_b64 v[0:1], v5, s[0:3], 0 offen
	;;#ASMSTART
	s_nop 0
	;;#ASMEND
.LBB37_44:
	s_nop 0
	s_sendmsg sendmsg(MSG_DEALLOC_VGPRS)
	s_endpgm
.LBB37_45:
                                        ; implicit-def: $vgpr1_vgpr2
	s_branch .LBB37_32
	.section	.rodata,"a",@progbits
	.p2align	6, 0x0
	.amdhsa_kernel _ZN5aiter24add_rmsnorm_quant_kernelIDF16_aLi128ELi8ELb1ELb1ELb1ELi1EEEvPT0_PT_PfS4_S4_S4_diiiiiiib
		.amdhsa_group_segment_fixed_size 32
		.amdhsa_private_segment_fixed_size 0
		.amdhsa_kernarg_size 88
		.amdhsa_user_sgpr_count 15
		.amdhsa_user_sgpr_dispatch_ptr 0
		.amdhsa_user_sgpr_queue_ptr 0
		.amdhsa_user_sgpr_kernarg_segment_ptr 1
		.amdhsa_user_sgpr_dispatch_id 0
		.amdhsa_user_sgpr_private_segment_size 0
		.amdhsa_wavefront_size32 1
		.amdhsa_uses_dynamic_stack 0
		.amdhsa_enable_private_segment 0
		.amdhsa_system_sgpr_workgroup_id_x 1
		.amdhsa_system_sgpr_workgroup_id_y 0
		.amdhsa_system_sgpr_workgroup_id_z 0
		.amdhsa_system_sgpr_workgroup_info 0
		.amdhsa_system_vgpr_workitem_id 0
		.amdhsa_next_free_vgpr 25
		.amdhsa_next_free_sgpr 36
		.amdhsa_reserve_vcc 1
		.amdhsa_float_round_mode_32 0
		.amdhsa_float_round_mode_16_64 0
		.amdhsa_float_denorm_mode_32 3
		.amdhsa_float_denorm_mode_16_64 3
		.amdhsa_dx10_clamp 1
		.amdhsa_ieee_mode 1
		.amdhsa_fp16_overflow 0
		.amdhsa_workgroup_processor_mode 1
		.amdhsa_memory_ordered 1
		.amdhsa_forward_progress 0
		.amdhsa_shared_vgpr_count 0
		.amdhsa_exception_fp_ieee_invalid_op 0
		.amdhsa_exception_fp_denorm_src 0
		.amdhsa_exception_fp_ieee_div_zero 0
		.amdhsa_exception_fp_ieee_overflow 0
		.amdhsa_exception_fp_ieee_underflow 0
		.amdhsa_exception_fp_ieee_inexact 0
		.amdhsa_exception_int_div_zero 0
	.end_amdhsa_kernel
	.section	.text._ZN5aiter24add_rmsnorm_quant_kernelIDF16_aLi128ELi8ELb1ELb1ELb1ELi1EEEvPT0_PT_PfS4_S4_S4_diiiiiiib,"axG",@progbits,_ZN5aiter24add_rmsnorm_quant_kernelIDF16_aLi128ELi8ELb1ELb1ELb1ELi1EEEvPT0_PT_PfS4_S4_S4_diiiiiiib,comdat
.Lfunc_end37:
	.size	_ZN5aiter24add_rmsnorm_quant_kernelIDF16_aLi128ELi8ELb1ELb1ELb1ELi1EEEvPT0_PT_PfS4_S4_S4_diiiiiiib, .Lfunc_end37-_ZN5aiter24add_rmsnorm_quant_kernelIDF16_aLi128ELi8ELb1ELb1ELb1ELi1EEEvPT0_PT_PfS4_S4_S4_diiiiiiib
                                        ; -- End function
	.section	.AMDGPU.csdata,"",@progbits
; Kernel info:
; codeLenInByte = 3416
; NumSgprs: 38
; NumVgprs: 25
; ScratchSize: 0
; MemoryBound: 0
; FloatMode: 240
; IeeeMode: 1
; LDSByteSize: 32 bytes/workgroup (compile time only)
; SGPRBlocks: 4
; VGPRBlocks: 3
; NumSGPRsForWavesPerEU: 38
; NumVGPRsForWavesPerEU: 25
; Occupancy: 16
; WaveLimiterHint : 0
; COMPUTE_PGM_RSRC2:SCRATCH_EN: 0
; COMPUTE_PGM_RSRC2:USER_SGPR: 15
; COMPUTE_PGM_RSRC2:TRAP_HANDLER: 0
; COMPUTE_PGM_RSRC2:TGID_X_EN: 1
; COMPUTE_PGM_RSRC2:TGID_Y_EN: 0
; COMPUTE_PGM_RSRC2:TGID_Z_EN: 0
; COMPUTE_PGM_RSRC2:TIDIG_COMP_CNT: 0
	.section	.text._ZN5aiter24add_rmsnorm_quant_kernelItaLi128ELi8ELb1ELb1ELb1ELi1EEEvPT0_PT_PfS4_S4_S4_diiiiiiib,"axG",@progbits,_ZN5aiter24add_rmsnorm_quant_kernelItaLi128ELi8ELb1ELb1ELb1ELi1EEEvPT0_PT_PfS4_S4_S4_diiiiiiib,comdat
	.protected	_ZN5aiter24add_rmsnorm_quant_kernelItaLi128ELi8ELb1ELb1ELb1ELi1EEEvPT0_PT_PfS4_S4_S4_diiiiiiib ; -- Begin function _ZN5aiter24add_rmsnorm_quant_kernelItaLi128ELi8ELb1ELb1ELb1ELi1EEEvPT0_PT_PfS4_S4_S4_diiiiiiib
	.globl	_ZN5aiter24add_rmsnorm_quant_kernelItaLi128ELi8ELb1ELb1ELb1ELi1EEEvPT0_PT_PfS4_S4_S4_diiiiiiib
	.p2align	8
	.type	_ZN5aiter24add_rmsnorm_quant_kernelItaLi128ELi8ELb1ELb1ELb1ELi1EEEvPT0_PT_PfS4_S4_S4_diiiiiiib,@function
_ZN5aiter24add_rmsnorm_quant_kernelItaLi128ELi8ELb1ELb1ELb1ELi1EEEvPT0_PT_PfS4_S4_S4_diiiiiiib: ; @_ZN5aiter24add_rmsnorm_quant_kernelItaLi128ELi8ELb1ELb1ELb1ELi1EEEvPT0_PT_PfS4_S4_S4_diiiiiiib
; %bb.0:
	s_load_b256 s[4:11], s[0:1], 0x38
	s_mov_b32 s34, s15
	s_mov_b32 s35, 0
	s_waitcnt lgkmcnt(0)
	s_ashr_i32 s3, s4, 31
	s_mov_b32 s2, s4
	s_delay_alu instid0(SALU_CYCLE_1) | instskip(NEXT) | instid1(VALU_DEP_1)
	v_cmp_ge_i64_e64 s2, s[34:35], s[2:3]
	s_and_b32 vcc_lo, exec_lo, s2
	s_cbranch_vccnz .LBB38_44
; %bb.1:
	s_clause 0x1
	s_load_b256 s[12:19], s[0:1], 0x0
	s_load_b256 s[20:27], s[0:1], 0x20
	s_ashr_i32 s1, s6, 31
	s_mul_hi_u32 s2, s6, s34
	s_mul_i32 s1, s1, s34
	s_mul_i32 s0, s6, s34
	s_add_i32 s1, s2, s1
	s_mul_hi_u32 s3, s7, s34
	s_lshl_b64 s[0:1], s[0:1], 1
	s_mul_i32 s2, s7, s34
	v_lshlrev_b32_e32 v19, 4, v0
	s_mov_b32 s31, -1
	s_waitcnt lgkmcnt(0)
	s_add_u32 s28, s18, s0
	s_addc_u32 s0, s19, s1
	s_add_i32 s6, s5, 1
	s_ashr_i32 s7, s7, 31
	s_lshr_b32 s18, s6, 31
	s_mul_i32 s7, s7, s34
	s_add_i32 s6, s6, s18
	s_and_b32 s29, s0, 0xffff
	s_lshl_b32 s0, s6, 1
	s_add_i32 s3, s3, s7
	s_and_b32 s30, s0, -4
	s_lshl_b64 s[2:3], s[2:3], 1
	s_and_b32 s1, s23, 0xffff
	buffer_load_b128 v[5:8], v19, s[28:31], 0 offen glc slc
	s_add_u32 s28, s20, s2
	s_addc_u32 s0, s21, s3
	s_mov_b32 s3, s31
	s_and_b32 s29, s0, 0xffff
	s_mov_b32 s0, s22
	buffer_load_b128 v[9:12], v19, s[28:31], 0 offen glc slc
	s_mov_b32 s2, s30
	s_waitcnt vmcnt(1)
	v_lshrrev_b32_e32 v15, 16, v7
	v_and_b32_e32 v17, 0xffff, v7
	v_lshrrev_b32_e32 v14, 16, v6
	v_lshrrev_b32_e32 v18, 16, v8
	s_waitcnt vmcnt(0)
	v_and_b32_e32 v7, 0xffff, v9
	v_lshrrev_b32_e32 v16, 16, v9
	s_delay_alu instid0(VALU_DEP_2) | instskip(SKIP_2) | instid1(VALU_DEP_4)
	v_cvt_f32_u32_e32 v20, v7
	v_and_b32_e32 v13, 0xffff, v5
	v_lshrrev_b32_e32 v5, 16, v5
	v_cvt_f32_u32_e32 v9, v16
	s_delay_alu instid0(VALU_DEP_2) | instskip(NEXT) | instid1(VALU_DEP_1)
	v_cvt_f32_u32_e32 v5, v5
	v_dual_add_f32 v7, v5, v9 :: v_dual_and_b32 v6, 0xffff, v6
	s_delay_alu instid0(VALU_DEP_1) | instskip(SKIP_3) | instid1(VALU_DEP_2)
	v_cvt_f32_u32_e32 v5, v6
	v_and_b32_e32 v16, 0xffff, v8
	v_cvt_f32_u32_e32 v8, v13
	v_lshrrev_b32_e32 v6, 16, v10
	v_add_f32_e32 v8, v8, v20
	v_mul_f32_e32 v20, v7, v7
	buffer_load_b128 v[1:4], v19, s[0:3], 0 offen
	v_cvt_f32_u32_e32 v6, v6
	s_ashr_i32 s0, s8, 31
	s_mul_hi_u32 s1, s8, s34
	v_dual_fmac_f32 v20, v8, v8 :: v_dual_and_b32 v13, 0xffff, v10
	v_cvt_f32_u32_e32 v10, v14
	s_mul_i32 s2, s0, s34
	s_mul_i32 s0, s8, s34
	s_add_i32 s1, s1, s2
	v_cvt_f32_u32_e32 v9, v13
	v_add_f32_e32 v10, v10, v6
	v_cvt_f32_u32_e32 v6, v15
	s_lshl_b64 s[0:1], s[0:1], 1
	s_delay_alu instid0(VALU_DEP_3) | instskip(SKIP_3) | instid1(VALU_DEP_2)
	v_add_f32_e32 v9, v5, v9
	v_cvt_f32_u32_e32 v5, v17
	s_add_u32 s28, s14, s0
	s_addc_u32 s1, s15, s1
	v_dual_fmac_f32 v20, v9, v9 :: v_dual_and_b32 v13, 0xffff, v11
	v_lshrrev_b32_e32 v11, 16, v11
	s_and_b32 s29, s1, 0xffff
	s_delay_alu instid0(VALU_DEP_2) | instskip(NEXT) | instid1(VALU_DEP_3)
	v_fmac_f32_e32 v20, v10, v10
	v_cvt_f32_u32_e32 v13, v13
	v_and_b32_e32 v14, 0xffff, v12
	v_cvt_f32_u32_e32 v15, v11
	s_delay_alu instid0(VALU_DEP_3)
	v_add_f32_e32 v11, v5, v13
	v_cvt_f32_u32_e32 v5, v16
	v_lshrrev_b32_e32 v13, 16, v12
	v_cvt_f32_u32_e32 v14, v14
	v_add_f32_e32 v12, v6, v15
	v_fmac_f32_e32 v20, v11, v11
	v_cvt_f32_u32_e32 v6, v18
	v_cvt_f32_u32_e32 v15, v13
	v_add_f32_e32 v13, v5, v14
	v_perm_b32 v17, v12, v11, 0x7060302
	v_fmac_f32_e32 v20, v12, v12
	v_perm_b32 v16, v10, v9, 0x7060302
	v_add_f32_e32 v14, v6, v15
	v_perm_b32 v15, v7, v8, 0x7060302
	s_delay_alu instid0(VALU_DEP_4) | instskip(NEXT) | instid1(VALU_DEP_1)
	v_fmac_f32_e32 v20, v13, v13
	v_fmac_f32_e32 v20, v14, v14
	s_delay_alu instid0(VALU_DEP_1) | instskip(NEXT) | instid1(VALU_DEP_1)
	v_mov_b32_dpp v5, v20 quad_perm:[1,0,3,2] row_mask:0xf bank_mask:0xf
	v_dual_add_f32 v5, v20, v5 :: v_dual_and_b32 v20, 31, v0
	v_perm_b32 v18, v14, v13, 0x7060302
	s_delay_alu instid0(VALU_DEP_2) | instskip(NEXT) | instid1(VALU_DEP_3)
	v_mov_b32_dpp v6, v5 quad_perm:[2,3,0,1] row_mask:0xf bank_mask:0xf
	v_cmp_eq_u32_e64 s0, 31, v20
	buffer_store_b128 v[15:18], v19, s[28:31], 0 offen glc slc
	;;#ASMSTART
	s_nop 0
	;;#ASMEND
	v_add_f32_e32 v5, v5, v6
	s_delay_alu instid0(VALU_DEP_1) | instskip(NEXT) | instid1(VALU_DEP_1)
	v_mov_b32_dpp v6, v5 row_xmask:7 row_mask:0xf bank_mask:0xf
	v_add_f32_e32 v5, v5, v6
	s_delay_alu instid0(VALU_DEP_1)
	v_mov_b32_dpp v6, v5 row_xmask:15 row_mask:0xf bank_mask:0xf
	s_and_saveexec_b32 s1, s0
	s_cbranch_execz .LBB38_3
; %bb.2:
	s_delay_alu instid0(VALU_DEP_1) | instskip(SKIP_2) | instid1(VALU_DEP_2)
	v_add_f32_e32 v5, v5, v6
	s_mov_b32 s2, 0x76543210
	v_lshrrev_b32_e32 v6, 3, v0
	v_permlanex16_b32 v15, v5, s2, 0xfedcba98 op_sel:[1,1]
	s_delay_alu instid0(VALU_DEP_1)
	v_dual_add_f32 v5, v5, v15 :: v_dual_and_b32 v6, 0x7c, v6
	ds_store_b32 v6, v5 offset:16
.LBB38_3:
	s_or_b32 exec_lo, exec_lo, s1
	v_and_b32_e32 v5, 3, v0
	s_waitcnt vmcnt(0) lgkmcnt(0)
	s_waitcnt_vscnt null, 0x0
	s_barrier
	buffer_gl0_inv
	v_cvt_f32_i32_e32 v16, s5
	v_lshlrev_b32_e32 v6, 2, v5
	s_cmp_lg_u32 s10, 0
	ds_load_b32 v5, v6 offset:16
	s_waitcnt lgkmcnt(0)
	v_mov_b32_dpp v15, v5 quad_perm:[1,0,3,2] row_mask:0xf bank_mask:0xf
	s_delay_alu instid0(VALU_DEP_1) | instskip(NEXT) | instid1(VALU_DEP_1)
	v_add_f32_e32 v5, v5, v15
	v_mov_b32_dpp v15, v5 quad_perm:[2,3,0,1] row_mask:0xf bank_mask:0xf
	s_delay_alu instid0(VALU_DEP_1) | instskip(NEXT) | instid1(VALU_DEP_1)
	v_add_f32_e32 v5, v5, v15
	v_div_scale_f32 v15, null, v16, v16, v5
	v_div_scale_f32 v19, vcc_lo, v5, v16, v5
	s_delay_alu instid0(VALU_DEP_2) | instskip(SKIP_2) | instid1(VALU_DEP_1)
	v_rcp_f32_e32 v17, v15
	s_waitcnt_depctr 0xfff
	v_fma_f32 v18, -v15, v17, 1.0
	v_fmac_f32_e32 v17, v18, v17
	s_delay_alu instid0(VALU_DEP_1) | instskip(NEXT) | instid1(VALU_DEP_1)
	v_mul_f32_e32 v18, v19, v17
	v_fma_f32 v20, -v15, v18, v19
	s_delay_alu instid0(VALU_DEP_1) | instskip(SKIP_1) | instid1(VALU_DEP_2)
	v_fmac_f32_e32 v18, v20, v17
	v_mov_b32_e32 v20, 0x2edbe6ff
	v_fma_f32 v15, -v15, v18, v19
	s_delay_alu instid0(VALU_DEP_1) | instskip(SKIP_2) | instid1(VALU_DEP_3)
	v_div_fmas_f32 v15, v15, v17, v18
	v_and_b32_e32 v18, 0xffff, v3
	v_lshrrev_b32_e32 v3, 16, v3
	v_div_fixup_f32 v5, v15, v16, v5
	s_delay_alu instid0(VALU_DEP_3) | instskip(NEXT) | instid1(VALU_DEP_3)
	v_cvt_f32_u32_e32 v18, v18
	v_cvt_f32_u32_e32 v3, v3
	s_delay_alu instid0(VALU_DEP_3) | instskip(NEXT) | instid1(VALU_DEP_1)
	v_cvt_f64_f32_e32 v[15:16], v5
	v_add_f64 v[15:16], v[15:16], s[24:25]
	s_delay_alu instid0(VALU_DEP_1) | instskip(SKIP_2) | instid1(VALU_DEP_2)
	v_cvt_f32_f64_e32 v5, v[15:16]
	v_and_b32_e32 v16, 0xffff, v1
	v_lshrrev_b32_e32 v1, 16, v1
	v_cvt_f32_u32_e32 v16, v16
	s_delay_alu instid0(VALU_DEP_2) | instskip(SKIP_2) | instid1(VALU_DEP_2)
	v_cvt_f32_u32_e32 v1, v1
	v_mul_f32_e32 v15, 0x4b800000, v5
	v_cmp_gt_f32_e32 vcc_lo, 0x800000, v5
	v_cndmask_b32_e32 v15, v5, v15, vcc_lo
	s_delay_alu instid0(VALU_DEP_1) | instskip(SKIP_2) | instid1(VALU_DEP_1)
	v_rsq_f32_e32 v15, v15
	s_waitcnt_depctr 0xfff
	v_mul_f32_e32 v21, 0x45800000, v15
	v_cndmask_b32_e32 v15, v15, v21, vcc_lo
	v_and_b32_e32 v17, 0xffff, v2
	v_lshrrev_b32_e32 v2, 16, v2
	v_and_b32_e32 v19, 0xffff, v4
	v_lshrrev_b32_e32 v4, 16, v4
	v_mul_f32_e32 v10, v15, v10
	s_delay_alu instid0(VALU_DEP_4) | instskip(NEXT) | instid1(VALU_DEP_4)
	v_cvt_f32_u32_e32 v2, v2
	v_cvt_f32_u32_e32 v19, v19
	s_delay_alu instid0(VALU_DEP_4) | instskip(NEXT) | instid1(VALU_DEP_3)
	v_cvt_f32_u32_e32 v4, v4
	v_dual_mul_f32 v10, v10, v2 :: v_dual_mul_f32 v7, v7, v15
	v_dual_mul_f32 v14, v15, v14 :: v_dual_lshlrev_b32 v5, 3, v0
	v_mul_f32_e32 v8, v8, v15
	v_mul_f32_e32 v22, v15, v12
	v_cvt_f32_u32_e32 v17, v17
	v_mul_f32_e32 v9, v15, v9
	v_dual_mul_f32 v21, v15, v11 :: v_dual_mul_f32 v4, v14, v4
	v_dual_mul_f32 v11, v7, v1 :: v_dual_and_b32 v14, 0x7fffffff, v10
	v_dual_mul_f32 v13, v15, v13 :: v_dual_mul_f32 v12, v8, v16
	v_mul_f32_e32 v8, v22, v3
	s_delay_alu instid0(VALU_DEP_3) | instskip(SKIP_1) | instid1(VALU_DEP_4)
	v_dual_mul_f32 v9, v9, v17 :: v_dual_and_b32 v2, 0x7fffffff, v11
	v_dual_mul_f32 v7, v21, v18 :: v_dual_and_b32 v18, 0x7fffffff, v4
	v_mul_f32_e32 v3, v13, v19
	v_and_b32_e32 v1, 0x7fffffff, v12
	;;#ASMSTART
	v_max3_f32 v1, v20, v1, v2

	;;#ASMEND
	v_and_b32_e32 v16, 0x7fffffff, v8
	v_and_b32_e32 v13, 0x7fffffff, v9
	;;#ASMSTART
	v_max3_f32 v1, v1, v13, v14

	;;#ASMEND
	v_and_b32_e32 v15, 0x7fffffff, v7
	v_and_b32_e32 v17, 0x7fffffff, v3
	;;#ASMSTART
	v_max3_f32 v1, v1, v15, v16

	;;#ASMEND
	;;#ASMSTART
	v_max3_f32 v13, v1, v17, v18

	;;#ASMEND
	s_cbranch_scc0 .LBB38_10
; %bb.4:
	s_ashr_i32 s7, s10, 31
	s_delay_alu instid0(SALU_CYCLE_1) | instskip(NEXT) | instid1(SALU_CYCLE_1)
	s_lshr_b32 s1, s7, 29
	s_add_i32 s1, s10, s1
	s_delay_alu instid0(SALU_CYCLE_1) | instskip(NEXT) | instid1(SALU_CYCLE_1)
	s_ashr_i32 s1, s1, 3
	s_cmp_lt_i32 s1, 8
	s_cbranch_scc1 .LBB38_11
; %bb.5:
	s_cmp_lt_i32 s1, 16
	s_cbranch_scc1 .LBB38_12
; %bb.6:
	;; [unrolled: 3-line block ×3, first 2 shown]
	v_mov_b32_e32 v1, v13
	s_cmp_eq_u32 s1, 32
	s_cbranch_scc0 .LBB38_9
; %bb.8:
	s_delay_alu instid0(VALU_DEP_1) | instskip(SKIP_1) | instid1(VALU_DEP_1)
	v_mov_b32_dpp v1, v13 quad_perm:[1,0,3,2] row_mask:0xf bank_mask:0xf
	s_mov_b32 s2, 0x76543210
	v_cmp_gt_f32_e32 vcc_lo, v13, v1
	v_cndmask_b32_e32 v1, v1, v13, vcc_lo
	s_delay_alu instid0(VALU_DEP_1) | instskip(NEXT) | instid1(VALU_DEP_1)
	v_mov_b32_dpp v2, v1 quad_perm:[2,3,0,1] row_mask:0xf bank_mask:0xf
	v_cmp_gt_f32_e32 vcc_lo, v1, v2
	v_cndmask_b32_e32 v1, v2, v1, vcc_lo
	s_delay_alu instid0(VALU_DEP_1) | instskip(NEXT) | instid1(VALU_DEP_1)
	v_mov_b32_dpp v2, v1 row_xmask:7 row_mask:0xf bank_mask:0xf
	v_cmp_gt_f32_e32 vcc_lo, v1, v2
	v_cndmask_b32_e32 v1, v2, v1, vcc_lo
	s_delay_alu instid0(VALU_DEP_1) | instskip(NEXT) | instid1(VALU_DEP_1)
	v_mov_b32_dpp v2, v1 row_xmask:15 row_mask:0xf bank_mask:0xf
	v_cmp_gt_f32_e32 vcc_lo, v1, v2
	v_cndmask_b32_e32 v1, v2, v1, vcc_lo
	s_delay_alu instid0(VALU_DEP_1) | instskip(NEXT) | instid1(VALU_DEP_1)
	v_permlanex16_b32 v2, v1, s2, 0xfedcba98 op_sel:[1,1]
	v_cmp_gt_f32_e32 vcc_lo, v1, v2
	v_cndmask_b32_e32 v1, v2, v1, vcc_lo
.LBB38_9:
	s_mov_b32 s2, 0
	s_branch .LBB38_14
.LBB38_10:
	s_mov_b32 s1, 0
                                        ; implicit-def: $vgpr14
                                        ; implicit-def: $vgpr1_vgpr2
	s_and_b32 vcc_lo, exec_lo, s31
	s_cbranch_vccnz .LBB38_38
	s_branch .LBB38_41
.LBB38_11:
                                        ; implicit-def: $vgpr1
	s_branch .LBB38_21
.LBB38_12:
                                        ; implicit-def: $vgpr1
	s_branch .LBB38_18
.LBB38_13:
	s_mov_b32 s2, -1
                                        ; implicit-def: $vgpr1
.LBB38_14:
	s_delay_alu instid0(SALU_CYCLE_1)
	s_and_not1_b32 vcc_lo, exec_lo, s2
	s_cbranch_vccnz .LBB38_17
; %bb.15:
	v_mov_b32_e32 v1, v13
	s_cmp_eq_u32 s1, 16
	s_cbranch_scc0 .LBB38_17
; %bb.16:
	s_delay_alu instid0(VALU_DEP_1) | instskip(NEXT) | instid1(VALU_DEP_1)
	v_mov_b32_dpp v1, v13 quad_perm:[1,0,3,2] row_mask:0xf bank_mask:0xf
	v_cmp_gt_f32_e32 vcc_lo, v13, v1
	v_cndmask_b32_e32 v1, v1, v13, vcc_lo
	s_delay_alu instid0(VALU_DEP_1) | instskip(NEXT) | instid1(VALU_DEP_1)
	v_mov_b32_dpp v2, v1 quad_perm:[2,3,0,1] row_mask:0xf bank_mask:0xf
	v_cmp_gt_f32_e32 vcc_lo, v1, v2
	v_cndmask_b32_e32 v1, v2, v1, vcc_lo
	s_delay_alu instid0(VALU_DEP_1) | instskip(NEXT) | instid1(VALU_DEP_1)
	v_mov_b32_dpp v2, v1 row_half_mirror row_mask:0xf bank_mask:0xf
	v_cmp_gt_f32_e32 vcc_lo, v1, v2
	v_cndmask_b32_e32 v1, v2, v1, vcc_lo
	s_delay_alu instid0(VALU_DEP_1) | instskip(NEXT) | instid1(VALU_DEP_1)
	v_mov_b32_dpp v2, v1 row_mirror row_mask:0xf bank_mask:0xf
	v_cmp_gt_f32_e32 vcc_lo, v1, v2
	v_cndmask_b32_e32 v1, v2, v1, vcc_lo
.LBB38_17:
	s_cbranch_execnz .LBB38_20
.LBB38_18:
	v_mov_b32_e32 v1, v13
	s_cmp_eq_u32 s1, 8
	s_cbranch_scc0 .LBB38_20
; %bb.19:
	s_delay_alu instid0(VALU_DEP_1) | instskip(NEXT) | instid1(VALU_DEP_1)
	v_mov_b32_dpp v1, v13 quad_perm:[1,0,3,2] row_mask:0xf bank_mask:0xf
	v_cmp_gt_f32_e32 vcc_lo, v13, v1
	v_cndmask_b32_e32 v1, v1, v13, vcc_lo
	s_delay_alu instid0(VALU_DEP_1) | instskip(NEXT) | instid1(VALU_DEP_1)
	v_mov_b32_dpp v2, v1 quad_perm:[2,3,0,1] row_mask:0xf bank_mask:0xf
	v_cmp_gt_f32_e32 vcc_lo, v1, v2
	v_cndmask_b32_e32 v1, v2, v1, vcc_lo
	s_delay_alu instid0(VALU_DEP_1) | instskip(NEXT) | instid1(VALU_DEP_1)
	v_mov_b32_dpp v2, v1 row_half_mirror row_mask:0xf bank_mask:0xf
	v_cmp_gt_f32_e32 vcc_lo, v1, v2
	v_cndmask_b32_e32 v1, v2, v1, vcc_lo
.LBB38_20:
	s_cbranch_execnz .LBB38_28
.LBB38_21:
	s_cmp_lt_i32 s1, 4
	s_cbranch_scc1 .LBB38_24
; %bb.22:
	v_mov_b32_e32 v1, v13
	s_cmp_eq_u32 s1, 4
	s_cbranch_scc0 .LBB38_25
; %bb.23:
	s_delay_alu instid0(VALU_DEP_1) | instskip(NEXT) | instid1(VALU_DEP_1)
	v_mov_b32_dpp v1, v13 quad_perm:[1,0,3,2] row_mask:0xf bank_mask:0xf
	v_cmp_gt_f32_e32 vcc_lo, v13, v1
	v_cndmask_b32_e32 v1, v1, v13, vcc_lo
	s_delay_alu instid0(VALU_DEP_1) | instskip(NEXT) | instid1(VALU_DEP_1)
	v_mov_b32_dpp v2, v1 quad_perm:[2,3,0,1] row_mask:0xf bank_mask:0xf
	v_cmp_gt_f32_e32 vcc_lo, v1, v2
	v_cndmask_b32_e32 v1, v2, v1, vcc_lo
	s_cbranch_execz .LBB38_26
	s_branch .LBB38_28
.LBB38_24:
                                        ; implicit-def: $vgpr1
	s_branch .LBB38_26
.LBB38_25:
	s_cbranch_execnz .LBB38_28
.LBB38_26:
	v_mov_b32_e32 v1, v13
	s_cmp_lg_u32 s1, 2
	s_cbranch_scc1 .LBB38_28
; %bb.27:
	s_delay_alu instid0(VALU_DEP_1) | instskip(NEXT) | instid1(VALU_DEP_1)
	v_mov_b32_dpp v1, v13 quad_perm:[1,0,3,2] row_mask:0xf bank_mask:0xf
	v_cmp_gt_f32_e32 vcc_lo, v13, v1
	v_cndmask_b32_e32 v1, v1, v13, vcc_lo
.LBB38_28:
	v_cvt_f32_u32_e32 v2, s1
	s_sub_i32 s2, 0, s1
	s_mov_b32 s31, 0
	s_delay_alu instid0(VALU_DEP_1) | instskip(SKIP_2) | instid1(VALU_DEP_1)
	v_rcp_iflag_f32_e32 v2, v2
	s_waitcnt_depctr 0xfff
	v_mul_f32_e32 v2, 0x4f7ffffe, v2
	v_cvt_u32_f32_e32 v2, v2
	s_delay_alu instid0(VALU_DEP_1) | instskip(NEXT) | instid1(VALU_DEP_1)
	v_mul_lo_u32 v14, s2, v2
	v_mul_hi_u32 v14, v2, v14
	s_delay_alu instid0(VALU_DEP_1) | instskip(NEXT) | instid1(VALU_DEP_1)
	v_add_nc_u32_e32 v2, v2, v14
	v_mul_hi_u32 v2, v0, v2
	s_delay_alu instid0(VALU_DEP_1) | instskip(NEXT) | instid1(VALU_DEP_1)
	v_mul_lo_u32 v14, v2, s1
	v_sub_nc_u32_e32 v14, v0, v14
	s_delay_alu instid0(VALU_DEP_1) | instskip(SKIP_1) | instid1(VALU_DEP_2)
	v_subrev_nc_u32_e32 v16, s1, v14
	v_cmp_le_u32_e32 vcc_lo, s1, v14
	v_dual_cndmask_b32 v14, v14, v16 :: v_dual_add_nc_u32 v15, 1, v2
	s_delay_alu instid0(VALU_DEP_1) | instskip(NEXT) | instid1(VALU_DEP_2)
	v_cndmask_b32_e32 v2, v2, v15, vcc_lo
	v_cmp_le_u32_e32 vcc_lo, s1, v14
	s_delay_alu instid0(VALU_DEP_2) | instskip(NEXT) | instid1(VALU_DEP_1)
	v_dual_mul_f32 v14, 0x3c010204, v1 :: v_dual_add_nc_u32 v15, 1, v2
	v_cndmask_b32_e32 v15, v2, v15, vcc_lo
	v_cmp_gt_u32_e32 vcc_lo, s5, v5
	s_delay_alu instid0(VALU_DEP_2) | instskip(NEXT) | instid1(VALU_DEP_1)
	v_mul_lo_u32 v2, v15, s1
	v_sub_nc_u32_e32 v2, v0, v2
	s_delay_alu instid0(VALU_DEP_1) | instskip(NEXT) | instid1(VALU_DEP_1)
	v_cmp_eq_u32_e64 s1, 0, v2
                                        ; implicit-def: $vgpr1_vgpr2
	s_and_b32 s2, s1, vcc_lo
	s_mov_b32 s1, 0
	s_and_saveexec_b32 s3, s2
	s_delay_alu instid0(SALU_CYCLE_1)
	s_xor_b32 s8, exec_lo, s3
	s_cbranch_execz .LBB38_37
; %bb.29:
	s_bitcmp0_b32 s11, 0
	s_mov_b32 s6, 0
	s_cbranch_scc0 .LBB38_34
; %bb.30:
	s_ashr_i32 s1, s5, 31
	s_mul_hi_u32 s3, s5, s34
	s_mul_i32 s1, s1, s34
	s_mul_i32 s2, s5, s34
	s_add_i32 s3, s3, s1
	s_mov_b32 s11, s7
	s_delay_alu instid0(SALU_CYCLE_1) | instskip(NEXT) | instid1(SALU_CYCLE_1)
	s_or_b64 s[14:15], s[2:3], s[10:11]
	s_mov_b32 s7, s15
	s_delay_alu instid0(SALU_CYCLE_1)
	s_cmp_lg_u64 s[6:7], 0
	s_cbranch_scc0 .LBB38_45
; %bb.31:
	s_add_u32 s14, s10, s11
	s_mov_b32 s6, s11
	s_mov_b32 s7, s11
	s_addc_u32 s15, s11, s11
	s_delay_alu instid0(SALU_CYCLE_1) | instskip(NEXT) | instid1(SALU_CYCLE_1)
	s_xor_b64 s[14:15], s[14:15], s[6:7]
	v_cvt_f32_u32_e32 v1, s14
	v_cvt_f32_u32_e32 v2, s15
	s_sub_u32 s18, 0, s14
	s_subb_u32 s19, 0, s15
	s_delay_alu instid0(VALU_DEP_1) | instskip(NEXT) | instid1(VALU_DEP_1)
	v_fmamk_f32 v1, v2, 0x4f800000, v1
	v_rcp_f32_e32 v1, v1
	s_waitcnt_depctr 0xfff
	v_mul_f32_e32 v1, 0x5f7ffffc, v1
	s_delay_alu instid0(VALU_DEP_1) | instskip(NEXT) | instid1(VALU_DEP_1)
	v_mul_f32_e32 v2, 0x2f800000, v1
	v_trunc_f32_e32 v2, v2
	s_delay_alu instid0(VALU_DEP_1) | instskip(SKIP_1) | instid1(VALU_DEP_2)
	v_fmamk_f32 v1, v2, 0xcf800000, v1
	v_cvt_u32_f32_e32 v2, v2
	v_cvt_u32_f32_e32 v1, v1
	s_delay_alu instid0(VALU_DEP_2) | instskip(NEXT) | instid1(VALU_DEP_2)
	v_readfirstlane_b32 s1, v2
	v_readfirstlane_b32 s11, v1
	s_delay_alu instid0(VALU_DEP_2) | instskip(NEXT) | instid1(VALU_DEP_1)
	s_mul_i32 s20, s18, s1
	s_mul_hi_u32 s22, s18, s11
	s_mul_i32 s21, s19, s11
	s_add_i32 s20, s22, s20
	s_mul_i32 s23, s18, s11
	s_add_i32 s20, s20, s21
	s_mul_hi_u32 s22, s11, s23
	s_mul_hi_u32 s24, s1, s23
	s_mul_i32 s21, s1, s23
	s_mul_hi_u32 s23, s11, s20
	s_mul_i32 s11, s11, s20
	s_mul_hi_u32 s25, s1, s20
	s_add_u32 s11, s22, s11
	s_addc_u32 s22, 0, s23
	s_add_u32 s11, s11, s21
	s_mul_i32 s20, s1, s20
	s_addc_u32 s11, s22, s24
	s_addc_u32 s21, s25, 0
	s_add_u32 s11, s11, s20
	s_addc_u32 s20, 0, s21
	v_add_co_u32 v1, s11, v1, s11
	s_delay_alu instid0(VALU_DEP_1) | instskip(SKIP_1) | instid1(VALU_DEP_1)
	s_cmp_lg_u32 s11, 0
	s_addc_u32 s1, s1, s20
	v_readfirstlane_b32 s11, v1
	s_mul_i32 s20, s18, s1
	s_delay_alu instid0(VALU_DEP_1)
	s_mul_hi_u32 s21, s18, s11
	s_mul_i32 s19, s19, s11
	s_add_i32 s20, s21, s20
	s_mul_i32 s18, s18, s11
	s_add_i32 s20, s20, s19
	s_mul_hi_u32 s21, s1, s18
	s_mul_i32 s22, s1, s18
	s_mul_hi_u32 s18, s11, s18
	s_mul_hi_u32 s23, s11, s20
	s_mul_i32 s11, s11, s20
	s_mul_hi_u32 s19, s1, s20
	s_add_u32 s11, s18, s11
	s_addc_u32 s18, 0, s23
	s_add_u32 s11, s11, s22
	s_mul_i32 s20, s1, s20
	s_addc_u32 s11, s18, s21
	s_addc_u32 s18, s19, 0
	s_add_u32 s11, s11, s20
	s_addc_u32 s18, 0, s18
	v_add_co_u32 v1, s11, v1, s11
	s_delay_alu instid0(VALU_DEP_1) | instskip(SKIP_2) | instid1(SALU_CYCLE_1)
	s_cmp_lg_u32 s11, 0
	s_addc_u32 s1, s1, s18
	s_ashr_i32 s18, s3, 31
	s_add_u32 s20, s2, s18
	s_addc_u32 s21, s3, s18
	v_readfirstlane_b32 s3, v1
	s_mov_b32 s19, s18
	s_delay_alu instid0(SALU_CYCLE_1) | instskip(NEXT) | instid1(SALU_CYCLE_1)
	s_xor_b64 s[20:21], s[20:21], s[18:19]
	s_mul_i32 s22, s20, s1
	s_delay_alu instid0(VALU_DEP_1)
	s_mul_hi_u32 s23, s20, s3
	s_mul_hi_u32 s11, s20, s1
	;; [unrolled: 1-line block ×3, first 2 shown]
	s_mul_i32 s3, s21, s3
	s_add_u32 s22, s23, s22
	s_addc_u32 s11, 0, s11
	s_mul_hi_u32 s24, s21, s1
	s_add_u32 s3, s22, s3
	s_mul_i32 s1, s21, s1
	s_addc_u32 s3, s11, s25
	s_addc_u32 s11, s24, 0
	s_add_u32 s3, s3, s1
	s_addc_u32 s11, 0, s11
	s_mul_i32 s24, s14, s3
	s_mul_hi_u32 s1, s14, s3
	s_mul_i32 s23, s14, s11
	v_sub_co_u32 v1, s20, s20, s24
	s_mul_i32 s22, s15, s3
	s_add_i32 s1, s1, s23
	s_delay_alu instid0(SALU_CYCLE_1) | instskip(NEXT) | instid1(VALU_DEP_1)
	s_add_i32 s1, s1, s22
	v_sub_co_u32 v2, s23, v1, s14
	s_sub_i32 s22, s21, s1
	s_cmp_lg_u32 s20, 0
	s_subb_u32 s22, s22, s15
	s_cmp_lg_u32 s23, 0
	v_cmp_le_u32_e32 vcc_lo, s14, v2
	s_subb_u32 s22, s22, 0
	s_delay_alu instid0(SALU_CYCLE_1)
	s_cmp_ge_u32 s22, s15
	v_cndmask_b32_e64 v2, 0, -1, vcc_lo
	s_cselect_b32 s23, -1, 0
	s_cmp_eq_u32 s22, s15
	s_cselect_b32 vcc_lo, -1, 0
	s_add_u32 s22, s3, 1
	v_cndmask_b32_e32 v2, s23, v2, vcc_lo
	s_addc_u32 s23, s11, 0
	s_add_u32 s24, s3, 2
	s_addc_u32 s25, s11, 0
	s_cmp_lg_u32 s20, 0
	v_cmp_le_u32_e32 vcc_lo, s14, v1
	s_subb_u32 s1, s21, s1
	v_mov_b32_e32 v16, s24
	s_cmp_ge_u32 s1, s15
	v_cndmask_b32_e64 v1, 0, -1, vcc_lo
	s_cselect_b32 s14, -1, 0
	s_cmp_eq_u32 s1, s15
	v_cmp_ne_u32_e32 vcc_lo, 0, v2
	v_mov_b32_e32 v2, s25
	s_cselect_b32 s1, -1, 0
	s_xor_b64 s[6:7], s[18:19], s[6:7]
	v_cndmask_b32_e64 v1, s14, v1, s1
	v_cndmask_b32_e32 v16, s22, v16, vcc_lo
	v_cndmask_b32_e32 v2, s23, v2, vcc_lo
	s_delay_alu instid0(VALU_DEP_3) | instskip(NEXT) | instid1(VALU_DEP_2)
	v_cmp_ne_u32_e32 vcc_lo, 0, v1
	v_cndmask_b32_e32 v1, s11, v2, vcc_lo
	s_delay_alu instid0(VALU_DEP_4) | instskip(NEXT) | instid1(VALU_DEP_2)
	v_cndmask_b32_e32 v2, s3, v16, vcc_lo
	v_xor_b32_e32 v16, s7, v1
	s_delay_alu instid0(VALU_DEP_2) | instskip(NEXT) | instid1(VALU_DEP_1)
	v_xor_b32_e32 v2, s6, v2
	v_sub_co_u32 v1, vcc_lo, v2, s6
	s_delay_alu instid0(VALU_DEP_3)
	v_subrev_co_ci_u32_e32 v2, vcc_lo, s7, v16, vcc_lo
	s_cbranch_execnz .LBB38_33
.LBB38_32:
	v_cvt_f32_u32_e32 v1, s10
	s_sub_i32 s3, 0, s10
	s_delay_alu instid0(VALU_DEP_1) | instskip(SKIP_2) | instid1(VALU_DEP_1)
	v_rcp_iflag_f32_e32 v1, v1
	s_waitcnt_depctr 0xfff
	v_mul_f32_e32 v1, 0x4f7ffffe, v1
	v_cvt_u32_f32_e32 v1, v1
	s_delay_alu instid0(VALU_DEP_1) | instskip(NEXT) | instid1(VALU_DEP_1)
	v_readfirstlane_b32 s1, v1
	s_mul_i32 s3, s3, s1
	s_delay_alu instid0(SALU_CYCLE_1) | instskip(NEXT) | instid1(SALU_CYCLE_1)
	s_mul_hi_u32 s3, s1, s3
	s_add_i32 s1, s1, s3
	s_delay_alu instid0(SALU_CYCLE_1) | instskip(NEXT) | instid1(SALU_CYCLE_1)
	s_mul_hi_u32 s1, s2, s1
	s_mul_i32 s3, s1, s10
	s_delay_alu instid0(SALU_CYCLE_1)
	s_sub_i32 s2, s2, s3
	s_add_i32 s3, s1, 1
	s_sub_i32 s6, s2, s10
	s_cmp_ge_u32 s2, s10
	s_cselect_b32 s1, s3, s1
	s_cselect_b32 s2, s6, s2
	s_add_i32 s6, s1, 1
	s_cmp_ge_u32 s2, s10
	s_mov_b32 s3, 0
	s_cselect_b32 s2, s6, s1
	s_delay_alu instid0(SALU_CYCLE_1)
	v_dual_mov_b32 v1, s2 :: v_dual_mov_b32 v2, s3
.LBB38_33:
	s_delay_alu instid0(VALU_DEP_1) | instskip(NEXT) | instid1(VALU_DEP_2)
	v_add_co_u32 v1, vcc_lo, v1, v15
	v_add_co_ci_u32_e32 v2, vcc_lo, 0, v2, vcc_lo
	s_branch .LBB38_36
.LBB38_34:
                                        ; implicit-def: $vgpr1_vgpr2
	s_cbranch_execz .LBB38_36
; %bb.35:
	v_mul_lo_u32 v1, v15, s4
	s_delay_alu instid0(VALU_DEP_1) | instskip(SKIP_1) | instid1(VALU_DEP_2)
	v_ashrrev_i32_e32 v2, 31, v1
	v_add_co_u32 v1, vcc_lo, v1, s34
	v_add_co_ci_u32_e32 v2, vcc_lo, 0, v2, vcc_lo
.LBB38_36:
	s_mov_b32 s1, exec_lo
.LBB38_37:
	s_or_b32 exec_lo, exec_lo, s8
	s_delay_alu instid0(SALU_CYCLE_1)
	s_and_b32 vcc_lo, exec_lo, s31
	s_cbranch_vccz .LBB38_41
.LBB38_38:
	v_mov_b32_dpp v1, v13 quad_perm:[1,0,3,2] row_mask:0xf bank_mask:0xf
	s_delay_alu instid0(VALU_DEP_1) | instskip(SKIP_1) | instid1(VALU_DEP_1)
	v_cmp_gt_f32_e32 vcc_lo, v13, v1
	v_cndmask_b32_e32 v1, v1, v13, vcc_lo
	v_mov_b32_dpp v2, v1 quad_perm:[2,3,0,1] row_mask:0xf bank_mask:0xf
	s_delay_alu instid0(VALU_DEP_1) | instskip(SKIP_1) | instid1(VALU_DEP_1)
	v_cmp_gt_f32_e32 vcc_lo, v1, v2
	v_cndmask_b32_e32 v1, v2, v1, vcc_lo
	v_mov_b32_dpp v2, v1 row_xmask:7 row_mask:0xf bank_mask:0xf
	s_delay_alu instid0(VALU_DEP_1) | instskip(SKIP_1) | instid1(VALU_DEP_1)
	v_cmp_gt_f32_e32 vcc_lo, v1, v2
	v_cndmask_b32_e32 v1, v2, v1, vcc_lo
	v_mov_b32_dpp v2, v1 row_xmask:15 row_mask:0xf bank_mask:0xf
	s_delay_alu instid0(VALU_DEP_1)
	v_cmp_gt_f32_e32 vcc_lo, v1, v2
	s_and_saveexec_b32 s1, s0
	s_cbranch_execz .LBB38_40
; %bb.39:
	v_cndmask_b32_e32 v1, v2, v1, vcc_lo
	v_lshrrev_b32_e32 v2, 3, v0
	s_mov_b32 s0, 0x76543210
	s_delay_alu instid0(VALU_DEP_1) | instskip(NEXT) | instid1(VALU_DEP_3)
	v_and_b32_e32 v2, 0x7c, v2
	v_permlanex16_b32 v13, v1, s0, 0xfedcba98 op_sel:[1,1]
	s_delay_alu instid0(VALU_DEP_1)
	v_cmp_gt_f32_e32 vcc_lo, v1, v13
	v_cndmask_b32_e32 v1, v13, v1, vcc_lo
	ds_store_b32 v2, v1
.LBB38_40:
	s_or_b32 exec_lo, exec_lo, s1
	s_waitcnt lgkmcnt(0)
	s_barrier
	buffer_gl0_inv
	ds_load_b32 v1, v6
	v_cmp_eq_u32_e64 s1, 0, v0
	s_waitcnt lgkmcnt(0)
	v_mov_b32_dpp v2, v1 quad_perm:[1,0,3,2] row_mask:0xf bank_mask:0xf
	s_delay_alu instid0(VALU_DEP_1) | instskip(SKIP_1) | instid1(VALU_DEP_1)
	v_cmp_gt_f32_e32 vcc_lo, v1, v2
	v_cndmask_b32_e32 v1, v2, v1, vcc_lo
	v_mov_b32_dpp v2, v1 quad_perm:[2,3,0,1] row_mask:0xf bank_mask:0xf
	s_delay_alu instid0(VALU_DEP_1) | instskip(SKIP_1) | instid1(VALU_DEP_1)
	v_cmp_gt_f32_e32 vcc_lo, v1, v2
	v_cndmask_b32_e32 v1, v2, v1, vcc_lo
	v_dual_mul_f32 v14, 0x3c010204, v1 :: v_dual_mov_b32 v1, s34
	v_mov_b32_e32 v2, s35
.LBB38_41:
	s_and_saveexec_b32 s0, s1
	s_cbranch_execz .LBB38_43
; %bb.42:
	s_delay_alu instid0(VALU_DEP_1) | instskip(NEXT) | instid1(VALU_DEP_1)
	v_lshlrev_b64 v[0:1], 2, v[1:2]
	v_add_co_u32 v0, vcc_lo, s16, v0
	s_delay_alu instid0(VALU_DEP_2)
	v_add_co_ci_u32_e32 v1, vcc_lo, s17, v1, vcc_lo
	global_store_b32 v[0:1], v14, off
.LBB38_43:
	s_or_b32 exec_lo, exec_lo, s0
	;;#ASMSTART
	v_rcp_f32 v0, v14
	;;#ASMEND
	v_mul_f32_e32 v7, v7, v0
	v_mul_f32_e32 v1, v12, v0
	;; [unrolled: 1-line block ×4, first 2 shown]
	s_add_i32 s0, s5, 3
	v_cvt_i32_f32_e32 v7, v7
	v_mul_f32_e32 v2, v11, v0
	v_cvt_i32_f32_e32 v1, v1
	v_mul_f32_e32 v6, v9, v0
	v_cvt_i32_f32_e32 v4, v4
	v_and_b32_e32 v7, 0xff, v7
	v_cvt_i32_f32_e32 v2, v2
	v_and_b32_e32 v1, 0xff, v1
	s_ashr_i32 s1, s0, 31
	v_lshlrev_b16 v4, 8, v4
	s_lshr_b32 s1, s1, 30
	v_lshlrev_b16 v2, 8, v2
	s_add_i32 s0, s0, s1
	s_ashr_i32 s1, s9, 31
	s_and_b32 s2, s0, -4
	s_mul_hi_u32 s0, s9, s34
	v_or_b32_e32 v1, v1, v2
	v_mul_f32_e32 v9, v10, v0
	v_mul_f32_e32 v0, v3, v0
	v_cvt_i32_f32_e32 v3, v6
	s_mul_i32 s1, s1, s34
	s_mul_i32 s3, s9, s34
	s_add_i32 s1, s0, s1
	v_cvt_i32_f32_e32 v0, v0
	v_and_b32_e32 v3, 0xff, v3
	v_cvt_i32_f32_e32 v6, v8
	s_add_u32 s0, s12, s3
	s_addc_u32 s1, s13, s1
	v_and_b32_e32 v0, 0xff, v0
	s_and_b32 s1, s1, 0xffff
	v_lshlrev_b16 v6, 8, v6
	s_mov_b32 s3, -1
	s_delay_alu instid0(VALU_DEP_2) | instskip(SKIP_3) | instid1(VALU_DEP_4)
	v_or_b32_e32 v0, v0, v4
	v_and_b32_e32 v4, 0xffff, v1
	v_cvt_i32_f32_e32 v8, v9
	v_or_b32_e32 v6, v7, v6
	v_lshlrev_b32_e32 v0, 16, v0
	s_delay_alu instid0(VALU_DEP_3) | instskip(NEXT) | instid1(VALU_DEP_1)
	v_lshlrev_b16 v8, 8, v8
	v_or_b32_e32 v2, v3, v8
	s_delay_alu instid0(VALU_DEP_4) | instskip(NEXT) | instid1(VALU_DEP_2)
	v_and_b32_e32 v3, 0xffff, v6
	v_lshlrev_b32_e32 v2, 16, v2
	s_delay_alu instid0(VALU_DEP_2) | instskip(NEXT) | instid1(VALU_DEP_2)
	v_or_b32_e32 v1, v3, v0
	v_or_b32_e32 v0, v4, v2
	buffer_store_b64 v[0:1], v5, s[0:3], 0 offen
	;;#ASMSTART
	s_nop 0
	;;#ASMEND
.LBB38_44:
	s_nop 0
	s_sendmsg sendmsg(MSG_DEALLOC_VGPRS)
	s_endpgm
.LBB38_45:
                                        ; implicit-def: $vgpr1_vgpr2
	s_branch .LBB38_32
	.section	.rodata,"a",@progbits
	.p2align	6, 0x0
	.amdhsa_kernel _ZN5aiter24add_rmsnorm_quant_kernelItaLi128ELi8ELb1ELb1ELb1ELi1EEEvPT0_PT_PfS4_S4_S4_diiiiiiib
		.amdhsa_group_segment_fixed_size 32
		.amdhsa_private_segment_fixed_size 0
		.amdhsa_kernarg_size 88
		.amdhsa_user_sgpr_count 15
		.amdhsa_user_sgpr_dispatch_ptr 0
		.amdhsa_user_sgpr_queue_ptr 0
		.amdhsa_user_sgpr_kernarg_segment_ptr 1
		.amdhsa_user_sgpr_dispatch_id 0
		.amdhsa_user_sgpr_private_segment_size 0
		.amdhsa_wavefront_size32 1
		.amdhsa_uses_dynamic_stack 0
		.amdhsa_enable_private_segment 0
		.amdhsa_system_sgpr_workgroup_id_x 1
		.amdhsa_system_sgpr_workgroup_id_y 0
		.amdhsa_system_sgpr_workgroup_id_z 0
		.amdhsa_system_sgpr_workgroup_info 0
		.amdhsa_system_vgpr_workitem_id 0
		.amdhsa_next_free_vgpr 23
		.amdhsa_next_free_sgpr 36
		.amdhsa_reserve_vcc 1
		.amdhsa_float_round_mode_32 0
		.amdhsa_float_round_mode_16_64 0
		.amdhsa_float_denorm_mode_32 3
		.amdhsa_float_denorm_mode_16_64 3
		.amdhsa_dx10_clamp 1
		.amdhsa_ieee_mode 1
		.amdhsa_fp16_overflow 0
		.amdhsa_workgroup_processor_mode 1
		.amdhsa_memory_ordered 1
		.amdhsa_forward_progress 0
		.amdhsa_shared_vgpr_count 0
		.amdhsa_exception_fp_ieee_invalid_op 0
		.amdhsa_exception_fp_denorm_src 0
		.amdhsa_exception_fp_ieee_div_zero 0
		.amdhsa_exception_fp_ieee_overflow 0
		.amdhsa_exception_fp_ieee_underflow 0
		.amdhsa_exception_fp_ieee_inexact 0
		.amdhsa_exception_int_div_zero 0
	.end_amdhsa_kernel
	.section	.text._ZN5aiter24add_rmsnorm_quant_kernelItaLi128ELi8ELb1ELb1ELb1ELi1EEEvPT0_PT_PfS4_S4_S4_diiiiiiib,"axG",@progbits,_ZN5aiter24add_rmsnorm_quant_kernelItaLi128ELi8ELb1ELb1ELb1ELi1EEEvPT0_PT_PfS4_S4_S4_diiiiiiib,comdat
.Lfunc_end38:
	.size	_ZN5aiter24add_rmsnorm_quant_kernelItaLi128ELi8ELb1ELb1ELb1ELi1EEEvPT0_PT_PfS4_S4_S4_diiiiiiib, .Lfunc_end38-_ZN5aiter24add_rmsnorm_quant_kernelItaLi128ELi8ELb1ELb1ELb1ELi1EEEvPT0_PT_PfS4_S4_S4_diiiiiiib
                                        ; -- End function
	.section	.AMDGPU.csdata,"",@progbits
; Kernel info:
; codeLenInByte = 3512
; NumSgprs: 38
; NumVgprs: 23
; ScratchSize: 0
; MemoryBound: 0
; FloatMode: 240
; IeeeMode: 1
; LDSByteSize: 32 bytes/workgroup (compile time only)
; SGPRBlocks: 4
; VGPRBlocks: 2
; NumSGPRsForWavesPerEU: 38
; NumVGPRsForWavesPerEU: 23
; Occupancy: 16
; WaveLimiterHint : 0
; COMPUTE_PGM_RSRC2:SCRATCH_EN: 0
; COMPUTE_PGM_RSRC2:USER_SGPR: 15
; COMPUTE_PGM_RSRC2:TRAP_HANDLER: 0
; COMPUTE_PGM_RSRC2:TGID_X_EN: 1
; COMPUTE_PGM_RSRC2:TGID_Y_EN: 0
; COMPUTE_PGM_RSRC2:TGID_Z_EN: 0
; COMPUTE_PGM_RSRC2:TIDIG_COMP_CNT: 0
	.section	.text._ZN5aiter24add_rmsnorm_quant_kernelIDF16_aLi128ELi8ELb1ELb1ELb0ELi1EEEvPT0_PT_PfS4_S4_S4_diiiiiiib,"axG",@progbits,_ZN5aiter24add_rmsnorm_quant_kernelIDF16_aLi128ELi8ELb1ELb1ELb0ELi1EEEvPT0_PT_PfS4_S4_S4_diiiiiiib,comdat
	.protected	_ZN5aiter24add_rmsnorm_quant_kernelIDF16_aLi128ELi8ELb1ELb1ELb0ELi1EEEvPT0_PT_PfS4_S4_S4_diiiiiiib ; -- Begin function _ZN5aiter24add_rmsnorm_quant_kernelIDF16_aLi128ELi8ELb1ELb1ELb0ELi1EEEvPT0_PT_PfS4_S4_S4_diiiiiiib
	.globl	_ZN5aiter24add_rmsnorm_quant_kernelIDF16_aLi128ELi8ELb1ELb1ELb0ELi1EEEvPT0_PT_PfS4_S4_S4_diiiiiiib
	.p2align	8
	.type	_ZN5aiter24add_rmsnorm_quant_kernelIDF16_aLi128ELi8ELb1ELb1ELb0ELi1EEEvPT0_PT_PfS4_S4_S4_diiiiiiib,@function
_ZN5aiter24add_rmsnorm_quant_kernelIDF16_aLi128ELi8ELb1ELb1ELb0ELi1EEEvPT0_PT_PfS4_S4_S4_diiiiiiib: ; @_ZN5aiter24add_rmsnorm_quant_kernelIDF16_aLi128ELi8ELb1ELb1ELb0ELi1EEEvPT0_PT_PfS4_S4_S4_diiiiiiib
; %bb.0:
	s_load_b256 s[4:11], s[0:1], 0x38
	s_mov_b32 s34, s15
	s_mov_b32 s35, 0
	s_waitcnt lgkmcnt(0)
	s_ashr_i32 s3, s4, 31
	s_mov_b32 s2, s4
	s_delay_alu instid0(SALU_CYCLE_1) | instskip(NEXT) | instid1(VALU_DEP_1)
	v_cmp_ge_i64_e64 s2, s[34:35], s[2:3]
	s_and_b32 vcc_lo, exec_lo, s2
	s_cbranch_vccnz .LBB39_44
; %bb.1:
	s_clause 0x1
	s_load_b256 s[12:19], s[0:1], 0x0
	s_load_b256 s[20:27], s[0:1], 0x20
	s_ashr_i32 s1, s6, 31
	s_mul_hi_u32 s2, s6, s34
	s_mul_i32 s1, s1, s34
	s_mul_i32 s0, s6, s34
	s_add_i32 s1, s2, s1
	s_mul_hi_u32 s3, s7, s34
	s_lshl_b64 s[0:1], s[0:1], 1
	s_mul_i32 s2, s7, s34
	v_lshlrev_b32_e32 v19, 4, v0
	s_mov_b32 s31, -1
	v_and_b32_e32 v20, 31, v0
	s_waitcnt lgkmcnt(0)
	s_add_u32 s28, s18, s0
	s_addc_u32 s0, s19, s1
	s_add_i32 s6, s5, 1
	s_ashr_i32 s7, s7, 31
	s_lshr_b32 s18, s6, 31
	s_mul_i32 s7, s7, s34
	s_add_i32 s6, s6, s18
	s_and_b32 s29, s0, 0xffff
	s_lshl_b32 s0, s6, 1
	s_add_i32 s3, s3, s7
	s_and_b32 s30, s0, -4
	s_lshl_b64 s[2:3], s[2:3], 1
	s_and_b32 s1, s23, 0xffff
	buffer_load_b128 v[9:12], v19, s[28:31], 0 offen glc slc
	s_add_u32 s28, s20, s2
	s_addc_u32 s0, s21, s3
	s_mov_b32 s3, s31
	s_and_b32 s29, s0, 0xffff
	s_mov_b32 s0, s22
	buffer_load_b128 v[13:16], v19, s[28:31], 0 offen glc slc
	s_mov_b32 s2, s30
	s_waitcnt vmcnt(1)
	v_cvt_f32_f16_e32 v8, v9
	v_lshrrev_b32_e32 v5, 16, v9
	v_cvt_f32_f16_e32 v9, v10
	s_waitcnt vmcnt(0)
	v_lshrrev_b32_e32 v6, 16, v13
	v_cvt_f32_f16_e32 v13, v13
	v_cvt_f32_f16_e32 v5, v5
	s_delay_alu instid0(VALU_DEP_3) | instskip(NEXT) | instid1(VALU_DEP_3)
	v_cvt_f32_f16_e32 v6, v6
	v_add_f32_e32 v8, v8, v13
	buffer_load_b128 v[1:4], v19, s[0:3], 0 offen
	v_cvt_f32_f16_e32 v13, v11
	s_ashr_i32 s0, s8, 31
	v_add_f32_e32 v7, v5, v6
	v_lshrrev_b32_e32 v5, 16, v10
	v_cvt_f32_f16_e32 v6, v14
	v_lshrrev_b32_e32 v10, 16, v14
	v_lshrrev_b32_e32 v14, 16, v15
	s_mul_hi_u32 s1, s8, s34
	v_cvt_f32_f16_e32 v5, v5
	v_add_f32_e32 v9, v9, v6
	v_cvt_f32_f16_e32 v10, v10
	v_mul_f32_e32 v17, v7, v7
	v_lshrrev_b32_e32 v6, 16, v11
	v_cvt_f32_f16_e32 v11, v15
	v_cvt_f32_f16_e32 v14, v14
	v_add_f32_e32 v10, v5, v10
	v_cvt_f32_f16_e32 v15, v16
	v_cvt_f32_f16_e32 v6, v6
	v_fmac_f32_e32 v17, v8, v8
	v_add_f32_e32 v11, v13, v11
	v_lshrrev_b32_e32 v13, 16, v12
	v_lshrrev_b32_e32 v16, 16, v16
	v_cvt_f32_f16_e32 v5, v12
	v_add_f32_e32 v12, v6, v14
	s_mul_i32 s2, s0, s34
	v_cvt_f32_f16_e32 v6, v13
	v_cvt_f32_f16_e32 v14, v16
	v_fmac_f32_e32 v17, v9, v9
	v_add_f32_e32 v13, v5, v15
	v_cvt_f16_f32_e32 v15, v9
	v_cvt_f16_f32_e32 v16, v11
	v_add_f32_e32 v14, v6, v14
	v_fmac_f32_e32 v17, v10, v10
	v_cvt_f16_f32_e32 v22, v12
	v_cvt_f16_f32_e32 v23, v10
	;; [unrolled: 1-line block ×4, first 2 shown]
	v_fmac_f32_e32 v17, v11, v11
	s_mul_i32 s0, s8, s34
	s_add_i32 s1, s1, s2
	s_delay_alu instid0(SALU_CYCLE_1) | instskip(NEXT) | instid1(VALU_DEP_1)
	s_lshl_b64 s[0:1], s[0:1], 1
	v_fmac_f32_e32 v17, v12, v12
	s_add_u32 s28, s14, s0
	v_cmp_eq_u32_e64 s0, 31, v20
	s_addc_u32 s1, s15, s1
	s_delay_alu instid0(VALU_DEP_2) | instskip(SKIP_1) | instid1(VALU_DEP_1)
	v_fmac_f32_e32 v17, v13, v13
	s_and_b32 s29, s1, 0xffff
	v_fmac_f32_e32 v17, v14, v14
	s_delay_alu instid0(VALU_DEP_1) | instskip(NEXT) | instid1(VALU_DEP_1)
	v_mov_b32_dpp v5, v17 quad_perm:[1,0,3,2] row_mask:0xf bank_mask:0xf
	v_add_f32_e32 v5, v17, v5
	v_cvt_f16_f32_e32 v17, v13
	s_delay_alu instid0(VALU_DEP_2) | instskip(NEXT) | instid1(VALU_DEP_1)
	v_mov_b32_dpp v6, v5 quad_perm:[2,3,0,1] row_mask:0xf bank_mask:0xf
	v_add_f32_e32 v5, v5, v6
	v_cvt_f16_f32_e32 v6, v8
	s_delay_alu instid0(VALU_DEP_2) | instskip(NEXT) | instid1(VALU_DEP_1)
	v_mov_b32_dpp v18, v5 row_xmask:7 row_mask:0xf bank_mask:0xf
	v_add_f32_e32 v5, v5, v18
	v_pack_b32_f16 v18, v17, v21
	v_pack_b32_f16 v17, v16, v22
	;; [unrolled: 1-line block ×4, first 2 shown]
	v_mov_b32_dpp v6, v5 row_xmask:15 row_mask:0xf bank_mask:0xf
	buffer_store_b128 v[15:18], v19, s[28:31], 0 offen glc slc
	;;#ASMSTART
	s_nop 0
	;;#ASMEND
	s_and_saveexec_b32 s1, s0
	s_cbranch_execz .LBB39_3
; %bb.2:
	v_add_f32_e32 v5, v5, v6
	s_mov_b32 s2, 0x76543210
	v_lshrrev_b32_e32 v6, 3, v0
	s_delay_alu instid0(VALU_DEP_2) | instskip(NEXT) | instid1(VALU_DEP_1)
	v_permlanex16_b32 v15, v5, s2, 0xfedcba98 op_sel:[1,1]
	v_dual_add_f32 v5, v5, v15 :: v_dual_and_b32 v6, 0x7c, v6
	ds_store_b32 v6, v5 offset:16
.LBB39_3:
	s_or_b32 exec_lo, exec_lo, s1
	v_and_b32_e32 v5, 3, v0
	s_waitcnt vmcnt(0) lgkmcnt(0)
	s_waitcnt_vscnt null, 0x0
	s_barrier
	buffer_gl0_inv
	v_cvt_f32_i32_e32 v16, s5
	v_lshlrev_b32_e32 v6, 2, v5
	s_cmp_lg_u32 s10, 0
	ds_load_b32 v5, v6 offset:16
	s_waitcnt lgkmcnt(0)
	v_mov_b32_dpp v15, v5 quad_perm:[1,0,3,2] row_mask:0xf bank_mask:0xf
	s_delay_alu instid0(VALU_DEP_1) | instskip(NEXT) | instid1(VALU_DEP_1)
	v_add_f32_e32 v5, v5, v15
	v_mov_b32_dpp v15, v5 quad_perm:[2,3,0,1] row_mask:0xf bank_mask:0xf
	s_delay_alu instid0(VALU_DEP_1) | instskip(NEXT) | instid1(VALU_DEP_1)
	v_add_f32_e32 v5, v5, v15
	v_div_scale_f32 v15, null, v16, v16, v5
	v_div_scale_f32 v19, vcc_lo, v5, v16, v5
	s_delay_alu instid0(VALU_DEP_2) | instskip(SKIP_2) | instid1(VALU_DEP_1)
	v_rcp_f32_e32 v17, v15
	s_waitcnt_depctr 0xfff
	v_fma_f32 v18, -v15, v17, 1.0
	v_fmac_f32_e32 v17, v18, v17
	s_delay_alu instid0(VALU_DEP_1) | instskip(NEXT) | instid1(VALU_DEP_1)
	v_mul_f32_e32 v18, v19, v17
	v_fma_f32 v20, -v15, v18, v19
	s_delay_alu instid0(VALU_DEP_1) | instskip(SKIP_2) | instid1(VALU_DEP_3)
	v_fmac_f32_e32 v18, v20, v17
	v_cvt_f32_f16_e32 v20, v4
	v_lshrrev_b32_e32 v4, 16, v4
	v_fma_f32 v15, -v15, v18, v19
	s_delay_alu instid0(VALU_DEP_2) | instskip(NEXT) | instid1(VALU_DEP_2)
	v_cvt_f32_f16_e32 v4, v4
	v_div_fmas_f32 v15, v15, v17, v18
	v_cvt_f32_f16_e32 v17, v2
	v_lshrrev_b32_e32 v2, 16, v2
	v_cvt_f32_f16_e32 v18, v3
	v_lshrrev_b32_e32 v3, 16, v3
	v_div_fixup_f32 v5, v15, v16, v5
	s_delay_alu instid0(VALU_DEP_4) | instskip(NEXT) | instid1(VALU_DEP_3)
	v_cvt_f32_f16_e32 v2, v2
	v_cvt_f32_f16_e32 v3, v3
	s_delay_alu instid0(VALU_DEP_3) | instskip(NEXT) | instid1(VALU_DEP_1)
	v_cvt_f64_f32_e32 v[15:16], v5
	v_add_f64 v[15:16], v[15:16], s[24:25]
	s_delay_alu instid0(VALU_DEP_1) | instskip(SKIP_2) | instid1(VALU_DEP_1)
	v_cvt_f32_f64_e32 v5, v[15:16]
	v_cvt_f32_f16_e32 v16, v1
	v_lshrrev_b32_e32 v1, 16, v1
	v_cvt_f32_f16_e32 v1, v1
	s_delay_alu instid0(VALU_DEP_4) | instskip(SKIP_1) | instid1(VALU_DEP_2)
	v_mul_f32_e32 v15, 0x4b800000, v5
	v_cmp_gt_f32_e32 vcc_lo, 0x800000, v5
	v_cndmask_b32_e32 v5, v5, v15, vcc_lo
	s_delay_alu instid0(VALU_DEP_1) | instskip(SKIP_2) | instid1(VALU_DEP_1)
	v_rsq_f32_e32 v15, v5
	s_waitcnt_depctr 0xfff
	v_mul_f32_e32 v19, 0x45800000, v15
	v_cndmask_b32_e32 v15, v15, v19, vcc_lo
	s_delay_alu instid0(VALU_DEP_1) | instskip(SKIP_1) | instid1(VALU_DEP_2)
	v_dual_mul_f32 v10, v10, v15 :: v_dual_lshlrev_b32 v5, 3, v0
	v_mul_f32_e32 v14, v14, v15
	v_mul_f32_e32 v10, v10, v2
	s_delay_alu instid0(VALU_DEP_2) | instskip(NEXT) | instid1(VALU_DEP_2)
	v_mul_f32_e32 v4, v14, v4
	v_and_b32_e32 v14, 0x7fffffff, v10
	v_dual_mov_b32 v21, 0x2edbe6ff :: v_dual_mul_f32 v22, v12, v15
	v_mul_f32_e32 v8, v8, v15
	v_mul_f32_e32 v13, v13, v15
	;; [unrolled: 1-line block ×3, first 2 shown]
	s_delay_alu instid0(VALU_DEP_3) | instskip(NEXT) | instid1(VALU_DEP_3)
	v_dual_mul_f32 v19, v11, v15 :: v_dual_mul_f32 v12, v8, v16
	v_dual_mul_f32 v8, v22, v3 :: v_dual_mul_f32 v3, v13, v20
	s_delay_alu instid0(VALU_DEP_1) | instskip(NEXT) | instid1(VALU_DEP_1)
	v_dual_mul_f32 v7, v7, v15 :: v_dual_and_b32 v16, 0x7fffffff, v8
	v_mul_f32_e32 v11, v7, v1
	s_delay_alu instid0(VALU_DEP_4) | instskip(SKIP_2) | instid1(VALU_DEP_4)
	v_dual_mul_f32 v7, v19, v18 :: v_dual_and_b32 v18, 0x7fffffff, v4
	v_mul_f32_e32 v9, v9, v17
	v_and_b32_e32 v1, 0x7fffffff, v12
	v_and_b32_e32 v2, 0x7fffffff, v11
	;;#ASMSTART
	v_max3_f32 v1, v21, v1, v2

	;;#ASMEND
	v_and_b32_e32 v15, 0x7fffffff, v7
	v_and_b32_e32 v13, 0x7fffffff, v9
	;;#ASMSTART
	v_max3_f32 v1, v1, v13, v14

	;;#ASMEND
	v_and_b32_e32 v17, 0x7fffffff, v3
	;;#ASMSTART
	v_max3_f32 v1, v1, v15, v16

	;;#ASMEND
	;;#ASMSTART
	v_max3_f32 v13, v1, v17, v18

	;;#ASMEND
	s_cbranch_scc0 .LBB39_10
; %bb.4:
	s_ashr_i32 s7, s10, 31
	s_delay_alu instid0(SALU_CYCLE_1) | instskip(NEXT) | instid1(SALU_CYCLE_1)
	s_lshr_b32 s1, s7, 29
	s_add_i32 s1, s10, s1
	s_delay_alu instid0(SALU_CYCLE_1) | instskip(NEXT) | instid1(SALU_CYCLE_1)
	s_ashr_i32 s1, s1, 3
	s_cmp_lt_i32 s1, 8
	s_cbranch_scc1 .LBB39_11
; %bb.5:
	s_cmp_lt_i32 s1, 16
	s_cbranch_scc1 .LBB39_12
; %bb.6:
	;; [unrolled: 3-line block ×3, first 2 shown]
	v_mov_b32_e32 v1, v13
	s_cmp_eq_u32 s1, 32
	s_cbranch_scc0 .LBB39_9
; %bb.8:
	s_delay_alu instid0(VALU_DEP_1) | instskip(SKIP_1) | instid1(VALU_DEP_1)
	v_mov_b32_dpp v1, v13 quad_perm:[1,0,3,2] row_mask:0xf bank_mask:0xf
	s_mov_b32 s2, 0x76543210
	v_cmp_gt_f32_e32 vcc_lo, v13, v1
	v_cndmask_b32_e32 v1, v1, v13, vcc_lo
	s_delay_alu instid0(VALU_DEP_1) | instskip(NEXT) | instid1(VALU_DEP_1)
	v_mov_b32_dpp v2, v1 quad_perm:[2,3,0,1] row_mask:0xf bank_mask:0xf
	v_cmp_gt_f32_e32 vcc_lo, v1, v2
	v_cndmask_b32_e32 v1, v2, v1, vcc_lo
	s_delay_alu instid0(VALU_DEP_1) | instskip(NEXT) | instid1(VALU_DEP_1)
	v_mov_b32_dpp v2, v1 row_xmask:7 row_mask:0xf bank_mask:0xf
	v_cmp_gt_f32_e32 vcc_lo, v1, v2
	v_cndmask_b32_e32 v1, v2, v1, vcc_lo
	s_delay_alu instid0(VALU_DEP_1) | instskip(NEXT) | instid1(VALU_DEP_1)
	v_mov_b32_dpp v2, v1 row_xmask:15 row_mask:0xf bank_mask:0xf
	v_cmp_gt_f32_e32 vcc_lo, v1, v2
	v_cndmask_b32_e32 v1, v2, v1, vcc_lo
	s_delay_alu instid0(VALU_DEP_1) | instskip(NEXT) | instid1(VALU_DEP_1)
	v_permlanex16_b32 v2, v1, s2, 0xfedcba98 op_sel:[1,1]
	v_cmp_gt_f32_e32 vcc_lo, v1, v2
	v_cndmask_b32_e32 v1, v2, v1, vcc_lo
.LBB39_9:
	s_mov_b32 s2, 0
	s_branch .LBB39_14
.LBB39_10:
	s_mov_b32 s1, 0
                                        ; implicit-def: $vgpr14
                                        ; implicit-def: $vgpr1_vgpr2
	s_and_b32 vcc_lo, exec_lo, s31
	s_cbranch_vccnz .LBB39_38
	s_branch .LBB39_41
.LBB39_11:
                                        ; implicit-def: $vgpr1
	s_branch .LBB39_21
.LBB39_12:
                                        ; implicit-def: $vgpr1
	s_branch .LBB39_18
.LBB39_13:
	s_mov_b32 s2, -1
                                        ; implicit-def: $vgpr1
.LBB39_14:
	s_delay_alu instid0(SALU_CYCLE_1)
	s_and_not1_b32 vcc_lo, exec_lo, s2
	s_cbranch_vccnz .LBB39_17
; %bb.15:
	v_mov_b32_e32 v1, v13
	s_cmp_eq_u32 s1, 16
	s_cbranch_scc0 .LBB39_17
; %bb.16:
	s_delay_alu instid0(VALU_DEP_1) | instskip(NEXT) | instid1(VALU_DEP_1)
	v_mov_b32_dpp v1, v13 quad_perm:[1,0,3,2] row_mask:0xf bank_mask:0xf
	v_cmp_gt_f32_e32 vcc_lo, v13, v1
	v_cndmask_b32_e32 v1, v1, v13, vcc_lo
	s_delay_alu instid0(VALU_DEP_1) | instskip(NEXT) | instid1(VALU_DEP_1)
	v_mov_b32_dpp v2, v1 quad_perm:[2,3,0,1] row_mask:0xf bank_mask:0xf
	v_cmp_gt_f32_e32 vcc_lo, v1, v2
	v_cndmask_b32_e32 v1, v2, v1, vcc_lo
	s_delay_alu instid0(VALU_DEP_1) | instskip(NEXT) | instid1(VALU_DEP_1)
	v_mov_b32_dpp v2, v1 row_half_mirror row_mask:0xf bank_mask:0xf
	v_cmp_gt_f32_e32 vcc_lo, v1, v2
	v_cndmask_b32_e32 v1, v2, v1, vcc_lo
	s_delay_alu instid0(VALU_DEP_1) | instskip(NEXT) | instid1(VALU_DEP_1)
	v_mov_b32_dpp v2, v1 row_mirror row_mask:0xf bank_mask:0xf
	v_cmp_gt_f32_e32 vcc_lo, v1, v2
	v_cndmask_b32_e32 v1, v2, v1, vcc_lo
.LBB39_17:
	s_cbranch_execnz .LBB39_20
.LBB39_18:
	v_mov_b32_e32 v1, v13
	s_cmp_eq_u32 s1, 8
	s_cbranch_scc0 .LBB39_20
; %bb.19:
	s_delay_alu instid0(VALU_DEP_1) | instskip(NEXT) | instid1(VALU_DEP_1)
	v_mov_b32_dpp v1, v13 quad_perm:[1,0,3,2] row_mask:0xf bank_mask:0xf
	v_cmp_gt_f32_e32 vcc_lo, v13, v1
	v_cndmask_b32_e32 v1, v1, v13, vcc_lo
	s_delay_alu instid0(VALU_DEP_1) | instskip(NEXT) | instid1(VALU_DEP_1)
	v_mov_b32_dpp v2, v1 quad_perm:[2,3,0,1] row_mask:0xf bank_mask:0xf
	v_cmp_gt_f32_e32 vcc_lo, v1, v2
	v_cndmask_b32_e32 v1, v2, v1, vcc_lo
	s_delay_alu instid0(VALU_DEP_1) | instskip(NEXT) | instid1(VALU_DEP_1)
	v_mov_b32_dpp v2, v1 row_half_mirror row_mask:0xf bank_mask:0xf
	v_cmp_gt_f32_e32 vcc_lo, v1, v2
	v_cndmask_b32_e32 v1, v2, v1, vcc_lo
.LBB39_20:
	s_cbranch_execnz .LBB39_28
.LBB39_21:
	s_cmp_lt_i32 s1, 4
	s_cbranch_scc1 .LBB39_24
; %bb.22:
	v_mov_b32_e32 v1, v13
	s_cmp_eq_u32 s1, 4
	s_cbranch_scc0 .LBB39_25
; %bb.23:
	s_delay_alu instid0(VALU_DEP_1) | instskip(NEXT) | instid1(VALU_DEP_1)
	v_mov_b32_dpp v1, v13 quad_perm:[1,0,3,2] row_mask:0xf bank_mask:0xf
	v_cmp_gt_f32_e32 vcc_lo, v13, v1
	v_cndmask_b32_e32 v1, v1, v13, vcc_lo
	s_delay_alu instid0(VALU_DEP_1) | instskip(NEXT) | instid1(VALU_DEP_1)
	v_mov_b32_dpp v2, v1 quad_perm:[2,3,0,1] row_mask:0xf bank_mask:0xf
	v_cmp_gt_f32_e32 vcc_lo, v1, v2
	v_cndmask_b32_e32 v1, v2, v1, vcc_lo
	s_cbranch_execz .LBB39_26
	s_branch .LBB39_28
.LBB39_24:
                                        ; implicit-def: $vgpr1
	s_branch .LBB39_26
.LBB39_25:
	s_cbranch_execnz .LBB39_28
.LBB39_26:
	v_mov_b32_e32 v1, v13
	s_cmp_lg_u32 s1, 2
	s_cbranch_scc1 .LBB39_28
; %bb.27:
	s_delay_alu instid0(VALU_DEP_1) | instskip(NEXT) | instid1(VALU_DEP_1)
	v_mov_b32_dpp v1, v13 quad_perm:[1,0,3,2] row_mask:0xf bank_mask:0xf
	v_cmp_gt_f32_e32 vcc_lo, v13, v1
	v_cndmask_b32_e32 v1, v1, v13, vcc_lo
.LBB39_28:
	v_cvt_f32_u32_e32 v2, s1
	s_sub_i32 s2, 0, s1
	s_mov_b32 s31, 0
	s_delay_alu instid0(VALU_DEP_1) | instskip(SKIP_2) | instid1(VALU_DEP_1)
	v_rcp_iflag_f32_e32 v2, v2
	s_waitcnt_depctr 0xfff
	v_mul_f32_e32 v2, 0x4f7ffffe, v2
	v_cvt_u32_f32_e32 v2, v2
	s_delay_alu instid0(VALU_DEP_1) | instskip(NEXT) | instid1(VALU_DEP_1)
	v_mul_lo_u32 v14, s2, v2
	v_mul_hi_u32 v14, v2, v14
	s_delay_alu instid0(VALU_DEP_1) | instskip(NEXT) | instid1(VALU_DEP_1)
	v_add_nc_u32_e32 v2, v2, v14
	v_mul_hi_u32 v2, v0, v2
	s_delay_alu instid0(VALU_DEP_1) | instskip(NEXT) | instid1(VALU_DEP_1)
	v_mul_lo_u32 v14, v2, s1
	v_sub_nc_u32_e32 v14, v0, v14
	s_delay_alu instid0(VALU_DEP_1) | instskip(SKIP_1) | instid1(VALU_DEP_2)
	v_subrev_nc_u32_e32 v16, s1, v14
	v_cmp_le_u32_e32 vcc_lo, s1, v14
	v_dual_cndmask_b32 v14, v14, v16 :: v_dual_add_nc_u32 v15, 1, v2
	s_delay_alu instid0(VALU_DEP_1) | instskip(NEXT) | instid1(VALU_DEP_2)
	v_cndmask_b32_e32 v2, v2, v15, vcc_lo
	v_cmp_le_u32_e32 vcc_lo, s1, v14
	s_delay_alu instid0(VALU_DEP_2) | instskip(NEXT) | instid1(VALU_DEP_1)
	v_dual_mul_f32 v14, 0x3c010204, v1 :: v_dual_add_nc_u32 v15, 1, v2
	v_cndmask_b32_e32 v15, v2, v15, vcc_lo
	v_cmp_gt_u32_e32 vcc_lo, s5, v5
	s_delay_alu instid0(VALU_DEP_2) | instskip(NEXT) | instid1(VALU_DEP_1)
	v_mul_lo_u32 v2, v15, s1
	v_sub_nc_u32_e32 v2, v0, v2
	s_delay_alu instid0(VALU_DEP_1) | instskip(NEXT) | instid1(VALU_DEP_1)
	v_cmp_eq_u32_e64 s1, 0, v2
                                        ; implicit-def: $vgpr1_vgpr2
	s_and_b32 s2, s1, vcc_lo
	s_mov_b32 s1, 0
	s_and_saveexec_b32 s3, s2
	s_delay_alu instid0(SALU_CYCLE_1)
	s_xor_b32 s8, exec_lo, s3
	s_cbranch_execz .LBB39_37
; %bb.29:
	s_bitcmp0_b32 s11, 0
	s_mov_b32 s6, 0
	s_cbranch_scc0 .LBB39_34
; %bb.30:
	s_ashr_i32 s1, s5, 31
	s_mul_hi_u32 s3, s5, s34
	s_mul_i32 s1, s1, s34
	s_mul_i32 s2, s5, s34
	s_add_i32 s3, s3, s1
	s_mov_b32 s11, s7
	s_delay_alu instid0(SALU_CYCLE_1) | instskip(NEXT) | instid1(SALU_CYCLE_1)
	s_or_b64 s[14:15], s[2:3], s[10:11]
	s_mov_b32 s7, s15
	s_delay_alu instid0(SALU_CYCLE_1)
	s_cmp_lg_u64 s[6:7], 0
	s_cbranch_scc0 .LBB39_45
; %bb.31:
	s_add_u32 s14, s10, s11
	s_mov_b32 s6, s11
	s_mov_b32 s7, s11
	s_addc_u32 s15, s11, s11
	s_delay_alu instid0(SALU_CYCLE_1) | instskip(NEXT) | instid1(SALU_CYCLE_1)
	s_xor_b64 s[14:15], s[14:15], s[6:7]
	v_cvt_f32_u32_e32 v1, s14
	v_cvt_f32_u32_e32 v2, s15
	s_sub_u32 s18, 0, s14
	s_subb_u32 s19, 0, s15
	s_delay_alu instid0(VALU_DEP_1) | instskip(NEXT) | instid1(VALU_DEP_1)
	v_fmamk_f32 v1, v2, 0x4f800000, v1
	v_rcp_f32_e32 v1, v1
	s_waitcnt_depctr 0xfff
	v_mul_f32_e32 v1, 0x5f7ffffc, v1
	s_delay_alu instid0(VALU_DEP_1) | instskip(NEXT) | instid1(VALU_DEP_1)
	v_mul_f32_e32 v2, 0x2f800000, v1
	v_trunc_f32_e32 v2, v2
	s_delay_alu instid0(VALU_DEP_1) | instskip(SKIP_1) | instid1(VALU_DEP_2)
	v_fmamk_f32 v1, v2, 0xcf800000, v1
	v_cvt_u32_f32_e32 v2, v2
	v_cvt_u32_f32_e32 v1, v1
	s_delay_alu instid0(VALU_DEP_2) | instskip(NEXT) | instid1(VALU_DEP_2)
	v_readfirstlane_b32 s1, v2
	v_readfirstlane_b32 s11, v1
	s_delay_alu instid0(VALU_DEP_2) | instskip(NEXT) | instid1(VALU_DEP_1)
	s_mul_i32 s20, s18, s1
	s_mul_hi_u32 s22, s18, s11
	s_mul_i32 s21, s19, s11
	s_add_i32 s20, s22, s20
	s_mul_i32 s23, s18, s11
	s_add_i32 s20, s20, s21
	s_mul_hi_u32 s22, s11, s23
	s_mul_hi_u32 s24, s1, s23
	s_mul_i32 s21, s1, s23
	s_mul_hi_u32 s23, s11, s20
	s_mul_i32 s11, s11, s20
	s_mul_hi_u32 s25, s1, s20
	s_add_u32 s11, s22, s11
	s_addc_u32 s22, 0, s23
	s_add_u32 s11, s11, s21
	s_mul_i32 s20, s1, s20
	s_addc_u32 s11, s22, s24
	s_addc_u32 s21, s25, 0
	s_add_u32 s11, s11, s20
	s_addc_u32 s20, 0, s21
	v_add_co_u32 v1, s11, v1, s11
	s_delay_alu instid0(VALU_DEP_1) | instskip(SKIP_1) | instid1(VALU_DEP_1)
	s_cmp_lg_u32 s11, 0
	s_addc_u32 s1, s1, s20
	v_readfirstlane_b32 s11, v1
	s_mul_i32 s20, s18, s1
	s_delay_alu instid0(VALU_DEP_1)
	s_mul_hi_u32 s21, s18, s11
	s_mul_i32 s19, s19, s11
	s_add_i32 s20, s21, s20
	s_mul_i32 s18, s18, s11
	s_add_i32 s20, s20, s19
	s_mul_hi_u32 s21, s1, s18
	s_mul_i32 s22, s1, s18
	s_mul_hi_u32 s18, s11, s18
	s_mul_hi_u32 s23, s11, s20
	s_mul_i32 s11, s11, s20
	s_mul_hi_u32 s19, s1, s20
	s_add_u32 s11, s18, s11
	s_addc_u32 s18, 0, s23
	s_add_u32 s11, s11, s22
	s_mul_i32 s20, s1, s20
	s_addc_u32 s11, s18, s21
	s_addc_u32 s18, s19, 0
	s_add_u32 s11, s11, s20
	s_addc_u32 s18, 0, s18
	v_add_co_u32 v1, s11, v1, s11
	s_delay_alu instid0(VALU_DEP_1) | instskip(SKIP_2) | instid1(SALU_CYCLE_1)
	s_cmp_lg_u32 s11, 0
	s_addc_u32 s1, s1, s18
	s_ashr_i32 s18, s3, 31
	s_add_u32 s20, s2, s18
	s_addc_u32 s21, s3, s18
	v_readfirstlane_b32 s3, v1
	s_mov_b32 s19, s18
	s_delay_alu instid0(SALU_CYCLE_1) | instskip(NEXT) | instid1(SALU_CYCLE_1)
	s_xor_b64 s[20:21], s[20:21], s[18:19]
	s_mul_i32 s22, s20, s1
	s_delay_alu instid0(VALU_DEP_1)
	s_mul_hi_u32 s23, s20, s3
	s_mul_hi_u32 s11, s20, s1
	;; [unrolled: 1-line block ×3, first 2 shown]
	s_mul_i32 s3, s21, s3
	s_add_u32 s22, s23, s22
	s_addc_u32 s11, 0, s11
	s_mul_hi_u32 s24, s21, s1
	s_add_u32 s3, s22, s3
	s_mul_i32 s1, s21, s1
	s_addc_u32 s3, s11, s25
	s_addc_u32 s11, s24, 0
	s_add_u32 s3, s3, s1
	s_addc_u32 s11, 0, s11
	s_mul_i32 s24, s14, s3
	s_mul_hi_u32 s1, s14, s3
	s_mul_i32 s23, s14, s11
	v_sub_co_u32 v1, s20, s20, s24
	s_mul_i32 s22, s15, s3
	s_add_i32 s1, s1, s23
	s_delay_alu instid0(SALU_CYCLE_1) | instskip(NEXT) | instid1(VALU_DEP_1)
	s_add_i32 s1, s1, s22
	v_sub_co_u32 v2, s23, v1, s14
	s_sub_i32 s22, s21, s1
	s_cmp_lg_u32 s20, 0
	s_subb_u32 s22, s22, s15
	s_cmp_lg_u32 s23, 0
	v_cmp_le_u32_e32 vcc_lo, s14, v2
	s_subb_u32 s22, s22, 0
	s_delay_alu instid0(SALU_CYCLE_1)
	s_cmp_ge_u32 s22, s15
	v_cndmask_b32_e64 v2, 0, -1, vcc_lo
	s_cselect_b32 s23, -1, 0
	s_cmp_eq_u32 s22, s15
	s_cselect_b32 vcc_lo, -1, 0
	s_add_u32 s22, s3, 1
	v_cndmask_b32_e32 v2, s23, v2, vcc_lo
	s_addc_u32 s23, s11, 0
	s_add_u32 s24, s3, 2
	s_addc_u32 s25, s11, 0
	s_cmp_lg_u32 s20, 0
	v_cmp_le_u32_e32 vcc_lo, s14, v1
	s_subb_u32 s1, s21, s1
	v_mov_b32_e32 v16, s24
	s_cmp_ge_u32 s1, s15
	v_cndmask_b32_e64 v1, 0, -1, vcc_lo
	s_cselect_b32 s14, -1, 0
	s_cmp_eq_u32 s1, s15
	v_cmp_ne_u32_e32 vcc_lo, 0, v2
	v_mov_b32_e32 v2, s25
	s_cselect_b32 s1, -1, 0
	s_xor_b64 s[6:7], s[18:19], s[6:7]
	v_cndmask_b32_e64 v1, s14, v1, s1
	v_cndmask_b32_e32 v16, s22, v16, vcc_lo
	v_cndmask_b32_e32 v2, s23, v2, vcc_lo
	s_delay_alu instid0(VALU_DEP_3) | instskip(NEXT) | instid1(VALU_DEP_2)
	v_cmp_ne_u32_e32 vcc_lo, 0, v1
	v_cndmask_b32_e32 v1, s11, v2, vcc_lo
	s_delay_alu instid0(VALU_DEP_4) | instskip(NEXT) | instid1(VALU_DEP_2)
	v_cndmask_b32_e32 v2, s3, v16, vcc_lo
	v_xor_b32_e32 v16, s7, v1
	s_delay_alu instid0(VALU_DEP_2) | instskip(NEXT) | instid1(VALU_DEP_1)
	v_xor_b32_e32 v2, s6, v2
	v_sub_co_u32 v1, vcc_lo, v2, s6
	s_delay_alu instid0(VALU_DEP_3)
	v_subrev_co_ci_u32_e32 v2, vcc_lo, s7, v16, vcc_lo
	s_cbranch_execnz .LBB39_33
.LBB39_32:
	v_cvt_f32_u32_e32 v1, s10
	s_sub_i32 s3, 0, s10
	s_delay_alu instid0(VALU_DEP_1) | instskip(SKIP_2) | instid1(VALU_DEP_1)
	v_rcp_iflag_f32_e32 v1, v1
	s_waitcnt_depctr 0xfff
	v_mul_f32_e32 v1, 0x4f7ffffe, v1
	v_cvt_u32_f32_e32 v1, v1
	s_delay_alu instid0(VALU_DEP_1) | instskip(NEXT) | instid1(VALU_DEP_1)
	v_readfirstlane_b32 s1, v1
	s_mul_i32 s3, s3, s1
	s_delay_alu instid0(SALU_CYCLE_1) | instskip(NEXT) | instid1(SALU_CYCLE_1)
	s_mul_hi_u32 s3, s1, s3
	s_add_i32 s1, s1, s3
	s_delay_alu instid0(SALU_CYCLE_1) | instskip(NEXT) | instid1(SALU_CYCLE_1)
	s_mul_hi_u32 s1, s2, s1
	s_mul_i32 s3, s1, s10
	s_delay_alu instid0(SALU_CYCLE_1)
	s_sub_i32 s2, s2, s3
	s_add_i32 s3, s1, 1
	s_sub_i32 s6, s2, s10
	s_cmp_ge_u32 s2, s10
	s_cselect_b32 s1, s3, s1
	s_cselect_b32 s2, s6, s2
	s_add_i32 s6, s1, 1
	s_cmp_ge_u32 s2, s10
	s_mov_b32 s3, 0
	s_cselect_b32 s2, s6, s1
	s_delay_alu instid0(SALU_CYCLE_1)
	v_dual_mov_b32 v1, s2 :: v_dual_mov_b32 v2, s3
.LBB39_33:
	s_delay_alu instid0(VALU_DEP_1) | instskip(NEXT) | instid1(VALU_DEP_2)
	v_add_co_u32 v1, vcc_lo, v1, v15
	v_add_co_ci_u32_e32 v2, vcc_lo, 0, v2, vcc_lo
	s_branch .LBB39_36
.LBB39_34:
                                        ; implicit-def: $vgpr1_vgpr2
	s_cbranch_execz .LBB39_36
; %bb.35:
	v_mul_lo_u32 v1, v15, s4
	s_delay_alu instid0(VALU_DEP_1) | instskip(SKIP_1) | instid1(VALU_DEP_2)
	v_ashrrev_i32_e32 v2, 31, v1
	v_add_co_u32 v1, vcc_lo, v1, s34
	v_add_co_ci_u32_e32 v2, vcc_lo, 0, v2, vcc_lo
.LBB39_36:
	s_mov_b32 s1, exec_lo
.LBB39_37:
	s_or_b32 exec_lo, exec_lo, s8
	s_delay_alu instid0(SALU_CYCLE_1)
	s_and_b32 vcc_lo, exec_lo, s31
	s_cbranch_vccz .LBB39_41
.LBB39_38:
	v_mov_b32_dpp v1, v13 quad_perm:[1,0,3,2] row_mask:0xf bank_mask:0xf
	s_delay_alu instid0(VALU_DEP_1) | instskip(SKIP_1) | instid1(VALU_DEP_1)
	v_cmp_gt_f32_e32 vcc_lo, v13, v1
	v_cndmask_b32_e32 v1, v1, v13, vcc_lo
	v_mov_b32_dpp v2, v1 quad_perm:[2,3,0,1] row_mask:0xf bank_mask:0xf
	s_delay_alu instid0(VALU_DEP_1) | instskip(SKIP_1) | instid1(VALU_DEP_1)
	v_cmp_gt_f32_e32 vcc_lo, v1, v2
	v_cndmask_b32_e32 v1, v2, v1, vcc_lo
	v_mov_b32_dpp v2, v1 row_xmask:7 row_mask:0xf bank_mask:0xf
	s_delay_alu instid0(VALU_DEP_1) | instskip(SKIP_1) | instid1(VALU_DEP_1)
	v_cmp_gt_f32_e32 vcc_lo, v1, v2
	v_cndmask_b32_e32 v1, v2, v1, vcc_lo
	v_mov_b32_dpp v2, v1 row_xmask:15 row_mask:0xf bank_mask:0xf
	s_delay_alu instid0(VALU_DEP_1)
	v_cmp_gt_f32_e32 vcc_lo, v1, v2
	s_and_saveexec_b32 s1, s0
	s_cbranch_execz .LBB39_40
; %bb.39:
	v_cndmask_b32_e32 v1, v2, v1, vcc_lo
	v_lshrrev_b32_e32 v2, 3, v0
	s_mov_b32 s0, 0x76543210
	s_delay_alu instid0(VALU_DEP_1) | instskip(NEXT) | instid1(VALU_DEP_3)
	v_and_b32_e32 v2, 0x7c, v2
	v_permlanex16_b32 v13, v1, s0, 0xfedcba98 op_sel:[1,1]
	s_delay_alu instid0(VALU_DEP_1)
	v_cmp_gt_f32_e32 vcc_lo, v1, v13
	v_cndmask_b32_e32 v1, v13, v1, vcc_lo
	ds_store_b32 v2, v1
.LBB39_40:
	s_or_b32 exec_lo, exec_lo, s1
	s_waitcnt lgkmcnt(0)
	s_barrier
	buffer_gl0_inv
	ds_load_b32 v1, v6
	v_cmp_eq_u32_e64 s1, 0, v0
	s_waitcnt lgkmcnt(0)
	v_mov_b32_dpp v2, v1 quad_perm:[1,0,3,2] row_mask:0xf bank_mask:0xf
	s_delay_alu instid0(VALU_DEP_1) | instskip(SKIP_1) | instid1(VALU_DEP_1)
	v_cmp_gt_f32_e32 vcc_lo, v1, v2
	v_cndmask_b32_e32 v1, v2, v1, vcc_lo
	v_mov_b32_dpp v2, v1 quad_perm:[2,3,0,1] row_mask:0xf bank_mask:0xf
	s_delay_alu instid0(VALU_DEP_1) | instskip(SKIP_1) | instid1(VALU_DEP_1)
	v_cmp_gt_f32_e32 vcc_lo, v1, v2
	v_cndmask_b32_e32 v1, v2, v1, vcc_lo
	v_dual_mul_f32 v14, 0x3c010204, v1 :: v_dual_mov_b32 v1, s34
	v_mov_b32_e32 v2, s35
.LBB39_41:
	s_and_saveexec_b32 s0, s1
	s_cbranch_execz .LBB39_43
; %bb.42:
	s_delay_alu instid0(VALU_DEP_1) | instskip(NEXT) | instid1(VALU_DEP_1)
	v_lshlrev_b64 v[0:1], 2, v[1:2]
	v_add_co_u32 v0, vcc_lo, s16, v0
	s_delay_alu instid0(VALU_DEP_2)
	v_add_co_ci_u32_e32 v1, vcc_lo, s17, v1, vcc_lo
	global_store_b32 v[0:1], v14, off
.LBB39_43:
	s_or_b32 exec_lo, exec_lo, s0
	;;#ASMSTART
	v_rcp_f32 v0, v14
	;;#ASMEND
	v_mul_f32_e32 v7, v7, v0
	v_mul_f32_e32 v1, v12, v0
	;; [unrolled: 1-line block ×4, first 2 shown]
	s_add_i32 s0, s5, 3
	v_cvt_i32_f32_e32 v7, v7
	v_mul_f32_e32 v2, v11, v0
	v_cvt_i32_f32_e32 v1, v1
	v_mul_f32_e32 v6, v9, v0
	v_cvt_i32_f32_e32 v4, v4
	v_and_b32_e32 v7, 0xff, v7
	v_cvt_i32_f32_e32 v2, v2
	v_and_b32_e32 v1, 0xff, v1
	s_ashr_i32 s1, s0, 31
	v_lshlrev_b16 v4, 8, v4
	s_lshr_b32 s1, s1, 30
	v_lshlrev_b16 v2, 8, v2
	s_add_i32 s0, s0, s1
	s_ashr_i32 s1, s9, 31
	s_and_b32 s2, s0, -4
	s_mul_hi_u32 s0, s9, s34
	v_or_b32_e32 v1, v1, v2
	v_mul_f32_e32 v9, v10, v0
	v_mul_f32_e32 v0, v3, v0
	v_cvt_i32_f32_e32 v3, v6
	s_mul_i32 s1, s1, s34
	s_mul_i32 s3, s9, s34
	s_add_i32 s1, s0, s1
	v_cvt_i32_f32_e32 v0, v0
	v_and_b32_e32 v3, 0xff, v3
	v_cvt_i32_f32_e32 v6, v8
	s_add_u32 s0, s12, s3
	s_addc_u32 s1, s13, s1
	v_and_b32_e32 v0, 0xff, v0
	s_and_b32 s1, s1, 0xffff
	v_lshlrev_b16 v6, 8, v6
	s_mov_b32 s3, -1
	s_delay_alu instid0(VALU_DEP_2) | instskip(SKIP_3) | instid1(VALU_DEP_4)
	v_or_b32_e32 v0, v0, v4
	v_and_b32_e32 v4, 0xffff, v1
	v_cvt_i32_f32_e32 v8, v9
	v_or_b32_e32 v6, v7, v6
	v_lshlrev_b32_e32 v0, 16, v0
	s_delay_alu instid0(VALU_DEP_3) | instskip(NEXT) | instid1(VALU_DEP_1)
	v_lshlrev_b16 v8, 8, v8
	v_or_b32_e32 v2, v3, v8
	s_delay_alu instid0(VALU_DEP_4) | instskip(NEXT) | instid1(VALU_DEP_2)
	v_and_b32_e32 v3, 0xffff, v6
	v_lshlrev_b32_e32 v2, 16, v2
	s_delay_alu instid0(VALU_DEP_2) | instskip(NEXT) | instid1(VALU_DEP_2)
	v_or_b32_e32 v1, v3, v0
	v_or_b32_e32 v0, v4, v2
	buffer_store_b64 v[0:1], v5, s[0:3], 0 offen
	;;#ASMSTART
	s_nop 0
	;;#ASMEND
.LBB39_44:
	s_nop 0
	s_sendmsg sendmsg(MSG_DEALLOC_VGPRS)
	s_endpgm
.LBB39_45:
                                        ; implicit-def: $vgpr1_vgpr2
	s_branch .LBB39_32
	.section	.rodata,"a",@progbits
	.p2align	6, 0x0
	.amdhsa_kernel _ZN5aiter24add_rmsnorm_quant_kernelIDF16_aLi128ELi8ELb1ELb1ELb0ELi1EEEvPT0_PT_PfS4_S4_S4_diiiiiiib
		.amdhsa_group_segment_fixed_size 32
		.amdhsa_private_segment_fixed_size 0
		.amdhsa_kernarg_size 88
		.amdhsa_user_sgpr_count 15
		.amdhsa_user_sgpr_dispatch_ptr 0
		.amdhsa_user_sgpr_queue_ptr 0
		.amdhsa_user_sgpr_kernarg_segment_ptr 1
		.amdhsa_user_sgpr_dispatch_id 0
		.amdhsa_user_sgpr_private_segment_size 0
		.amdhsa_wavefront_size32 1
		.amdhsa_uses_dynamic_stack 0
		.amdhsa_enable_private_segment 0
		.amdhsa_system_sgpr_workgroup_id_x 1
		.amdhsa_system_sgpr_workgroup_id_y 0
		.amdhsa_system_sgpr_workgroup_id_z 0
		.amdhsa_system_sgpr_workgroup_info 0
		.amdhsa_system_vgpr_workitem_id 0
		.amdhsa_next_free_vgpr 25
		.amdhsa_next_free_sgpr 36
		.amdhsa_reserve_vcc 1
		.amdhsa_float_round_mode_32 0
		.amdhsa_float_round_mode_16_64 0
		.amdhsa_float_denorm_mode_32 3
		.amdhsa_float_denorm_mode_16_64 3
		.amdhsa_dx10_clamp 1
		.amdhsa_ieee_mode 1
		.amdhsa_fp16_overflow 0
		.amdhsa_workgroup_processor_mode 1
		.amdhsa_memory_ordered 1
		.amdhsa_forward_progress 0
		.amdhsa_shared_vgpr_count 0
		.amdhsa_exception_fp_ieee_invalid_op 0
		.amdhsa_exception_fp_denorm_src 0
		.amdhsa_exception_fp_ieee_div_zero 0
		.amdhsa_exception_fp_ieee_overflow 0
		.amdhsa_exception_fp_ieee_underflow 0
		.amdhsa_exception_fp_ieee_inexact 0
		.amdhsa_exception_int_div_zero 0
	.end_amdhsa_kernel
	.section	.text._ZN5aiter24add_rmsnorm_quant_kernelIDF16_aLi128ELi8ELb1ELb1ELb0ELi1EEEvPT0_PT_PfS4_S4_S4_diiiiiiib,"axG",@progbits,_ZN5aiter24add_rmsnorm_quant_kernelIDF16_aLi128ELi8ELb1ELb1ELb0ELi1EEEvPT0_PT_PfS4_S4_S4_diiiiiiib,comdat
.Lfunc_end39:
	.size	_ZN5aiter24add_rmsnorm_quant_kernelIDF16_aLi128ELi8ELb1ELb1ELb0ELi1EEEvPT0_PT_PfS4_S4_S4_diiiiiiib, .Lfunc_end39-_ZN5aiter24add_rmsnorm_quant_kernelIDF16_aLi128ELi8ELb1ELb1ELb0ELi1EEEvPT0_PT_PfS4_S4_S4_diiiiiiib
                                        ; -- End function
	.section	.AMDGPU.csdata,"",@progbits
; Kernel info:
; codeLenInByte = 3416
; NumSgprs: 38
; NumVgprs: 25
; ScratchSize: 0
; MemoryBound: 0
; FloatMode: 240
; IeeeMode: 1
; LDSByteSize: 32 bytes/workgroup (compile time only)
; SGPRBlocks: 4
; VGPRBlocks: 3
; NumSGPRsForWavesPerEU: 38
; NumVGPRsForWavesPerEU: 25
; Occupancy: 16
; WaveLimiterHint : 0
; COMPUTE_PGM_RSRC2:SCRATCH_EN: 0
; COMPUTE_PGM_RSRC2:USER_SGPR: 15
; COMPUTE_PGM_RSRC2:TRAP_HANDLER: 0
; COMPUTE_PGM_RSRC2:TGID_X_EN: 1
; COMPUTE_PGM_RSRC2:TGID_Y_EN: 0
; COMPUTE_PGM_RSRC2:TGID_Z_EN: 0
; COMPUTE_PGM_RSRC2:TIDIG_COMP_CNT: 0
	.section	.text._ZN5aiter24add_rmsnorm_quant_kernelItaLi128ELi8ELb1ELb1ELb0ELi1EEEvPT0_PT_PfS4_S4_S4_diiiiiiib,"axG",@progbits,_ZN5aiter24add_rmsnorm_quant_kernelItaLi128ELi8ELb1ELb1ELb0ELi1EEEvPT0_PT_PfS4_S4_S4_diiiiiiib,comdat
	.protected	_ZN5aiter24add_rmsnorm_quant_kernelItaLi128ELi8ELb1ELb1ELb0ELi1EEEvPT0_PT_PfS4_S4_S4_diiiiiiib ; -- Begin function _ZN5aiter24add_rmsnorm_quant_kernelItaLi128ELi8ELb1ELb1ELb0ELi1EEEvPT0_PT_PfS4_S4_S4_diiiiiiib
	.globl	_ZN5aiter24add_rmsnorm_quant_kernelItaLi128ELi8ELb1ELb1ELb0ELi1EEEvPT0_PT_PfS4_S4_S4_diiiiiiib
	.p2align	8
	.type	_ZN5aiter24add_rmsnorm_quant_kernelItaLi128ELi8ELb1ELb1ELb0ELi1EEEvPT0_PT_PfS4_S4_S4_diiiiiiib,@function
_ZN5aiter24add_rmsnorm_quant_kernelItaLi128ELi8ELb1ELb1ELb0ELi1EEEvPT0_PT_PfS4_S4_S4_diiiiiiib: ; @_ZN5aiter24add_rmsnorm_quant_kernelItaLi128ELi8ELb1ELb1ELb0ELi1EEEvPT0_PT_PfS4_S4_S4_diiiiiiib
; %bb.0:
	s_load_b256 s[4:11], s[0:1], 0x38
	s_mov_b32 s34, s15
	s_mov_b32 s35, 0
	s_waitcnt lgkmcnt(0)
	s_ashr_i32 s3, s4, 31
	s_mov_b32 s2, s4
	s_delay_alu instid0(SALU_CYCLE_1) | instskip(NEXT) | instid1(VALU_DEP_1)
	v_cmp_ge_i64_e64 s2, s[34:35], s[2:3]
	s_and_b32 vcc_lo, exec_lo, s2
	s_cbranch_vccnz .LBB40_44
; %bb.1:
	s_clause 0x1
	s_load_b256 s[12:19], s[0:1], 0x0
	s_load_b256 s[20:27], s[0:1], 0x20
	s_ashr_i32 s1, s6, 31
	s_mul_hi_u32 s2, s6, s34
	s_mul_i32 s1, s1, s34
	s_mul_i32 s0, s6, s34
	s_add_i32 s1, s2, s1
	s_mul_hi_u32 s3, s7, s34
	s_lshl_b64 s[0:1], s[0:1], 1
	s_mul_i32 s2, s7, s34
	v_lshlrev_b32_e32 v19, 4, v0
	s_mov_b32 s31, -1
	s_waitcnt lgkmcnt(0)
	s_add_u32 s28, s18, s0
	s_addc_u32 s0, s19, s1
	s_add_i32 s6, s5, 1
	s_ashr_i32 s7, s7, 31
	s_lshr_b32 s18, s6, 31
	s_mul_i32 s7, s7, s34
	s_add_i32 s6, s6, s18
	s_and_b32 s29, s0, 0xffff
	s_lshl_b32 s0, s6, 1
	s_add_i32 s3, s3, s7
	s_and_b32 s30, s0, -4
	s_lshl_b64 s[2:3], s[2:3], 1
	s_and_b32 s1, s23, 0xffff
	buffer_load_b128 v[5:8], v19, s[28:31], 0 offen glc slc
	s_add_u32 s28, s20, s2
	s_addc_u32 s0, s21, s3
	s_mov_b32 s3, s31
	s_and_b32 s29, s0, 0xffff
	s_mov_b32 s0, s22
	buffer_load_b128 v[9:12], v19, s[28:31], 0 offen glc slc
	s_mov_b32 s2, s30
	s_waitcnt vmcnt(1)
	v_lshrrev_b32_e32 v15, 16, v7
	v_and_b32_e32 v17, 0xffff, v7
	v_lshrrev_b32_e32 v14, 16, v6
	v_lshrrev_b32_e32 v18, 16, v8
	s_waitcnt vmcnt(0)
	v_and_b32_e32 v7, 0xffff, v9
	v_lshrrev_b32_e32 v16, 16, v9
	s_delay_alu instid0(VALU_DEP_2) | instskip(SKIP_2) | instid1(VALU_DEP_4)
	v_cvt_f32_u32_e32 v20, v7
	v_and_b32_e32 v13, 0xffff, v5
	v_lshrrev_b32_e32 v5, 16, v5
	v_cvt_f32_u32_e32 v9, v16
	s_delay_alu instid0(VALU_DEP_2) | instskip(NEXT) | instid1(VALU_DEP_1)
	v_cvt_f32_u32_e32 v5, v5
	v_dual_add_f32 v7, v5, v9 :: v_dual_and_b32 v6, 0xffff, v6
	s_delay_alu instid0(VALU_DEP_1) | instskip(SKIP_3) | instid1(VALU_DEP_2)
	v_cvt_f32_u32_e32 v5, v6
	v_and_b32_e32 v16, 0xffff, v8
	v_cvt_f32_u32_e32 v8, v13
	v_lshrrev_b32_e32 v6, 16, v10
	v_add_f32_e32 v8, v8, v20
	v_mul_f32_e32 v20, v7, v7
	buffer_load_b128 v[1:4], v19, s[0:3], 0 offen
	v_cvt_f32_u32_e32 v6, v6
	s_ashr_i32 s0, s8, 31
	s_mul_hi_u32 s1, s8, s34
	v_dual_fmac_f32 v20, v8, v8 :: v_dual_and_b32 v13, 0xffff, v10
	v_cvt_f32_u32_e32 v10, v14
	s_mul_i32 s2, s0, s34
	s_mul_i32 s0, s8, s34
	s_add_i32 s1, s1, s2
	v_cvt_f32_u32_e32 v9, v13
	v_add_f32_e32 v10, v10, v6
	v_cvt_f32_u32_e32 v6, v15
	s_lshl_b64 s[0:1], s[0:1], 1
	s_delay_alu instid0(VALU_DEP_3) | instskip(SKIP_3) | instid1(VALU_DEP_2)
	v_add_f32_e32 v9, v5, v9
	v_cvt_f32_u32_e32 v5, v17
	s_add_u32 s28, s14, s0
	s_addc_u32 s1, s15, s1
	v_dual_fmac_f32 v20, v9, v9 :: v_dual_and_b32 v13, 0xffff, v11
	v_lshrrev_b32_e32 v11, 16, v11
	s_and_b32 s29, s1, 0xffff
	s_delay_alu instid0(VALU_DEP_2) | instskip(NEXT) | instid1(VALU_DEP_3)
	v_fmac_f32_e32 v20, v10, v10
	v_cvt_f32_u32_e32 v13, v13
	v_and_b32_e32 v14, 0xffff, v12
	v_cvt_f32_u32_e32 v15, v11
	s_delay_alu instid0(VALU_DEP_3)
	v_add_f32_e32 v11, v5, v13
	v_cvt_f32_u32_e32 v5, v16
	v_lshrrev_b32_e32 v13, 16, v12
	v_cvt_f32_u32_e32 v14, v14
	v_add_f32_e32 v12, v6, v15
	v_fmac_f32_e32 v20, v11, v11
	v_cvt_f32_u32_e32 v6, v18
	v_cvt_f32_u32_e32 v15, v13
	v_add_f32_e32 v13, v5, v14
	v_perm_b32 v17, v12, v11, 0x7060302
	v_fmac_f32_e32 v20, v12, v12
	v_perm_b32 v16, v10, v9, 0x7060302
	v_add_f32_e32 v14, v6, v15
	v_perm_b32 v15, v7, v8, 0x7060302
	s_delay_alu instid0(VALU_DEP_4) | instskip(NEXT) | instid1(VALU_DEP_1)
	v_fmac_f32_e32 v20, v13, v13
	v_fmac_f32_e32 v20, v14, v14
	s_delay_alu instid0(VALU_DEP_1) | instskip(NEXT) | instid1(VALU_DEP_1)
	v_mov_b32_dpp v5, v20 quad_perm:[1,0,3,2] row_mask:0xf bank_mask:0xf
	v_dual_add_f32 v5, v20, v5 :: v_dual_and_b32 v20, 31, v0
	v_perm_b32 v18, v14, v13, 0x7060302
	s_delay_alu instid0(VALU_DEP_2) | instskip(NEXT) | instid1(VALU_DEP_3)
	v_mov_b32_dpp v6, v5 quad_perm:[2,3,0,1] row_mask:0xf bank_mask:0xf
	v_cmp_eq_u32_e64 s0, 31, v20
	buffer_store_b128 v[15:18], v19, s[28:31], 0 offen glc slc
	;;#ASMSTART
	s_nop 0
	;;#ASMEND
	v_add_f32_e32 v5, v5, v6
	s_delay_alu instid0(VALU_DEP_1) | instskip(NEXT) | instid1(VALU_DEP_1)
	v_mov_b32_dpp v6, v5 row_xmask:7 row_mask:0xf bank_mask:0xf
	v_add_f32_e32 v5, v5, v6
	s_delay_alu instid0(VALU_DEP_1)
	v_mov_b32_dpp v6, v5 row_xmask:15 row_mask:0xf bank_mask:0xf
	s_and_saveexec_b32 s1, s0
	s_cbranch_execz .LBB40_3
; %bb.2:
	s_delay_alu instid0(VALU_DEP_1) | instskip(SKIP_2) | instid1(VALU_DEP_2)
	v_add_f32_e32 v5, v5, v6
	s_mov_b32 s2, 0x76543210
	v_lshrrev_b32_e32 v6, 3, v0
	v_permlanex16_b32 v15, v5, s2, 0xfedcba98 op_sel:[1,1]
	s_delay_alu instid0(VALU_DEP_1)
	v_dual_add_f32 v5, v5, v15 :: v_dual_and_b32 v6, 0x7c, v6
	ds_store_b32 v6, v5 offset:16
.LBB40_3:
	s_or_b32 exec_lo, exec_lo, s1
	v_and_b32_e32 v5, 3, v0
	s_waitcnt vmcnt(0) lgkmcnt(0)
	s_waitcnt_vscnt null, 0x0
	s_barrier
	buffer_gl0_inv
	v_cvt_f32_i32_e32 v16, s5
	v_lshlrev_b32_e32 v6, 2, v5
	s_cmp_lg_u32 s10, 0
	ds_load_b32 v5, v6 offset:16
	s_waitcnt lgkmcnt(0)
	v_mov_b32_dpp v15, v5 quad_perm:[1,0,3,2] row_mask:0xf bank_mask:0xf
	s_delay_alu instid0(VALU_DEP_1) | instskip(NEXT) | instid1(VALU_DEP_1)
	v_add_f32_e32 v5, v5, v15
	v_mov_b32_dpp v15, v5 quad_perm:[2,3,0,1] row_mask:0xf bank_mask:0xf
	s_delay_alu instid0(VALU_DEP_1) | instskip(NEXT) | instid1(VALU_DEP_1)
	v_add_f32_e32 v5, v5, v15
	v_div_scale_f32 v15, null, v16, v16, v5
	v_div_scale_f32 v19, vcc_lo, v5, v16, v5
	s_delay_alu instid0(VALU_DEP_2) | instskip(SKIP_2) | instid1(VALU_DEP_1)
	v_rcp_f32_e32 v17, v15
	s_waitcnt_depctr 0xfff
	v_fma_f32 v18, -v15, v17, 1.0
	v_fmac_f32_e32 v17, v18, v17
	s_delay_alu instid0(VALU_DEP_1) | instskip(NEXT) | instid1(VALU_DEP_1)
	v_mul_f32_e32 v18, v19, v17
	v_fma_f32 v20, -v15, v18, v19
	s_delay_alu instid0(VALU_DEP_1) | instskip(SKIP_1) | instid1(VALU_DEP_2)
	v_fmac_f32_e32 v18, v20, v17
	v_mov_b32_e32 v20, 0x2edbe6ff
	v_fma_f32 v15, -v15, v18, v19
	s_delay_alu instid0(VALU_DEP_1) | instskip(SKIP_2) | instid1(VALU_DEP_3)
	v_div_fmas_f32 v15, v15, v17, v18
	v_and_b32_e32 v18, 0xffff, v3
	v_lshrrev_b32_e32 v3, 16, v3
	v_div_fixup_f32 v5, v15, v16, v5
	s_delay_alu instid0(VALU_DEP_3) | instskip(NEXT) | instid1(VALU_DEP_3)
	v_cvt_f32_u32_e32 v18, v18
	v_cvt_f32_u32_e32 v3, v3
	s_delay_alu instid0(VALU_DEP_3) | instskip(NEXT) | instid1(VALU_DEP_1)
	v_cvt_f64_f32_e32 v[15:16], v5
	v_add_f64 v[15:16], v[15:16], s[24:25]
	s_delay_alu instid0(VALU_DEP_1) | instskip(SKIP_2) | instid1(VALU_DEP_2)
	v_cvt_f32_f64_e32 v5, v[15:16]
	v_and_b32_e32 v16, 0xffff, v1
	v_lshrrev_b32_e32 v1, 16, v1
	v_cvt_f32_u32_e32 v16, v16
	s_delay_alu instid0(VALU_DEP_2) | instskip(SKIP_2) | instid1(VALU_DEP_2)
	v_cvt_f32_u32_e32 v1, v1
	v_mul_f32_e32 v15, 0x4b800000, v5
	v_cmp_gt_f32_e32 vcc_lo, 0x800000, v5
	v_cndmask_b32_e32 v15, v5, v15, vcc_lo
	s_delay_alu instid0(VALU_DEP_1) | instskip(SKIP_2) | instid1(VALU_DEP_1)
	v_rsq_f32_e32 v15, v15
	s_waitcnt_depctr 0xfff
	v_mul_f32_e32 v21, 0x45800000, v15
	v_cndmask_b32_e32 v15, v15, v21, vcc_lo
	v_and_b32_e32 v17, 0xffff, v2
	v_lshrrev_b32_e32 v2, 16, v2
	v_and_b32_e32 v19, 0xffff, v4
	v_lshrrev_b32_e32 v4, 16, v4
	v_mul_f32_e32 v10, v15, v10
	s_delay_alu instid0(VALU_DEP_4) | instskip(NEXT) | instid1(VALU_DEP_4)
	v_cvt_f32_u32_e32 v2, v2
	v_cvt_f32_u32_e32 v19, v19
	s_delay_alu instid0(VALU_DEP_4) | instskip(NEXT) | instid1(VALU_DEP_3)
	v_cvt_f32_u32_e32 v4, v4
	v_dual_mul_f32 v10, v10, v2 :: v_dual_mul_f32 v7, v7, v15
	v_dual_mul_f32 v14, v15, v14 :: v_dual_lshlrev_b32 v5, 3, v0
	v_mul_f32_e32 v8, v8, v15
	v_mul_f32_e32 v22, v15, v12
	v_cvt_f32_u32_e32 v17, v17
	v_mul_f32_e32 v9, v15, v9
	v_dual_mul_f32 v21, v15, v11 :: v_dual_mul_f32 v4, v14, v4
	v_dual_mul_f32 v11, v7, v1 :: v_dual_and_b32 v14, 0x7fffffff, v10
	v_dual_mul_f32 v13, v15, v13 :: v_dual_mul_f32 v12, v8, v16
	v_mul_f32_e32 v8, v22, v3
	s_delay_alu instid0(VALU_DEP_3) | instskip(SKIP_1) | instid1(VALU_DEP_4)
	v_dual_mul_f32 v9, v9, v17 :: v_dual_and_b32 v2, 0x7fffffff, v11
	v_dual_mul_f32 v7, v21, v18 :: v_dual_and_b32 v18, 0x7fffffff, v4
	v_mul_f32_e32 v3, v13, v19
	v_and_b32_e32 v1, 0x7fffffff, v12
	;;#ASMSTART
	v_max3_f32 v1, v20, v1, v2

	;;#ASMEND
	v_and_b32_e32 v16, 0x7fffffff, v8
	v_and_b32_e32 v13, 0x7fffffff, v9
	;;#ASMSTART
	v_max3_f32 v1, v1, v13, v14

	;;#ASMEND
	v_and_b32_e32 v15, 0x7fffffff, v7
	v_and_b32_e32 v17, 0x7fffffff, v3
	;;#ASMSTART
	v_max3_f32 v1, v1, v15, v16

	;;#ASMEND
	;;#ASMSTART
	v_max3_f32 v13, v1, v17, v18

	;;#ASMEND
	s_cbranch_scc0 .LBB40_10
; %bb.4:
	s_ashr_i32 s7, s10, 31
	s_delay_alu instid0(SALU_CYCLE_1) | instskip(NEXT) | instid1(SALU_CYCLE_1)
	s_lshr_b32 s1, s7, 29
	s_add_i32 s1, s10, s1
	s_delay_alu instid0(SALU_CYCLE_1) | instskip(NEXT) | instid1(SALU_CYCLE_1)
	s_ashr_i32 s1, s1, 3
	s_cmp_lt_i32 s1, 8
	s_cbranch_scc1 .LBB40_11
; %bb.5:
	s_cmp_lt_i32 s1, 16
	s_cbranch_scc1 .LBB40_12
; %bb.6:
	;; [unrolled: 3-line block ×3, first 2 shown]
	v_mov_b32_e32 v1, v13
	s_cmp_eq_u32 s1, 32
	s_cbranch_scc0 .LBB40_9
; %bb.8:
	s_delay_alu instid0(VALU_DEP_1) | instskip(SKIP_1) | instid1(VALU_DEP_1)
	v_mov_b32_dpp v1, v13 quad_perm:[1,0,3,2] row_mask:0xf bank_mask:0xf
	s_mov_b32 s2, 0x76543210
	v_cmp_gt_f32_e32 vcc_lo, v13, v1
	v_cndmask_b32_e32 v1, v1, v13, vcc_lo
	s_delay_alu instid0(VALU_DEP_1) | instskip(NEXT) | instid1(VALU_DEP_1)
	v_mov_b32_dpp v2, v1 quad_perm:[2,3,0,1] row_mask:0xf bank_mask:0xf
	v_cmp_gt_f32_e32 vcc_lo, v1, v2
	v_cndmask_b32_e32 v1, v2, v1, vcc_lo
	s_delay_alu instid0(VALU_DEP_1) | instskip(NEXT) | instid1(VALU_DEP_1)
	v_mov_b32_dpp v2, v1 row_xmask:7 row_mask:0xf bank_mask:0xf
	v_cmp_gt_f32_e32 vcc_lo, v1, v2
	v_cndmask_b32_e32 v1, v2, v1, vcc_lo
	s_delay_alu instid0(VALU_DEP_1) | instskip(NEXT) | instid1(VALU_DEP_1)
	v_mov_b32_dpp v2, v1 row_xmask:15 row_mask:0xf bank_mask:0xf
	v_cmp_gt_f32_e32 vcc_lo, v1, v2
	v_cndmask_b32_e32 v1, v2, v1, vcc_lo
	s_delay_alu instid0(VALU_DEP_1) | instskip(NEXT) | instid1(VALU_DEP_1)
	v_permlanex16_b32 v2, v1, s2, 0xfedcba98 op_sel:[1,1]
	v_cmp_gt_f32_e32 vcc_lo, v1, v2
	v_cndmask_b32_e32 v1, v2, v1, vcc_lo
.LBB40_9:
	s_mov_b32 s2, 0
	s_branch .LBB40_14
.LBB40_10:
	s_mov_b32 s1, 0
                                        ; implicit-def: $vgpr14
                                        ; implicit-def: $vgpr1_vgpr2
	s_and_b32 vcc_lo, exec_lo, s31
	s_cbranch_vccnz .LBB40_38
	s_branch .LBB40_41
.LBB40_11:
                                        ; implicit-def: $vgpr1
	s_branch .LBB40_21
.LBB40_12:
                                        ; implicit-def: $vgpr1
	s_branch .LBB40_18
.LBB40_13:
	s_mov_b32 s2, -1
                                        ; implicit-def: $vgpr1
.LBB40_14:
	s_delay_alu instid0(SALU_CYCLE_1)
	s_and_not1_b32 vcc_lo, exec_lo, s2
	s_cbranch_vccnz .LBB40_17
; %bb.15:
	v_mov_b32_e32 v1, v13
	s_cmp_eq_u32 s1, 16
	s_cbranch_scc0 .LBB40_17
; %bb.16:
	s_delay_alu instid0(VALU_DEP_1) | instskip(NEXT) | instid1(VALU_DEP_1)
	v_mov_b32_dpp v1, v13 quad_perm:[1,0,3,2] row_mask:0xf bank_mask:0xf
	v_cmp_gt_f32_e32 vcc_lo, v13, v1
	v_cndmask_b32_e32 v1, v1, v13, vcc_lo
	s_delay_alu instid0(VALU_DEP_1) | instskip(NEXT) | instid1(VALU_DEP_1)
	v_mov_b32_dpp v2, v1 quad_perm:[2,3,0,1] row_mask:0xf bank_mask:0xf
	v_cmp_gt_f32_e32 vcc_lo, v1, v2
	v_cndmask_b32_e32 v1, v2, v1, vcc_lo
	s_delay_alu instid0(VALU_DEP_1) | instskip(NEXT) | instid1(VALU_DEP_1)
	v_mov_b32_dpp v2, v1 row_half_mirror row_mask:0xf bank_mask:0xf
	v_cmp_gt_f32_e32 vcc_lo, v1, v2
	v_cndmask_b32_e32 v1, v2, v1, vcc_lo
	s_delay_alu instid0(VALU_DEP_1) | instskip(NEXT) | instid1(VALU_DEP_1)
	v_mov_b32_dpp v2, v1 row_mirror row_mask:0xf bank_mask:0xf
	v_cmp_gt_f32_e32 vcc_lo, v1, v2
	v_cndmask_b32_e32 v1, v2, v1, vcc_lo
.LBB40_17:
	s_cbranch_execnz .LBB40_20
.LBB40_18:
	v_mov_b32_e32 v1, v13
	s_cmp_eq_u32 s1, 8
	s_cbranch_scc0 .LBB40_20
; %bb.19:
	s_delay_alu instid0(VALU_DEP_1) | instskip(NEXT) | instid1(VALU_DEP_1)
	v_mov_b32_dpp v1, v13 quad_perm:[1,0,3,2] row_mask:0xf bank_mask:0xf
	v_cmp_gt_f32_e32 vcc_lo, v13, v1
	v_cndmask_b32_e32 v1, v1, v13, vcc_lo
	s_delay_alu instid0(VALU_DEP_1) | instskip(NEXT) | instid1(VALU_DEP_1)
	v_mov_b32_dpp v2, v1 quad_perm:[2,3,0,1] row_mask:0xf bank_mask:0xf
	v_cmp_gt_f32_e32 vcc_lo, v1, v2
	v_cndmask_b32_e32 v1, v2, v1, vcc_lo
	s_delay_alu instid0(VALU_DEP_1) | instskip(NEXT) | instid1(VALU_DEP_1)
	v_mov_b32_dpp v2, v1 row_half_mirror row_mask:0xf bank_mask:0xf
	v_cmp_gt_f32_e32 vcc_lo, v1, v2
	v_cndmask_b32_e32 v1, v2, v1, vcc_lo
.LBB40_20:
	s_cbranch_execnz .LBB40_28
.LBB40_21:
	s_cmp_lt_i32 s1, 4
	s_cbranch_scc1 .LBB40_24
; %bb.22:
	v_mov_b32_e32 v1, v13
	s_cmp_eq_u32 s1, 4
	s_cbranch_scc0 .LBB40_25
; %bb.23:
	s_delay_alu instid0(VALU_DEP_1) | instskip(NEXT) | instid1(VALU_DEP_1)
	v_mov_b32_dpp v1, v13 quad_perm:[1,0,3,2] row_mask:0xf bank_mask:0xf
	v_cmp_gt_f32_e32 vcc_lo, v13, v1
	v_cndmask_b32_e32 v1, v1, v13, vcc_lo
	s_delay_alu instid0(VALU_DEP_1) | instskip(NEXT) | instid1(VALU_DEP_1)
	v_mov_b32_dpp v2, v1 quad_perm:[2,3,0,1] row_mask:0xf bank_mask:0xf
	v_cmp_gt_f32_e32 vcc_lo, v1, v2
	v_cndmask_b32_e32 v1, v2, v1, vcc_lo
	s_cbranch_execz .LBB40_26
	s_branch .LBB40_28
.LBB40_24:
                                        ; implicit-def: $vgpr1
	s_branch .LBB40_26
.LBB40_25:
	s_cbranch_execnz .LBB40_28
.LBB40_26:
	v_mov_b32_e32 v1, v13
	s_cmp_lg_u32 s1, 2
	s_cbranch_scc1 .LBB40_28
; %bb.27:
	s_delay_alu instid0(VALU_DEP_1) | instskip(NEXT) | instid1(VALU_DEP_1)
	v_mov_b32_dpp v1, v13 quad_perm:[1,0,3,2] row_mask:0xf bank_mask:0xf
	v_cmp_gt_f32_e32 vcc_lo, v13, v1
	v_cndmask_b32_e32 v1, v1, v13, vcc_lo
.LBB40_28:
	v_cvt_f32_u32_e32 v2, s1
	s_sub_i32 s2, 0, s1
	s_mov_b32 s31, 0
	s_delay_alu instid0(VALU_DEP_1) | instskip(SKIP_2) | instid1(VALU_DEP_1)
	v_rcp_iflag_f32_e32 v2, v2
	s_waitcnt_depctr 0xfff
	v_mul_f32_e32 v2, 0x4f7ffffe, v2
	v_cvt_u32_f32_e32 v2, v2
	s_delay_alu instid0(VALU_DEP_1) | instskip(NEXT) | instid1(VALU_DEP_1)
	v_mul_lo_u32 v14, s2, v2
	v_mul_hi_u32 v14, v2, v14
	s_delay_alu instid0(VALU_DEP_1) | instskip(NEXT) | instid1(VALU_DEP_1)
	v_add_nc_u32_e32 v2, v2, v14
	v_mul_hi_u32 v2, v0, v2
	s_delay_alu instid0(VALU_DEP_1) | instskip(NEXT) | instid1(VALU_DEP_1)
	v_mul_lo_u32 v14, v2, s1
	v_sub_nc_u32_e32 v14, v0, v14
	s_delay_alu instid0(VALU_DEP_1) | instskip(SKIP_1) | instid1(VALU_DEP_2)
	v_subrev_nc_u32_e32 v16, s1, v14
	v_cmp_le_u32_e32 vcc_lo, s1, v14
	v_dual_cndmask_b32 v14, v14, v16 :: v_dual_add_nc_u32 v15, 1, v2
	s_delay_alu instid0(VALU_DEP_1) | instskip(NEXT) | instid1(VALU_DEP_2)
	v_cndmask_b32_e32 v2, v2, v15, vcc_lo
	v_cmp_le_u32_e32 vcc_lo, s1, v14
	s_delay_alu instid0(VALU_DEP_2) | instskip(NEXT) | instid1(VALU_DEP_1)
	v_dual_mul_f32 v14, 0x3c010204, v1 :: v_dual_add_nc_u32 v15, 1, v2
	v_cndmask_b32_e32 v15, v2, v15, vcc_lo
	v_cmp_gt_u32_e32 vcc_lo, s5, v5
	s_delay_alu instid0(VALU_DEP_2) | instskip(NEXT) | instid1(VALU_DEP_1)
	v_mul_lo_u32 v2, v15, s1
	v_sub_nc_u32_e32 v2, v0, v2
	s_delay_alu instid0(VALU_DEP_1) | instskip(NEXT) | instid1(VALU_DEP_1)
	v_cmp_eq_u32_e64 s1, 0, v2
                                        ; implicit-def: $vgpr1_vgpr2
	s_and_b32 s2, s1, vcc_lo
	s_mov_b32 s1, 0
	s_and_saveexec_b32 s3, s2
	s_delay_alu instid0(SALU_CYCLE_1)
	s_xor_b32 s8, exec_lo, s3
	s_cbranch_execz .LBB40_37
; %bb.29:
	s_bitcmp0_b32 s11, 0
	s_mov_b32 s6, 0
	s_cbranch_scc0 .LBB40_34
; %bb.30:
	s_ashr_i32 s1, s5, 31
	s_mul_hi_u32 s3, s5, s34
	s_mul_i32 s1, s1, s34
	s_mul_i32 s2, s5, s34
	s_add_i32 s3, s3, s1
	s_mov_b32 s11, s7
	s_delay_alu instid0(SALU_CYCLE_1) | instskip(NEXT) | instid1(SALU_CYCLE_1)
	s_or_b64 s[14:15], s[2:3], s[10:11]
	s_mov_b32 s7, s15
	s_delay_alu instid0(SALU_CYCLE_1)
	s_cmp_lg_u64 s[6:7], 0
	s_cbranch_scc0 .LBB40_45
; %bb.31:
	s_add_u32 s14, s10, s11
	s_mov_b32 s6, s11
	s_mov_b32 s7, s11
	s_addc_u32 s15, s11, s11
	s_delay_alu instid0(SALU_CYCLE_1) | instskip(NEXT) | instid1(SALU_CYCLE_1)
	s_xor_b64 s[14:15], s[14:15], s[6:7]
	v_cvt_f32_u32_e32 v1, s14
	v_cvt_f32_u32_e32 v2, s15
	s_sub_u32 s18, 0, s14
	s_subb_u32 s19, 0, s15
	s_delay_alu instid0(VALU_DEP_1) | instskip(NEXT) | instid1(VALU_DEP_1)
	v_fmamk_f32 v1, v2, 0x4f800000, v1
	v_rcp_f32_e32 v1, v1
	s_waitcnt_depctr 0xfff
	v_mul_f32_e32 v1, 0x5f7ffffc, v1
	s_delay_alu instid0(VALU_DEP_1) | instskip(NEXT) | instid1(VALU_DEP_1)
	v_mul_f32_e32 v2, 0x2f800000, v1
	v_trunc_f32_e32 v2, v2
	s_delay_alu instid0(VALU_DEP_1) | instskip(SKIP_1) | instid1(VALU_DEP_2)
	v_fmamk_f32 v1, v2, 0xcf800000, v1
	v_cvt_u32_f32_e32 v2, v2
	v_cvt_u32_f32_e32 v1, v1
	s_delay_alu instid0(VALU_DEP_2) | instskip(NEXT) | instid1(VALU_DEP_2)
	v_readfirstlane_b32 s1, v2
	v_readfirstlane_b32 s11, v1
	s_delay_alu instid0(VALU_DEP_2) | instskip(NEXT) | instid1(VALU_DEP_1)
	s_mul_i32 s20, s18, s1
	s_mul_hi_u32 s22, s18, s11
	s_mul_i32 s21, s19, s11
	s_add_i32 s20, s22, s20
	s_mul_i32 s23, s18, s11
	s_add_i32 s20, s20, s21
	s_mul_hi_u32 s22, s11, s23
	s_mul_hi_u32 s24, s1, s23
	s_mul_i32 s21, s1, s23
	s_mul_hi_u32 s23, s11, s20
	s_mul_i32 s11, s11, s20
	s_mul_hi_u32 s25, s1, s20
	s_add_u32 s11, s22, s11
	s_addc_u32 s22, 0, s23
	s_add_u32 s11, s11, s21
	s_mul_i32 s20, s1, s20
	s_addc_u32 s11, s22, s24
	s_addc_u32 s21, s25, 0
	s_add_u32 s11, s11, s20
	s_addc_u32 s20, 0, s21
	v_add_co_u32 v1, s11, v1, s11
	s_delay_alu instid0(VALU_DEP_1) | instskip(SKIP_1) | instid1(VALU_DEP_1)
	s_cmp_lg_u32 s11, 0
	s_addc_u32 s1, s1, s20
	v_readfirstlane_b32 s11, v1
	s_mul_i32 s20, s18, s1
	s_delay_alu instid0(VALU_DEP_1)
	s_mul_hi_u32 s21, s18, s11
	s_mul_i32 s19, s19, s11
	s_add_i32 s20, s21, s20
	s_mul_i32 s18, s18, s11
	s_add_i32 s20, s20, s19
	s_mul_hi_u32 s21, s1, s18
	s_mul_i32 s22, s1, s18
	s_mul_hi_u32 s18, s11, s18
	s_mul_hi_u32 s23, s11, s20
	s_mul_i32 s11, s11, s20
	s_mul_hi_u32 s19, s1, s20
	s_add_u32 s11, s18, s11
	s_addc_u32 s18, 0, s23
	s_add_u32 s11, s11, s22
	s_mul_i32 s20, s1, s20
	s_addc_u32 s11, s18, s21
	s_addc_u32 s18, s19, 0
	s_add_u32 s11, s11, s20
	s_addc_u32 s18, 0, s18
	v_add_co_u32 v1, s11, v1, s11
	s_delay_alu instid0(VALU_DEP_1) | instskip(SKIP_2) | instid1(SALU_CYCLE_1)
	s_cmp_lg_u32 s11, 0
	s_addc_u32 s1, s1, s18
	s_ashr_i32 s18, s3, 31
	s_add_u32 s20, s2, s18
	s_addc_u32 s21, s3, s18
	v_readfirstlane_b32 s3, v1
	s_mov_b32 s19, s18
	s_delay_alu instid0(SALU_CYCLE_1) | instskip(NEXT) | instid1(SALU_CYCLE_1)
	s_xor_b64 s[20:21], s[20:21], s[18:19]
	s_mul_i32 s22, s20, s1
	s_delay_alu instid0(VALU_DEP_1)
	s_mul_hi_u32 s23, s20, s3
	s_mul_hi_u32 s11, s20, s1
	;; [unrolled: 1-line block ×3, first 2 shown]
	s_mul_i32 s3, s21, s3
	s_add_u32 s22, s23, s22
	s_addc_u32 s11, 0, s11
	s_mul_hi_u32 s24, s21, s1
	s_add_u32 s3, s22, s3
	s_mul_i32 s1, s21, s1
	s_addc_u32 s3, s11, s25
	s_addc_u32 s11, s24, 0
	s_add_u32 s3, s3, s1
	s_addc_u32 s11, 0, s11
	s_mul_i32 s24, s14, s3
	s_mul_hi_u32 s1, s14, s3
	s_mul_i32 s23, s14, s11
	v_sub_co_u32 v1, s20, s20, s24
	s_mul_i32 s22, s15, s3
	s_add_i32 s1, s1, s23
	s_delay_alu instid0(SALU_CYCLE_1) | instskip(NEXT) | instid1(VALU_DEP_1)
	s_add_i32 s1, s1, s22
	v_sub_co_u32 v2, s23, v1, s14
	s_sub_i32 s22, s21, s1
	s_cmp_lg_u32 s20, 0
	s_subb_u32 s22, s22, s15
	s_cmp_lg_u32 s23, 0
	v_cmp_le_u32_e32 vcc_lo, s14, v2
	s_subb_u32 s22, s22, 0
	s_delay_alu instid0(SALU_CYCLE_1)
	s_cmp_ge_u32 s22, s15
	v_cndmask_b32_e64 v2, 0, -1, vcc_lo
	s_cselect_b32 s23, -1, 0
	s_cmp_eq_u32 s22, s15
	s_cselect_b32 vcc_lo, -1, 0
	s_add_u32 s22, s3, 1
	v_cndmask_b32_e32 v2, s23, v2, vcc_lo
	s_addc_u32 s23, s11, 0
	s_add_u32 s24, s3, 2
	s_addc_u32 s25, s11, 0
	s_cmp_lg_u32 s20, 0
	v_cmp_le_u32_e32 vcc_lo, s14, v1
	s_subb_u32 s1, s21, s1
	v_mov_b32_e32 v16, s24
	s_cmp_ge_u32 s1, s15
	v_cndmask_b32_e64 v1, 0, -1, vcc_lo
	s_cselect_b32 s14, -1, 0
	s_cmp_eq_u32 s1, s15
	v_cmp_ne_u32_e32 vcc_lo, 0, v2
	v_mov_b32_e32 v2, s25
	s_cselect_b32 s1, -1, 0
	s_xor_b64 s[6:7], s[18:19], s[6:7]
	v_cndmask_b32_e64 v1, s14, v1, s1
	v_cndmask_b32_e32 v16, s22, v16, vcc_lo
	v_cndmask_b32_e32 v2, s23, v2, vcc_lo
	s_delay_alu instid0(VALU_DEP_3) | instskip(NEXT) | instid1(VALU_DEP_2)
	v_cmp_ne_u32_e32 vcc_lo, 0, v1
	v_cndmask_b32_e32 v1, s11, v2, vcc_lo
	s_delay_alu instid0(VALU_DEP_4) | instskip(NEXT) | instid1(VALU_DEP_2)
	v_cndmask_b32_e32 v2, s3, v16, vcc_lo
	v_xor_b32_e32 v16, s7, v1
	s_delay_alu instid0(VALU_DEP_2) | instskip(NEXT) | instid1(VALU_DEP_1)
	v_xor_b32_e32 v2, s6, v2
	v_sub_co_u32 v1, vcc_lo, v2, s6
	s_delay_alu instid0(VALU_DEP_3)
	v_subrev_co_ci_u32_e32 v2, vcc_lo, s7, v16, vcc_lo
	s_cbranch_execnz .LBB40_33
.LBB40_32:
	v_cvt_f32_u32_e32 v1, s10
	s_sub_i32 s3, 0, s10
	s_delay_alu instid0(VALU_DEP_1) | instskip(SKIP_2) | instid1(VALU_DEP_1)
	v_rcp_iflag_f32_e32 v1, v1
	s_waitcnt_depctr 0xfff
	v_mul_f32_e32 v1, 0x4f7ffffe, v1
	v_cvt_u32_f32_e32 v1, v1
	s_delay_alu instid0(VALU_DEP_1) | instskip(NEXT) | instid1(VALU_DEP_1)
	v_readfirstlane_b32 s1, v1
	s_mul_i32 s3, s3, s1
	s_delay_alu instid0(SALU_CYCLE_1) | instskip(NEXT) | instid1(SALU_CYCLE_1)
	s_mul_hi_u32 s3, s1, s3
	s_add_i32 s1, s1, s3
	s_delay_alu instid0(SALU_CYCLE_1) | instskip(NEXT) | instid1(SALU_CYCLE_1)
	s_mul_hi_u32 s1, s2, s1
	s_mul_i32 s3, s1, s10
	s_delay_alu instid0(SALU_CYCLE_1)
	s_sub_i32 s2, s2, s3
	s_add_i32 s3, s1, 1
	s_sub_i32 s6, s2, s10
	s_cmp_ge_u32 s2, s10
	s_cselect_b32 s1, s3, s1
	s_cselect_b32 s2, s6, s2
	s_add_i32 s6, s1, 1
	s_cmp_ge_u32 s2, s10
	s_mov_b32 s3, 0
	s_cselect_b32 s2, s6, s1
	s_delay_alu instid0(SALU_CYCLE_1)
	v_dual_mov_b32 v1, s2 :: v_dual_mov_b32 v2, s3
.LBB40_33:
	s_delay_alu instid0(VALU_DEP_1) | instskip(NEXT) | instid1(VALU_DEP_2)
	v_add_co_u32 v1, vcc_lo, v1, v15
	v_add_co_ci_u32_e32 v2, vcc_lo, 0, v2, vcc_lo
	s_branch .LBB40_36
.LBB40_34:
                                        ; implicit-def: $vgpr1_vgpr2
	s_cbranch_execz .LBB40_36
; %bb.35:
	v_mul_lo_u32 v1, v15, s4
	s_delay_alu instid0(VALU_DEP_1) | instskip(SKIP_1) | instid1(VALU_DEP_2)
	v_ashrrev_i32_e32 v2, 31, v1
	v_add_co_u32 v1, vcc_lo, v1, s34
	v_add_co_ci_u32_e32 v2, vcc_lo, 0, v2, vcc_lo
.LBB40_36:
	s_mov_b32 s1, exec_lo
.LBB40_37:
	s_or_b32 exec_lo, exec_lo, s8
	s_delay_alu instid0(SALU_CYCLE_1)
	s_and_b32 vcc_lo, exec_lo, s31
	s_cbranch_vccz .LBB40_41
.LBB40_38:
	v_mov_b32_dpp v1, v13 quad_perm:[1,0,3,2] row_mask:0xf bank_mask:0xf
	s_delay_alu instid0(VALU_DEP_1) | instskip(SKIP_1) | instid1(VALU_DEP_1)
	v_cmp_gt_f32_e32 vcc_lo, v13, v1
	v_cndmask_b32_e32 v1, v1, v13, vcc_lo
	v_mov_b32_dpp v2, v1 quad_perm:[2,3,0,1] row_mask:0xf bank_mask:0xf
	s_delay_alu instid0(VALU_DEP_1) | instskip(SKIP_1) | instid1(VALU_DEP_1)
	v_cmp_gt_f32_e32 vcc_lo, v1, v2
	v_cndmask_b32_e32 v1, v2, v1, vcc_lo
	v_mov_b32_dpp v2, v1 row_xmask:7 row_mask:0xf bank_mask:0xf
	s_delay_alu instid0(VALU_DEP_1) | instskip(SKIP_1) | instid1(VALU_DEP_1)
	v_cmp_gt_f32_e32 vcc_lo, v1, v2
	v_cndmask_b32_e32 v1, v2, v1, vcc_lo
	v_mov_b32_dpp v2, v1 row_xmask:15 row_mask:0xf bank_mask:0xf
	s_delay_alu instid0(VALU_DEP_1)
	v_cmp_gt_f32_e32 vcc_lo, v1, v2
	s_and_saveexec_b32 s1, s0
	s_cbranch_execz .LBB40_40
; %bb.39:
	v_cndmask_b32_e32 v1, v2, v1, vcc_lo
	v_lshrrev_b32_e32 v2, 3, v0
	s_mov_b32 s0, 0x76543210
	s_delay_alu instid0(VALU_DEP_1) | instskip(NEXT) | instid1(VALU_DEP_3)
	v_and_b32_e32 v2, 0x7c, v2
	v_permlanex16_b32 v13, v1, s0, 0xfedcba98 op_sel:[1,1]
	s_delay_alu instid0(VALU_DEP_1)
	v_cmp_gt_f32_e32 vcc_lo, v1, v13
	v_cndmask_b32_e32 v1, v13, v1, vcc_lo
	ds_store_b32 v2, v1
.LBB40_40:
	s_or_b32 exec_lo, exec_lo, s1
	s_waitcnt lgkmcnt(0)
	s_barrier
	buffer_gl0_inv
	ds_load_b32 v1, v6
	v_cmp_eq_u32_e64 s1, 0, v0
	s_waitcnt lgkmcnt(0)
	v_mov_b32_dpp v2, v1 quad_perm:[1,0,3,2] row_mask:0xf bank_mask:0xf
	s_delay_alu instid0(VALU_DEP_1) | instskip(SKIP_1) | instid1(VALU_DEP_1)
	v_cmp_gt_f32_e32 vcc_lo, v1, v2
	v_cndmask_b32_e32 v1, v2, v1, vcc_lo
	v_mov_b32_dpp v2, v1 quad_perm:[2,3,0,1] row_mask:0xf bank_mask:0xf
	s_delay_alu instid0(VALU_DEP_1) | instskip(SKIP_1) | instid1(VALU_DEP_1)
	v_cmp_gt_f32_e32 vcc_lo, v1, v2
	v_cndmask_b32_e32 v1, v2, v1, vcc_lo
	v_dual_mul_f32 v14, 0x3c010204, v1 :: v_dual_mov_b32 v1, s34
	v_mov_b32_e32 v2, s35
.LBB40_41:
	s_and_saveexec_b32 s0, s1
	s_cbranch_execz .LBB40_43
; %bb.42:
	s_delay_alu instid0(VALU_DEP_1) | instskip(NEXT) | instid1(VALU_DEP_1)
	v_lshlrev_b64 v[0:1], 2, v[1:2]
	v_add_co_u32 v0, vcc_lo, s16, v0
	s_delay_alu instid0(VALU_DEP_2)
	v_add_co_ci_u32_e32 v1, vcc_lo, s17, v1, vcc_lo
	global_store_b32 v[0:1], v14, off
.LBB40_43:
	s_or_b32 exec_lo, exec_lo, s0
	;;#ASMSTART
	v_rcp_f32 v0, v14
	;;#ASMEND
	v_mul_f32_e32 v7, v7, v0
	v_mul_f32_e32 v1, v12, v0
	;; [unrolled: 1-line block ×4, first 2 shown]
	s_add_i32 s0, s5, 3
	v_cvt_i32_f32_e32 v7, v7
	v_mul_f32_e32 v2, v11, v0
	v_cvt_i32_f32_e32 v1, v1
	v_mul_f32_e32 v6, v9, v0
	v_cvt_i32_f32_e32 v4, v4
	v_and_b32_e32 v7, 0xff, v7
	v_cvt_i32_f32_e32 v2, v2
	v_and_b32_e32 v1, 0xff, v1
	s_ashr_i32 s1, s0, 31
	v_lshlrev_b16 v4, 8, v4
	s_lshr_b32 s1, s1, 30
	v_lshlrev_b16 v2, 8, v2
	s_add_i32 s0, s0, s1
	s_ashr_i32 s1, s9, 31
	s_and_b32 s2, s0, -4
	s_mul_hi_u32 s0, s9, s34
	v_or_b32_e32 v1, v1, v2
	v_mul_f32_e32 v9, v10, v0
	v_mul_f32_e32 v0, v3, v0
	v_cvt_i32_f32_e32 v3, v6
	s_mul_i32 s1, s1, s34
	s_mul_i32 s3, s9, s34
	s_add_i32 s1, s0, s1
	v_cvt_i32_f32_e32 v0, v0
	v_and_b32_e32 v3, 0xff, v3
	v_cvt_i32_f32_e32 v6, v8
	s_add_u32 s0, s12, s3
	s_addc_u32 s1, s13, s1
	v_and_b32_e32 v0, 0xff, v0
	s_and_b32 s1, s1, 0xffff
	v_lshlrev_b16 v6, 8, v6
	s_mov_b32 s3, -1
	s_delay_alu instid0(VALU_DEP_2) | instskip(SKIP_3) | instid1(VALU_DEP_4)
	v_or_b32_e32 v0, v0, v4
	v_and_b32_e32 v4, 0xffff, v1
	v_cvt_i32_f32_e32 v8, v9
	v_or_b32_e32 v6, v7, v6
	v_lshlrev_b32_e32 v0, 16, v0
	s_delay_alu instid0(VALU_DEP_3) | instskip(NEXT) | instid1(VALU_DEP_1)
	v_lshlrev_b16 v8, 8, v8
	v_or_b32_e32 v2, v3, v8
	s_delay_alu instid0(VALU_DEP_4) | instskip(NEXT) | instid1(VALU_DEP_2)
	v_and_b32_e32 v3, 0xffff, v6
	v_lshlrev_b32_e32 v2, 16, v2
	s_delay_alu instid0(VALU_DEP_2) | instskip(NEXT) | instid1(VALU_DEP_2)
	v_or_b32_e32 v1, v3, v0
	v_or_b32_e32 v0, v4, v2
	buffer_store_b64 v[0:1], v5, s[0:3], 0 offen
	;;#ASMSTART
	s_nop 0
	;;#ASMEND
.LBB40_44:
	s_nop 0
	s_sendmsg sendmsg(MSG_DEALLOC_VGPRS)
	s_endpgm
.LBB40_45:
                                        ; implicit-def: $vgpr1_vgpr2
	s_branch .LBB40_32
	.section	.rodata,"a",@progbits
	.p2align	6, 0x0
	.amdhsa_kernel _ZN5aiter24add_rmsnorm_quant_kernelItaLi128ELi8ELb1ELb1ELb0ELi1EEEvPT0_PT_PfS4_S4_S4_diiiiiiib
		.amdhsa_group_segment_fixed_size 32
		.amdhsa_private_segment_fixed_size 0
		.amdhsa_kernarg_size 88
		.amdhsa_user_sgpr_count 15
		.amdhsa_user_sgpr_dispatch_ptr 0
		.amdhsa_user_sgpr_queue_ptr 0
		.amdhsa_user_sgpr_kernarg_segment_ptr 1
		.amdhsa_user_sgpr_dispatch_id 0
		.amdhsa_user_sgpr_private_segment_size 0
		.amdhsa_wavefront_size32 1
		.amdhsa_uses_dynamic_stack 0
		.amdhsa_enable_private_segment 0
		.amdhsa_system_sgpr_workgroup_id_x 1
		.amdhsa_system_sgpr_workgroup_id_y 0
		.amdhsa_system_sgpr_workgroup_id_z 0
		.amdhsa_system_sgpr_workgroup_info 0
		.amdhsa_system_vgpr_workitem_id 0
		.amdhsa_next_free_vgpr 23
		.amdhsa_next_free_sgpr 36
		.amdhsa_reserve_vcc 1
		.amdhsa_float_round_mode_32 0
		.amdhsa_float_round_mode_16_64 0
		.amdhsa_float_denorm_mode_32 3
		.amdhsa_float_denorm_mode_16_64 3
		.amdhsa_dx10_clamp 1
		.amdhsa_ieee_mode 1
		.amdhsa_fp16_overflow 0
		.amdhsa_workgroup_processor_mode 1
		.amdhsa_memory_ordered 1
		.amdhsa_forward_progress 0
		.amdhsa_shared_vgpr_count 0
		.amdhsa_exception_fp_ieee_invalid_op 0
		.amdhsa_exception_fp_denorm_src 0
		.amdhsa_exception_fp_ieee_div_zero 0
		.amdhsa_exception_fp_ieee_overflow 0
		.amdhsa_exception_fp_ieee_underflow 0
		.amdhsa_exception_fp_ieee_inexact 0
		.amdhsa_exception_int_div_zero 0
	.end_amdhsa_kernel
	.section	.text._ZN5aiter24add_rmsnorm_quant_kernelItaLi128ELi8ELb1ELb1ELb0ELi1EEEvPT0_PT_PfS4_S4_S4_diiiiiiib,"axG",@progbits,_ZN5aiter24add_rmsnorm_quant_kernelItaLi128ELi8ELb1ELb1ELb0ELi1EEEvPT0_PT_PfS4_S4_S4_diiiiiiib,comdat
.Lfunc_end40:
	.size	_ZN5aiter24add_rmsnorm_quant_kernelItaLi128ELi8ELb1ELb1ELb0ELi1EEEvPT0_PT_PfS4_S4_S4_diiiiiiib, .Lfunc_end40-_ZN5aiter24add_rmsnorm_quant_kernelItaLi128ELi8ELb1ELb1ELb0ELi1EEEvPT0_PT_PfS4_S4_S4_diiiiiiib
                                        ; -- End function
	.section	.AMDGPU.csdata,"",@progbits
; Kernel info:
; codeLenInByte = 3512
; NumSgprs: 38
; NumVgprs: 23
; ScratchSize: 0
; MemoryBound: 0
; FloatMode: 240
; IeeeMode: 1
; LDSByteSize: 32 bytes/workgroup (compile time only)
; SGPRBlocks: 4
; VGPRBlocks: 2
; NumSGPRsForWavesPerEU: 38
; NumVGPRsForWavesPerEU: 23
; Occupancy: 16
; WaveLimiterHint : 0
; COMPUTE_PGM_RSRC2:SCRATCH_EN: 0
; COMPUTE_PGM_RSRC2:USER_SGPR: 15
; COMPUTE_PGM_RSRC2:TRAP_HANDLER: 0
; COMPUTE_PGM_RSRC2:TGID_X_EN: 1
; COMPUTE_PGM_RSRC2:TGID_Y_EN: 0
; COMPUTE_PGM_RSRC2:TGID_Z_EN: 0
; COMPUTE_PGM_RSRC2:TIDIG_COMP_CNT: 0
	.section	.text._ZN5aiter24add_rmsnorm_quant_kernelIDF16_aLi256ELi8ELb1ELb1ELb1ELi1EEEvPT0_PT_PfS4_S4_S4_diiiiiiib,"axG",@progbits,_ZN5aiter24add_rmsnorm_quant_kernelIDF16_aLi256ELi8ELb1ELb1ELb1ELi1EEEvPT0_PT_PfS4_S4_S4_diiiiiiib,comdat
	.protected	_ZN5aiter24add_rmsnorm_quant_kernelIDF16_aLi256ELi8ELb1ELb1ELb1ELi1EEEvPT0_PT_PfS4_S4_S4_diiiiiiib ; -- Begin function _ZN5aiter24add_rmsnorm_quant_kernelIDF16_aLi256ELi8ELb1ELb1ELb1ELi1EEEvPT0_PT_PfS4_S4_S4_diiiiiiib
	.globl	_ZN5aiter24add_rmsnorm_quant_kernelIDF16_aLi256ELi8ELb1ELb1ELb1ELi1EEEvPT0_PT_PfS4_S4_S4_diiiiiiib
	.p2align	8
	.type	_ZN5aiter24add_rmsnorm_quant_kernelIDF16_aLi256ELi8ELb1ELb1ELb1ELi1EEEvPT0_PT_PfS4_S4_S4_diiiiiiib,@function
_ZN5aiter24add_rmsnorm_quant_kernelIDF16_aLi256ELi8ELb1ELb1ELb1ELi1EEEvPT0_PT_PfS4_S4_S4_diiiiiiib: ; @_ZN5aiter24add_rmsnorm_quant_kernelIDF16_aLi256ELi8ELb1ELb1ELb1ELi1EEEvPT0_PT_PfS4_S4_S4_diiiiiiib
; %bb.0:
	s_load_b256 s[4:11], s[0:1], 0x38
	s_mov_b32 s34, s15
	s_mov_b32 s35, 0
	s_waitcnt lgkmcnt(0)
	s_ashr_i32 s3, s4, 31
	s_mov_b32 s2, s4
	s_delay_alu instid0(SALU_CYCLE_1) | instskip(NEXT) | instid1(VALU_DEP_1)
	v_cmp_ge_i64_e64 s2, s[34:35], s[2:3]
	s_and_b32 vcc_lo, exec_lo, s2
	s_cbranch_vccnz .LBB41_44
; %bb.1:
	s_clause 0x1
	s_load_b256 s[12:19], s[0:1], 0x0
	s_load_b256 s[20:27], s[0:1], 0x20
	s_ashr_i32 s1, s6, 31
	s_mul_hi_u32 s2, s6, s34
	s_mul_i32 s1, s1, s34
	s_mul_i32 s0, s6, s34
	s_add_i32 s1, s2, s1
	s_mul_hi_u32 s3, s7, s34
	s_lshl_b64 s[0:1], s[0:1], 1
	s_mul_i32 s2, s7, s34
	v_lshlrev_b32_e32 v19, 4, v0
	s_mov_b32 s31, -1
	v_and_b32_e32 v20, 31, v0
	s_waitcnt lgkmcnt(0)
	s_add_u32 s28, s18, s0
	s_addc_u32 s0, s19, s1
	s_add_i32 s6, s5, 1
	s_ashr_i32 s7, s7, 31
	s_lshr_b32 s18, s6, 31
	s_mul_i32 s7, s7, s34
	s_add_i32 s6, s6, s18
	s_and_b32 s29, s0, 0xffff
	s_lshl_b32 s0, s6, 1
	s_add_i32 s3, s3, s7
	s_and_b32 s30, s0, -4
	s_lshl_b64 s[2:3], s[2:3], 1
	s_and_b32 s1, s23, 0xffff
	buffer_load_b128 v[9:12], v19, s[28:31], 0 offen glc slc
	s_add_u32 s28, s20, s2
	s_addc_u32 s0, s21, s3
	s_mov_b32 s3, s31
	s_and_b32 s29, s0, 0xffff
	s_mov_b32 s0, s22
	buffer_load_b128 v[13:16], v19, s[28:31], 0 offen glc slc
	s_mov_b32 s2, s30
	s_waitcnt vmcnt(1)
	v_cvt_f32_f16_e32 v8, v9
	v_lshrrev_b32_e32 v5, 16, v9
	v_cvt_f32_f16_e32 v9, v10
	s_waitcnt vmcnt(0)
	v_lshrrev_b32_e32 v6, 16, v13
	v_cvt_f32_f16_e32 v13, v13
	v_cvt_f32_f16_e32 v5, v5
	s_delay_alu instid0(VALU_DEP_3) | instskip(NEXT) | instid1(VALU_DEP_3)
	v_cvt_f32_f16_e32 v6, v6
	v_add_f32_e32 v8, v8, v13
	buffer_load_b128 v[1:4], v19, s[0:3], 0 offen
	v_cvt_f32_f16_e32 v13, v11
	s_ashr_i32 s0, s8, 31
	v_add_f32_e32 v7, v5, v6
	v_lshrrev_b32_e32 v5, 16, v10
	v_cvt_f32_f16_e32 v6, v14
	v_lshrrev_b32_e32 v10, 16, v14
	v_lshrrev_b32_e32 v14, 16, v15
	s_mul_hi_u32 s1, s8, s34
	v_cvt_f32_f16_e32 v5, v5
	v_add_f32_e32 v9, v9, v6
	v_cvt_f32_f16_e32 v10, v10
	v_mul_f32_e32 v17, v7, v7
	v_lshrrev_b32_e32 v6, 16, v11
	v_cvt_f32_f16_e32 v11, v15
	v_cvt_f32_f16_e32 v14, v14
	v_add_f32_e32 v10, v5, v10
	v_cvt_f32_f16_e32 v15, v16
	v_cvt_f32_f16_e32 v6, v6
	v_fmac_f32_e32 v17, v8, v8
	v_add_f32_e32 v11, v13, v11
	v_lshrrev_b32_e32 v13, 16, v12
	v_lshrrev_b32_e32 v16, 16, v16
	v_cvt_f32_f16_e32 v5, v12
	v_add_f32_e32 v12, v6, v14
	s_mul_i32 s2, s0, s34
	v_cvt_f32_f16_e32 v6, v13
	v_cvt_f32_f16_e32 v14, v16
	v_fmac_f32_e32 v17, v9, v9
	v_add_f32_e32 v13, v5, v15
	v_cvt_f16_f32_e32 v15, v9
	v_cvt_f16_f32_e32 v16, v11
	v_add_f32_e32 v14, v6, v14
	v_fmac_f32_e32 v17, v10, v10
	v_cvt_f16_f32_e32 v22, v12
	v_cvt_f16_f32_e32 v23, v10
	;; [unrolled: 1-line block ×4, first 2 shown]
	v_fmac_f32_e32 v17, v11, v11
	s_mul_i32 s0, s8, s34
	s_add_i32 s1, s1, s2
	s_delay_alu instid0(SALU_CYCLE_1) | instskip(NEXT) | instid1(VALU_DEP_1)
	s_lshl_b64 s[0:1], s[0:1], 1
	v_fmac_f32_e32 v17, v12, v12
	s_add_u32 s28, s14, s0
	v_cmp_eq_u32_e64 s0, 31, v20
	s_addc_u32 s1, s15, s1
	s_delay_alu instid0(VALU_DEP_2) | instskip(SKIP_1) | instid1(VALU_DEP_1)
	v_fmac_f32_e32 v17, v13, v13
	s_and_b32 s29, s1, 0xffff
	v_fmac_f32_e32 v17, v14, v14
	s_delay_alu instid0(VALU_DEP_1) | instskip(NEXT) | instid1(VALU_DEP_1)
	v_mov_b32_dpp v5, v17 quad_perm:[1,0,3,2] row_mask:0xf bank_mask:0xf
	v_add_f32_e32 v5, v17, v5
	v_cvt_f16_f32_e32 v17, v13
	s_delay_alu instid0(VALU_DEP_2) | instskip(NEXT) | instid1(VALU_DEP_1)
	v_mov_b32_dpp v6, v5 quad_perm:[2,3,0,1] row_mask:0xf bank_mask:0xf
	v_add_f32_e32 v5, v5, v6
	v_cvt_f16_f32_e32 v6, v8
	s_delay_alu instid0(VALU_DEP_2) | instskip(NEXT) | instid1(VALU_DEP_1)
	v_mov_b32_dpp v18, v5 row_xmask:7 row_mask:0xf bank_mask:0xf
	v_add_f32_e32 v5, v5, v18
	v_pack_b32_f16 v18, v17, v21
	v_pack_b32_f16 v17, v16, v22
	;; [unrolled: 1-line block ×4, first 2 shown]
	v_mov_b32_dpp v6, v5 row_xmask:15 row_mask:0xf bank_mask:0xf
	buffer_store_b128 v[15:18], v19, s[28:31], 0 offen glc slc
	;;#ASMSTART
	s_nop 0
	;;#ASMEND
	s_and_saveexec_b32 s1, s0
	s_cbranch_execz .LBB41_3
; %bb.2:
	v_add_f32_e32 v5, v5, v6
	s_mov_b32 s2, 0x76543210
	v_lshrrev_b32_e32 v6, 3, v0
	s_delay_alu instid0(VALU_DEP_2) | instskip(NEXT) | instid1(VALU_DEP_1)
	v_permlanex16_b32 v15, v5, s2, 0xfedcba98 op_sel:[1,1]
	v_dual_add_f32 v5, v5, v15 :: v_dual_and_b32 v6, 0x7c, v6
	ds_store_b32 v6, v5 offset:32
.LBB41_3:
	s_or_b32 exec_lo, exec_lo, s1
	v_and_b32_e32 v5, 7, v0
	s_waitcnt vmcnt(0) lgkmcnt(0)
	s_waitcnt_vscnt null, 0x0
	s_barrier
	buffer_gl0_inv
	v_cvt_f32_i32_e32 v16, s5
	v_lshlrev_b32_e32 v6, 2, v5
	s_cmp_lg_u32 s10, 0
	ds_load_b32 v5, v6 offset:32
	s_waitcnt lgkmcnt(0)
	v_mov_b32_dpp v15, v5 quad_perm:[1,0,3,2] row_mask:0xf bank_mask:0xf
	s_delay_alu instid0(VALU_DEP_1) | instskip(NEXT) | instid1(VALU_DEP_1)
	v_add_f32_e32 v5, v5, v15
	v_mov_b32_dpp v15, v5 quad_perm:[2,3,0,1] row_mask:0xf bank_mask:0xf
	s_delay_alu instid0(VALU_DEP_1) | instskip(NEXT) | instid1(VALU_DEP_1)
	v_add_f32_e32 v5, v5, v15
	v_mov_b32_dpp v15, v5 row_xmask:7 row_mask:0xf bank_mask:0xf
	s_delay_alu instid0(VALU_DEP_1) | instskip(NEXT) | instid1(VALU_DEP_1)
	v_add_f32_e32 v5, v5, v15
	v_div_scale_f32 v15, null, v16, v16, v5
	v_div_scale_f32 v19, vcc_lo, v5, v16, v5
	s_delay_alu instid0(VALU_DEP_2) | instskip(SKIP_2) | instid1(VALU_DEP_1)
	v_rcp_f32_e32 v17, v15
	s_waitcnt_depctr 0xfff
	v_fma_f32 v18, -v15, v17, 1.0
	v_fmac_f32_e32 v17, v18, v17
	s_delay_alu instid0(VALU_DEP_1) | instskip(NEXT) | instid1(VALU_DEP_1)
	v_mul_f32_e32 v18, v19, v17
	v_fma_f32 v20, -v15, v18, v19
	s_delay_alu instid0(VALU_DEP_1) | instskip(SKIP_2) | instid1(VALU_DEP_3)
	v_fmac_f32_e32 v18, v20, v17
	v_cvt_f32_f16_e32 v20, v4
	v_lshrrev_b32_e32 v4, 16, v4
	v_fma_f32 v15, -v15, v18, v19
	s_delay_alu instid0(VALU_DEP_2) | instskip(NEXT) | instid1(VALU_DEP_2)
	v_cvt_f32_f16_e32 v4, v4
	v_div_fmas_f32 v15, v15, v17, v18
	v_cvt_f32_f16_e32 v17, v2
	v_lshrrev_b32_e32 v2, 16, v2
	v_cvt_f32_f16_e32 v18, v3
	v_lshrrev_b32_e32 v3, 16, v3
	v_div_fixup_f32 v5, v15, v16, v5
	s_delay_alu instid0(VALU_DEP_4) | instskip(NEXT) | instid1(VALU_DEP_3)
	v_cvt_f32_f16_e32 v2, v2
	v_cvt_f32_f16_e32 v3, v3
	s_delay_alu instid0(VALU_DEP_3) | instskip(NEXT) | instid1(VALU_DEP_1)
	v_cvt_f64_f32_e32 v[15:16], v5
	v_add_f64 v[15:16], v[15:16], s[24:25]
	s_delay_alu instid0(VALU_DEP_1) | instskip(SKIP_2) | instid1(VALU_DEP_1)
	v_cvt_f32_f64_e32 v5, v[15:16]
	v_cvt_f32_f16_e32 v16, v1
	v_lshrrev_b32_e32 v1, 16, v1
	v_cvt_f32_f16_e32 v1, v1
	s_delay_alu instid0(VALU_DEP_4) | instskip(SKIP_1) | instid1(VALU_DEP_2)
	v_mul_f32_e32 v15, 0x4b800000, v5
	v_cmp_gt_f32_e32 vcc_lo, 0x800000, v5
	v_cndmask_b32_e32 v5, v5, v15, vcc_lo
	s_delay_alu instid0(VALU_DEP_1) | instskip(SKIP_2) | instid1(VALU_DEP_1)
	v_rsq_f32_e32 v15, v5
	s_waitcnt_depctr 0xfff
	v_mul_f32_e32 v19, 0x45800000, v15
	v_cndmask_b32_e32 v15, v15, v19, vcc_lo
	s_delay_alu instid0(VALU_DEP_1) | instskip(SKIP_1) | instid1(VALU_DEP_2)
	v_dual_mul_f32 v10, v10, v15 :: v_dual_lshlrev_b32 v5, 3, v0
	v_mul_f32_e32 v14, v14, v15
	v_mul_f32_e32 v10, v10, v2
	s_delay_alu instid0(VALU_DEP_2) | instskip(NEXT) | instid1(VALU_DEP_2)
	v_mul_f32_e32 v4, v14, v4
	v_and_b32_e32 v14, 0x7fffffff, v10
	v_dual_mov_b32 v21, 0x2edbe6ff :: v_dual_mul_f32 v22, v12, v15
	v_mul_f32_e32 v8, v8, v15
	v_mul_f32_e32 v13, v13, v15
	;; [unrolled: 1-line block ×3, first 2 shown]
	s_delay_alu instid0(VALU_DEP_3) | instskip(NEXT) | instid1(VALU_DEP_3)
	v_dual_mul_f32 v19, v11, v15 :: v_dual_mul_f32 v12, v8, v16
	v_dual_mul_f32 v8, v22, v3 :: v_dual_mul_f32 v3, v13, v20
	s_delay_alu instid0(VALU_DEP_1) | instskip(NEXT) | instid1(VALU_DEP_1)
	v_dual_mul_f32 v7, v7, v15 :: v_dual_and_b32 v16, 0x7fffffff, v8
	v_mul_f32_e32 v11, v7, v1
	s_delay_alu instid0(VALU_DEP_4) | instskip(SKIP_2) | instid1(VALU_DEP_4)
	v_dual_mul_f32 v7, v19, v18 :: v_dual_and_b32 v18, 0x7fffffff, v4
	v_mul_f32_e32 v9, v9, v17
	v_and_b32_e32 v1, 0x7fffffff, v12
	v_and_b32_e32 v2, 0x7fffffff, v11
	;;#ASMSTART
	v_max3_f32 v1, v21, v1, v2

	;;#ASMEND
	v_and_b32_e32 v15, 0x7fffffff, v7
	v_and_b32_e32 v13, 0x7fffffff, v9
	;;#ASMSTART
	v_max3_f32 v1, v1, v13, v14

	;;#ASMEND
	v_and_b32_e32 v17, 0x7fffffff, v3
	;;#ASMSTART
	v_max3_f32 v1, v1, v15, v16

	;;#ASMEND
	;;#ASMSTART
	v_max3_f32 v13, v1, v17, v18

	;;#ASMEND
	s_cbranch_scc0 .LBB41_10
; %bb.4:
	s_ashr_i32 s7, s10, 31
	s_delay_alu instid0(SALU_CYCLE_1) | instskip(NEXT) | instid1(SALU_CYCLE_1)
	s_lshr_b32 s1, s7, 29
	s_add_i32 s1, s10, s1
	s_delay_alu instid0(SALU_CYCLE_1) | instskip(NEXT) | instid1(SALU_CYCLE_1)
	s_ashr_i32 s1, s1, 3
	s_cmp_lt_i32 s1, 8
	s_cbranch_scc1 .LBB41_11
; %bb.5:
	s_cmp_lt_i32 s1, 16
	s_cbranch_scc1 .LBB41_12
; %bb.6:
	;; [unrolled: 3-line block ×3, first 2 shown]
	v_mov_b32_e32 v1, v13
	s_cmp_eq_u32 s1, 32
	s_cbranch_scc0 .LBB41_9
; %bb.8:
	s_delay_alu instid0(VALU_DEP_1) | instskip(SKIP_1) | instid1(VALU_DEP_1)
	v_mov_b32_dpp v1, v13 quad_perm:[1,0,3,2] row_mask:0xf bank_mask:0xf
	s_mov_b32 s2, 0x76543210
	v_cmp_gt_f32_e32 vcc_lo, v13, v1
	v_cndmask_b32_e32 v1, v1, v13, vcc_lo
	s_delay_alu instid0(VALU_DEP_1) | instskip(NEXT) | instid1(VALU_DEP_1)
	v_mov_b32_dpp v2, v1 quad_perm:[2,3,0,1] row_mask:0xf bank_mask:0xf
	v_cmp_gt_f32_e32 vcc_lo, v1, v2
	v_cndmask_b32_e32 v1, v2, v1, vcc_lo
	s_delay_alu instid0(VALU_DEP_1) | instskip(NEXT) | instid1(VALU_DEP_1)
	v_mov_b32_dpp v2, v1 row_xmask:7 row_mask:0xf bank_mask:0xf
	v_cmp_gt_f32_e32 vcc_lo, v1, v2
	v_cndmask_b32_e32 v1, v2, v1, vcc_lo
	s_delay_alu instid0(VALU_DEP_1) | instskip(NEXT) | instid1(VALU_DEP_1)
	v_mov_b32_dpp v2, v1 row_xmask:15 row_mask:0xf bank_mask:0xf
	v_cmp_gt_f32_e32 vcc_lo, v1, v2
	v_cndmask_b32_e32 v1, v2, v1, vcc_lo
	s_delay_alu instid0(VALU_DEP_1) | instskip(NEXT) | instid1(VALU_DEP_1)
	v_permlanex16_b32 v2, v1, s2, 0xfedcba98 op_sel:[1,1]
	v_cmp_gt_f32_e32 vcc_lo, v1, v2
	v_cndmask_b32_e32 v1, v2, v1, vcc_lo
.LBB41_9:
	s_mov_b32 s2, 0
	s_branch .LBB41_14
.LBB41_10:
	s_mov_b32 s1, 0
                                        ; implicit-def: $vgpr14
                                        ; implicit-def: $vgpr1_vgpr2
	s_and_b32 vcc_lo, exec_lo, s31
	s_cbranch_vccnz .LBB41_38
	s_branch .LBB41_41
.LBB41_11:
                                        ; implicit-def: $vgpr1
	s_branch .LBB41_21
.LBB41_12:
                                        ; implicit-def: $vgpr1
	s_branch .LBB41_18
.LBB41_13:
	s_mov_b32 s2, -1
                                        ; implicit-def: $vgpr1
.LBB41_14:
	s_delay_alu instid0(SALU_CYCLE_1)
	s_and_not1_b32 vcc_lo, exec_lo, s2
	s_cbranch_vccnz .LBB41_17
; %bb.15:
	v_mov_b32_e32 v1, v13
	s_cmp_eq_u32 s1, 16
	s_cbranch_scc0 .LBB41_17
; %bb.16:
	s_delay_alu instid0(VALU_DEP_1) | instskip(NEXT) | instid1(VALU_DEP_1)
	v_mov_b32_dpp v1, v13 quad_perm:[1,0,3,2] row_mask:0xf bank_mask:0xf
	v_cmp_gt_f32_e32 vcc_lo, v13, v1
	v_cndmask_b32_e32 v1, v1, v13, vcc_lo
	s_delay_alu instid0(VALU_DEP_1) | instskip(NEXT) | instid1(VALU_DEP_1)
	v_mov_b32_dpp v2, v1 quad_perm:[2,3,0,1] row_mask:0xf bank_mask:0xf
	v_cmp_gt_f32_e32 vcc_lo, v1, v2
	v_cndmask_b32_e32 v1, v2, v1, vcc_lo
	s_delay_alu instid0(VALU_DEP_1) | instskip(NEXT) | instid1(VALU_DEP_1)
	v_mov_b32_dpp v2, v1 row_half_mirror row_mask:0xf bank_mask:0xf
	v_cmp_gt_f32_e32 vcc_lo, v1, v2
	v_cndmask_b32_e32 v1, v2, v1, vcc_lo
	s_delay_alu instid0(VALU_DEP_1) | instskip(NEXT) | instid1(VALU_DEP_1)
	v_mov_b32_dpp v2, v1 row_mirror row_mask:0xf bank_mask:0xf
	v_cmp_gt_f32_e32 vcc_lo, v1, v2
	v_cndmask_b32_e32 v1, v2, v1, vcc_lo
.LBB41_17:
	s_cbranch_execnz .LBB41_20
.LBB41_18:
	v_mov_b32_e32 v1, v13
	s_cmp_eq_u32 s1, 8
	s_cbranch_scc0 .LBB41_20
; %bb.19:
	s_delay_alu instid0(VALU_DEP_1) | instskip(NEXT) | instid1(VALU_DEP_1)
	v_mov_b32_dpp v1, v13 quad_perm:[1,0,3,2] row_mask:0xf bank_mask:0xf
	v_cmp_gt_f32_e32 vcc_lo, v13, v1
	v_cndmask_b32_e32 v1, v1, v13, vcc_lo
	s_delay_alu instid0(VALU_DEP_1) | instskip(NEXT) | instid1(VALU_DEP_1)
	v_mov_b32_dpp v2, v1 quad_perm:[2,3,0,1] row_mask:0xf bank_mask:0xf
	v_cmp_gt_f32_e32 vcc_lo, v1, v2
	v_cndmask_b32_e32 v1, v2, v1, vcc_lo
	s_delay_alu instid0(VALU_DEP_1) | instskip(NEXT) | instid1(VALU_DEP_1)
	v_mov_b32_dpp v2, v1 row_half_mirror row_mask:0xf bank_mask:0xf
	v_cmp_gt_f32_e32 vcc_lo, v1, v2
	v_cndmask_b32_e32 v1, v2, v1, vcc_lo
.LBB41_20:
	s_cbranch_execnz .LBB41_28
.LBB41_21:
	s_cmp_lt_i32 s1, 4
	s_cbranch_scc1 .LBB41_24
; %bb.22:
	v_mov_b32_e32 v1, v13
	s_cmp_eq_u32 s1, 4
	s_cbranch_scc0 .LBB41_25
; %bb.23:
	s_delay_alu instid0(VALU_DEP_1) | instskip(NEXT) | instid1(VALU_DEP_1)
	v_mov_b32_dpp v1, v13 quad_perm:[1,0,3,2] row_mask:0xf bank_mask:0xf
	v_cmp_gt_f32_e32 vcc_lo, v13, v1
	v_cndmask_b32_e32 v1, v1, v13, vcc_lo
	s_delay_alu instid0(VALU_DEP_1) | instskip(NEXT) | instid1(VALU_DEP_1)
	v_mov_b32_dpp v2, v1 quad_perm:[2,3,0,1] row_mask:0xf bank_mask:0xf
	v_cmp_gt_f32_e32 vcc_lo, v1, v2
	v_cndmask_b32_e32 v1, v2, v1, vcc_lo
	s_cbranch_execz .LBB41_26
	s_branch .LBB41_28
.LBB41_24:
                                        ; implicit-def: $vgpr1
	s_branch .LBB41_26
.LBB41_25:
	s_cbranch_execnz .LBB41_28
.LBB41_26:
	v_mov_b32_e32 v1, v13
	s_cmp_lg_u32 s1, 2
	s_cbranch_scc1 .LBB41_28
; %bb.27:
	s_delay_alu instid0(VALU_DEP_1) | instskip(NEXT) | instid1(VALU_DEP_1)
	v_mov_b32_dpp v1, v13 quad_perm:[1,0,3,2] row_mask:0xf bank_mask:0xf
	v_cmp_gt_f32_e32 vcc_lo, v13, v1
	v_cndmask_b32_e32 v1, v1, v13, vcc_lo
.LBB41_28:
	v_cvt_f32_u32_e32 v2, s1
	s_sub_i32 s2, 0, s1
	s_mov_b32 s31, 0
	s_delay_alu instid0(VALU_DEP_1) | instskip(SKIP_2) | instid1(VALU_DEP_1)
	v_rcp_iflag_f32_e32 v2, v2
	s_waitcnt_depctr 0xfff
	v_mul_f32_e32 v2, 0x4f7ffffe, v2
	v_cvt_u32_f32_e32 v2, v2
	s_delay_alu instid0(VALU_DEP_1) | instskip(NEXT) | instid1(VALU_DEP_1)
	v_mul_lo_u32 v14, s2, v2
	v_mul_hi_u32 v14, v2, v14
	s_delay_alu instid0(VALU_DEP_1) | instskip(NEXT) | instid1(VALU_DEP_1)
	v_add_nc_u32_e32 v2, v2, v14
	v_mul_hi_u32 v2, v0, v2
	s_delay_alu instid0(VALU_DEP_1) | instskip(NEXT) | instid1(VALU_DEP_1)
	v_mul_lo_u32 v14, v2, s1
	v_sub_nc_u32_e32 v14, v0, v14
	s_delay_alu instid0(VALU_DEP_1) | instskip(SKIP_1) | instid1(VALU_DEP_2)
	v_subrev_nc_u32_e32 v16, s1, v14
	v_cmp_le_u32_e32 vcc_lo, s1, v14
	v_dual_cndmask_b32 v14, v14, v16 :: v_dual_add_nc_u32 v15, 1, v2
	s_delay_alu instid0(VALU_DEP_1) | instskip(NEXT) | instid1(VALU_DEP_2)
	v_cndmask_b32_e32 v2, v2, v15, vcc_lo
	v_cmp_le_u32_e32 vcc_lo, s1, v14
	s_delay_alu instid0(VALU_DEP_2) | instskip(NEXT) | instid1(VALU_DEP_1)
	v_dual_mul_f32 v14, 0x3c010204, v1 :: v_dual_add_nc_u32 v15, 1, v2
	v_cndmask_b32_e32 v15, v2, v15, vcc_lo
	v_cmp_gt_u32_e32 vcc_lo, s5, v5
	s_delay_alu instid0(VALU_DEP_2) | instskip(NEXT) | instid1(VALU_DEP_1)
	v_mul_lo_u32 v2, v15, s1
	v_sub_nc_u32_e32 v2, v0, v2
	s_delay_alu instid0(VALU_DEP_1) | instskip(NEXT) | instid1(VALU_DEP_1)
	v_cmp_eq_u32_e64 s1, 0, v2
                                        ; implicit-def: $vgpr1_vgpr2
	s_and_b32 s2, s1, vcc_lo
	s_mov_b32 s1, 0
	s_and_saveexec_b32 s3, s2
	s_delay_alu instid0(SALU_CYCLE_1)
	s_xor_b32 s8, exec_lo, s3
	s_cbranch_execz .LBB41_37
; %bb.29:
	s_bitcmp0_b32 s11, 0
	s_mov_b32 s6, 0
	s_cbranch_scc0 .LBB41_34
; %bb.30:
	s_ashr_i32 s1, s5, 31
	s_mul_hi_u32 s3, s5, s34
	s_mul_i32 s1, s1, s34
	s_mul_i32 s2, s5, s34
	s_add_i32 s3, s3, s1
	s_mov_b32 s11, s7
	s_delay_alu instid0(SALU_CYCLE_1) | instskip(NEXT) | instid1(SALU_CYCLE_1)
	s_or_b64 s[14:15], s[2:3], s[10:11]
	s_mov_b32 s7, s15
	s_delay_alu instid0(SALU_CYCLE_1)
	s_cmp_lg_u64 s[6:7], 0
	s_cbranch_scc0 .LBB41_45
; %bb.31:
	s_add_u32 s14, s10, s11
	s_mov_b32 s6, s11
	s_mov_b32 s7, s11
	s_addc_u32 s15, s11, s11
	s_delay_alu instid0(SALU_CYCLE_1) | instskip(NEXT) | instid1(SALU_CYCLE_1)
	s_xor_b64 s[14:15], s[14:15], s[6:7]
	v_cvt_f32_u32_e32 v1, s14
	v_cvt_f32_u32_e32 v2, s15
	s_sub_u32 s18, 0, s14
	s_subb_u32 s19, 0, s15
	s_delay_alu instid0(VALU_DEP_1) | instskip(NEXT) | instid1(VALU_DEP_1)
	v_fmamk_f32 v1, v2, 0x4f800000, v1
	v_rcp_f32_e32 v1, v1
	s_waitcnt_depctr 0xfff
	v_mul_f32_e32 v1, 0x5f7ffffc, v1
	s_delay_alu instid0(VALU_DEP_1) | instskip(NEXT) | instid1(VALU_DEP_1)
	v_mul_f32_e32 v2, 0x2f800000, v1
	v_trunc_f32_e32 v2, v2
	s_delay_alu instid0(VALU_DEP_1) | instskip(SKIP_1) | instid1(VALU_DEP_2)
	v_fmamk_f32 v1, v2, 0xcf800000, v1
	v_cvt_u32_f32_e32 v2, v2
	v_cvt_u32_f32_e32 v1, v1
	s_delay_alu instid0(VALU_DEP_2) | instskip(NEXT) | instid1(VALU_DEP_2)
	v_readfirstlane_b32 s1, v2
	v_readfirstlane_b32 s11, v1
	s_delay_alu instid0(VALU_DEP_2) | instskip(NEXT) | instid1(VALU_DEP_1)
	s_mul_i32 s20, s18, s1
	s_mul_hi_u32 s22, s18, s11
	s_mul_i32 s21, s19, s11
	s_add_i32 s20, s22, s20
	s_mul_i32 s23, s18, s11
	s_add_i32 s20, s20, s21
	s_mul_hi_u32 s22, s11, s23
	s_mul_hi_u32 s24, s1, s23
	s_mul_i32 s21, s1, s23
	s_mul_hi_u32 s23, s11, s20
	s_mul_i32 s11, s11, s20
	s_mul_hi_u32 s25, s1, s20
	s_add_u32 s11, s22, s11
	s_addc_u32 s22, 0, s23
	s_add_u32 s11, s11, s21
	s_mul_i32 s20, s1, s20
	s_addc_u32 s11, s22, s24
	s_addc_u32 s21, s25, 0
	s_add_u32 s11, s11, s20
	s_addc_u32 s20, 0, s21
	v_add_co_u32 v1, s11, v1, s11
	s_delay_alu instid0(VALU_DEP_1) | instskip(SKIP_1) | instid1(VALU_DEP_1)
	s_cmp_lg_u32 s11, 0
	s_addc_u32 s1, s1, s20
	v_readfirstlane_b32 s11, v1
	s_mul_i32 s20, s18, s1
	s_delay_alu instid0(VALU_DEP_1)
	s_mul_hi_u32 s21, s18, s11
	s_mul_i32 s19, s19, s11
	s_add_i32 s20, s21, s20
	s_mul_i32 s18, s18, s11
	s_add_i32 s20, s20, s19
	s_mul_hi_u32 s21, s1, s18
	s_mul_i32 s22, s1, s18
	s_mul_hi_u32 s18, s11, s18
	s_mul_hi_u32 s23, s11, s20
	s_mul_i32 s11, s11, s20
	s_mul_hi_u32 s19, s1, s20
	s_add_u32 s11, s18, s11
	s_addc_u32 s18, 0, s23
	s_add_u32 s11, s11, s22
	s_mul_i32 s20, s1, s20
	s_addc_u32 s11, s18, s21
	s_addc_u32 s18, s19, 0
	s_add_u32 s11, s11, s20
	s_addc_u32 s18, 0, s18
	v_add_co_u32 v1, s11, v1, s11
	s_delay_alu instid0(VALU_DEP_1) | instskip(SKIP_2) | instid1(SALU_CYCLE_1)
	s_cmp_lg_u32 s11, 0
	s_addc_u32 s1, s1, s18
	s_ashr_i32 s18, s3, 31
	s_add_u32 s20, s2, s18
	s_addc_u32 s21, s3, s18
	v_readfirstlane_b32 s3, v1
	s_mov_b32 s19, s18
	s_delay_alu instid0(SALU_CYCLE_1) | instskip(NEXT) | instid1(SALU_CYCLE_1)
	s_xor_b64 s[20:21], s[20:21], s[18:19]
	s_mul_i32 s22, s20, s1
	s_delay_alu instid0(VALU_DEP_1)
	s_mul_hi_u32 s23, s20, s3
	s_mul_hi_u32 s11, s20, s1
	s_mul_hi_u32 s25, s21, s3
	s_mul_i32 s3, s21, s3
	s_add_u32 s22, s23, s22
	s_addc_u32 s11, 0, s11
	s_mul_hi_u32 s24, s21, s1
	s_add_u32 s3, s22, s3
	s_mul_i32 s1, s21, s1
	s_addc_u32 s3, s11, s25
	s_addc_u32 s11, s24, 0
	s_add_u32 s3, s3, s1
	s_addc_u32 s11, 0, s11
	s_mul_i32 s24, s14, s3
	s_mul_hi_u32 s1, s14, s3
	s_mul_i32 s23, s14, s11
	v_sub_co_u32 v1, s20, s20, s24
	s_mul_i32 s22, s15, s3
	s_add_i32 s1, s1, s23
	s_delay_alu instid0(SALU_CYCLE_1) | instskip(NEXT) | instid1(VALU_DEP_1)
	s_add_i32 s1, s1, s22
	v_sub_co_u32 v2, s23, v1, s14
	s_sub_i32 s22, s21, s1
	s_cmp_lg_u32 s20, 0
	s_subb_u32 s22, s22, s15
	s_cmp_lg_u32 s23, 0
	v_cmp_le_u32_e32 vcc_lo, s14, v2
	s_subb_u32 s22, s22, 0
	s_delay_alu instid0(SALU_CYCLE_1)
	s_cmp_ge_u32 s22, s15
	v_cndmask_b32_e64 v2, 0, -1, vcc_lo
	s_cselect_b32 s23, -1, 0
	s_cmp_eq_u32 s22, s15
	s_cselect_b32 vcc_lo, -1, 0
	s_add_u32 s22, s3, 1
	v_cndmask_b32_e32 v2, s23, v2, vcc_lo
	s_addc_u32 s23, s11, 0
	s_add_u32 s24, s3, 2
	s_addc_u32 s25, s11, 0
	s_cmp_lg_u32 s20, 0
	v_cmp_le_u32_e32 vcc_lo, s14, v1
	s_subb_u32 s1, s21, s1
	v_mov_b32_e32 v16, s24
	s_cmp_ge_u32 s1, s15
	v_cndmask_b32_e64 v1, 0, -1, vcc_lo
	s_cselect_b32 s14, -1, 0
	s_cmp_eq_u32 s1, s15
	v_cmp_ne_u32_e32 vcc_lo, 0, v2
	v_mov_b32_e32 v2, s25
	s_cselect_b32 s1, -1, 0
	s_xor_b64 s[6:7], s[18:19], s[6:7]
	v_cndmask_b32_e64 v1, s14, v1, s1
	v_cndmask_b32_e32 v16, s22, v16, vcc_lo
	v_cndmask_b32_e32 v2, s23, v2, vcc_lo
	s_delay_alu instid0(VALU_DEP_3) | instskip(NEXT) | instid1(VALU_DEP_2)
	v_cmp_ne_u32_e32 vcc_lo, 0, v1
	v_cndmask_b32_e32 v1, s11, v2, vcc_lo
	s_delay_alu instid0(VALU_DEP_4) | instskip(NEXT) | instid1(VALU_DEP_2)
	v_cndmask_b32_e32 v2, s3, v16, vcc_lo
	v_xor_b32_e32 v16, s7, v1
	s_delay_alu instid0(VALU_DEP_2) | instskip(NEXT) | instid1(VALU_DEP_1)
	v_xor_b32_e32 v2, s6, v2
	v_sub_co_u32 v1, vcc_lo, v2, s6
	s_delay_alu instid0(VALU_DEP_3)
	v_subrev_co_ci_u32_e32 v2, vcc_lo, s7, v16, vcc_lo
	s_cbranch_execnz .LBB41_33
.LBB41_32:
	v_cvt_f32_u32_e32 v1, s10
	s_sub_i32 s3, 0, s10
	s_delay_alu instid0(VALU_DEP_1) | instskip(SKIP_2) | instid1(VALU_DEP_1)
	v_rcp_iflag_f32_e32 v1, v1
	s_waitcnt_depctr 0xfff
	v_mul_f32_e32 v1, 0x4f7ffffe, v1
	v_cvt_u32_f32_e32 v1, v1
	s_delay_alu instid0(VALU_DEP_1) | instskip(NEXT) | instid1(VALU_DEP_1)
	v_readfirstlane_b32 s1, v1
	s_mul_i32 s3, s3, s1
	s_delay_alu instid0(SALU_CYCLE_1) | instskip(NEXT) | instid1(SALU_CYCLE_1)
	s_mul_hi_u32 s3, s1, s3
	s_add_i32 s1, s1, s3
	s_delay_alu instid0(SALU_CYCLE_1) | instskip(NEXT) | instid1(SALU_CYCLE_1)
	s_mul_hi_u32 s1, s2, s1
	s_mul_i32 s3, s1, s10
	s_delay_alu instid0(SALU_CYCLE_1)
	s_sub_i32 s2, s2, s3
	s_add_i32 s3, s1, 1
	s_sub_i32 s6, s2, s10
	s_cmp_ge_u32 s2, s10
	s_cselect_b32 s1, s3, s1
	s_cselect_b32 s2, s6, s2
	s_add_i32 s6, s1, 1
	s_cmp_ge_u32 s2, s10
	s_mov_b32 s3, 0
	s_cselect_b32 s2, s6, s1
	s_delay_alu instid0(SALU_CYCLE_1)
	v_dual_mov_b32 v1, s2 :: v_dual_mov_b32 v2, s3
.LBB41_33:
	s_delay_alu instid0(VALU_DEP_1) | instskip(NEXT) | instid1(VALU_DEP_2)
	v_add_co_u32 v1, vcc_lo, v1, v15
	v_add_co_ci_u32_e32 v2, vcc_lo, 0, v2, vcc_lo
	s_branch .LBB41_36
.LBB41_34:
                                        ; implicit-def: $vgpr1_vgpr2
	s_cbranch_execz .LBB41_36
; %bb.35:
	v_mul_lo_u32 v1, v15, s4
	s_delay_alu instid0(VALU_DEP_1) | instskip(SKIP_1) | instid1(VALU_DEP_2)
	v_ashrrev_i32_e32 v2, 31, v1
	v_add_co_u32 v1, vcc_lo, v1, s34
	v_add_co_ci_u32_e32 v2, vcc_lo, 0, v2, vcc_lo
.LBB41_36:
	s_mov_b32 s1, exec_lo
.LBB41_37:
	s_or_b32 exec_lo, exec_lo, s8
	s_delay_alu instid0(SALU_CYCLE_1)
	s_and_b32 vcc_lo, exec_lo, s31
	s_cbranch_vccz .LBB41_41
.LBB41_38:
	v_mov_b32_dpp v1, v13 quad_perm:[1,0,3,2] row_mask:0xf bank_mask:0xf
	s_delay_alu instid0(VALU_DEP_1) | instskip(SKIP_1) | instid1(VALU_DEP_1)
	v_cmp_gt_f32_e32 vcc_lo, v13, v1
	v_cndmask_b32_e32 v1, v1, v13, vcc_lo
	v_mov_b32_dpp v2, v1 quad_perm:[2,3,0,1] row_mask:0xf bank_mask:0xf
	s_delay_alu instid0(VALU_DEP_1) | instskip(SKIP_1) | instid1(VALU_DEP_1)
	v_cmp_gt_f32_e32 vcc_lo, v1, v2
	v_cndmask_b32_e32 v1, v2, v1, vcc_lo
	v_mov_b32_dpp v2, v1 row_xmask:7 row_mask:0xf bank_mask:0xf
	s_delay_alu instid0(VALU_DEP_1) | instskip(SKIP_1) | instid1(VALU_DEP_1)
	v_cmp_gt_f32_e32 vcc_lo, v1, v2
	v_cndmask_b32_e32 v1, v2, v1, vcc_lo
	v_mov_b32_dpp v2, v1 row_xmask:15 row_mask:0xf bank_mask:0xf
	s_delay_alu instid0(VALU_DEP_1)
	v_cmp_gt_f32_e32 vcc_lo, v1, v2
	s_and_saveexec_b32 s1, s0
	s_cbranch_execz .LBB41_40
; %bb.39:
	v_cndmask_b32_e32 v1, v2, v1, vcc_lo
	v_lshrrev_b32_e32 v2, 3, v0
	s_mov_b32 s0, 0x76543210
	s_delay_alu instid0(VALU_DEP_1) | instskip(NEXT) | instid1(VALU_DEP_3)
	v_and_b32_e32 v2, 0x7c, v2
	v_permlanex16_b32 v13, v1, s0, 0xfedcba98 op_sel:[1,1]
	s_delay_alu instid0(VALU_DEP_1)
	v_cmp_gt_f32_e32 vcc_lo, v1, v13
	v_cndmask_b32_e32 v1, v13, v1, vcc_lo
	ds_store_b32 v2, v1
.LBB41_40:
	s_or_b32 exec_lo, exec_lo, s1
	s_waitcnt lgkmcnt(0)
	s_barrier
	buffer_gl0_inv
	ds_load_b32 v1, v6
	v_cmp_eq_u32_e64 s1, 0, v0
	s_waitcnt lgkmcnt(0)
	v_mov_b32_dpp v2, v1 quad_perm:[1,0,3,2] row_mask:0xf bank_mask:0xf
	s_delay_alu instid0(VALU_DEP_1) | instskip(SKIP_1) | instid1(VALU_DEP_1)
	v_cmp_gt_f32_e32 vcc_lo, v1, v2
	v_cndmask_b32_e32 v1, v2, v1, vcc_lo
	v_mov_b32_dpp v2, v1 quad_perm:[2,3,0,1] row_mask:0xf bank_mask:0xf
	s_delay_alu instid0(VALU_DEP_1) | instskip(SKIP_1) | instid1(VALU_DEP_1)
	v_cmp_gt_f32_e32 vcc_lo, v1, v2
	v_cndmask_b32_e32 v1, v2, v1, vcc_lo
	v_mov_b32_dpp v2, v1 row_xmask:7 row_mask:0xf bank_mask:0xf
	s_delay_alu instid0(VALU_DEP_1) | instskip(SKIP_1) | instid1(VALU_DEP_1)
	v_cmp_gt_f32_e32 vcc_lo, v1, v2
	v_cndmask_b32_e32 v1, v2, v1, vcc_lo
	v_dual_mul_f32 v14, 0x3c010204, v1 :: v_dual_mov_b32 v1, s34
	v_mov_b32_e32 v2, s35
.LBB41_41:
	s_and_saveexec_b32 s0, s1
	s_cbranch_execz .LBB41_43
; %bb.42:
	s_delay_alu instid0(VALU_DEP_1) | instskip(NEXT) | instid1(VALU_DEP_1)
	v_lshlrev_b64 v[0:1], 2, v[1:2]
	v_add_co_u32 v0, vcc_lo, s16, v0
	s_delay_alu instid0(VALU_DEP_2)
	v_add_co_ci_u32_e32 v1, vcc_lo, s17, v1, vcc_lo
	global_store_b32 v[0:1], v14, off
.LBB41_43:
	s_or_b32 exec_lo, exec_lo, s0
	;;#ASMSTART
	v_rcp_f32 v0, v14
	;;#ASMEND
	v_mul_f32_e32 v7, v7, v0
	v_mul_f32_e32 v1, v12, v0
	;; [unrolled: 1-line block ×4, first 2 shown]
	s_add_i32 s0, s5, 3
	v_cvt_i32_f32_e32 v7, v7
	v_mul_f32_e32 v2, v11, v0
	v_cvt_i32_f32_e32 v1, v1
	v_mul_f32_e32 v6, v9, v0
	v_cvt_i32_f32_e32 v4, v4
	v_and_b32_e32 v7, 0xff, v7
	v_cvt_i32_f32_e32 v2, v2
	v_and_b32_e32 v1, 0xff, v1
	s_ashr_i32 s1, s0, 31
	v_lshlrev_b16 v4, 8, v4
	s_lshr_b32 s1, s1, 30
	v_lshlrev_b16 v2, 8, v2
	s_add_i32 s0, s0, s1
	s_ashr_i32 s1, s9, 31
	s_and_b32 s2, s0, -4
	s_mul_hi_u32 s0, s9, s34
	v_or_b32_e32 v1, v1, v2
	v_mul_f32_e32 v9, v10, v0
	v_mul_f32_e32 v0, v3, v0
	v_cvt_i32_f32_e32 v3, v6
	s_mul_i32 s1, s1, s34
	s_mul_i32 s3, s9, s34
	s_add_i32 s1, s0, s1
	v_cvt_i32_f32_e32 v0, v0
	v_and_b32_e32 v3, 0xff, v3
	v_cvt_i32_f32_e32 v6, v8
	s_add_u32 s0, s12, s3
	s_addc_u32 s1, s13, s1
	v_and_b32_e32 v0, 0xff, v0
	s_and_b32 s1, s1, 0xffff
	v_lshlrev_b16 v6, 8, v6
	s_mov_b32 s3, -1
	s_delay_alu instid0(VALU_DEP_2) | instskip(SKIP_3) | instid1(VALU_DEP_4)
	v_or_b32_e32 v0, v0, v4
	v_and_b32_e32 v4, 0xffff, v1
	v_cvt_i32_f32_e32 v8, v9
	v_or_b32_e32 v6, v7, v6
	v_lshlrev_b32_e32 v0, 16, v0
	s_delay_alu instid0(VALU_DEP_3) | instskip(NEXT) | instid1(VALU_DEP_1)
	v_lshlrev_b16 v8, 8, v8
	v_or_b32_e32 v2, v3, v8
	s_delay_alu instid0(VALU_DEP_4) | instskip(NEXT) | instid1(VALU_DEP_2)
	v_and_b32_e32 v3, 0xffff, v6
	v_lshlrev_b32_e32 v2, 16, v2
	s_delay_alu instid0(VALU_DEP_2) | instskip(NEXT) | instid1(VALU_DEP_2)
	v_or_b32_e32 v1, v3, v0
	v_or_b32_e32 v0, v4, v2
	buffer_store_b64 v[0:1], v5, s[0:3], 0 offen
	;;#ASMSTART
	s_nop 0
	;;#ASMEND
.LBB41_44:
	s_nop 0
	s_sendmsg sendmsg(MSG_DEALLOC_VGPRS)
	s_endpgm
.LBB41_45:
                                        ; implicit-def: $vgpr1_vgpr2
	s_branch .LBB41_32
	.section	.rodata,"a",@progbits
	.p2align	6, 0x0
	.amdhsa_kernel _ZN5aiter24add_rmsnorm_quant_kernelIDF16_aLi256ELi8ELb1ELb1ELb1ELi1EEEvPT0_PT_PfS4_S4_S4_diiiiiiib
		.amdhsa_group_segment_fixed_size 64
		.amdhsa_private_segment_fixed_size 0
		.amdhsa_kernarg_size 88
		.amdhsa_user_sgpr_count 15
		.amdhsa_user_sgpr_dispatch_ptr 0
		.amdhsa_user_sgpr_queue_ptr 0
		.amdhsa_user_sgpr_kernarg_segment_ptr 1
		.amdhsa_user_sgpr_dispatch_id 0
		.amdhsa_user_sgpr_private_segment_size 0
		.amdhsa_wavefront_size32 1
		.amdhsa_uses_dynamic_stack 0
		.amdhsa_enable_private_segment 0
		.amdhsa_system_sgpr_workgroup_id_x 1
		.amdhsa_system_sgpr_workgroup_id_y 0
		.amdhsa_system_sgpr_workgroup_id_z 0
		.amdhsa_system_sgpr_workgroup_info 0
		.amdhsa_system_vgpr_workitem_id 0
		.amdhsa_next_free_vgpr 25
		.amdhsa_next_free_sgpr 36
		.amdhsa_reserve_vcc 1
		.amdhsa_float_round_mode_32 0
		.amdhsa_float_round_mode_16_64 0
		.amdhsa_float_denorm_mode_32 3
		.amdhsa_float_denorm_mode_16_64 3
		.amdhsa_dx10_clamp 1
		.amdhsa_ieee_mode 1
		.amdhsa_fp16_overflow 0
		.amdhsa_workgroup_processor_mode 1
		.amdhsa_memory_ordered 1
		.amdhsa_forward_progress 0
		.amdhsa_shared_vgpr_count 0
		.amdhsa_exception_fp_ieee_invalid_op 0
		.amdhsa_exception_fp_denorm_src 0
		.amdhsa_exception_fp_ieee_div_zero 0
		.amdhsa_exception_fp_ieee_overflow 0
		.amdhsa_exception_fp_ieee_underflow 0
		.amdhsa_exception_fp_ieee_inexact 0
		.amdhsa_exception_int_div_zero 0
	.end_amdhsa_kernel
	.section	.text._ZN5aiter24add_rmsnorm_quant_kernelIDF16_aLi256ELi8ELb1ELb1ELb1ELi1EEEvPT0_PT_PfS4_S4_S4_diiiiiiib,"axG",@progbits,_ZN5aiter24add_rmsnorm_quant_kernelIDF16_aLi256ELi8ELb1ELb1ELb1ELi1EEEvPT0_PT_PfS4_S4_S4_diiiiiiib,comdat
.Lfunc_end41:
	.size	_ZN5aiter24add_rmsnorm_quant_kernelIDF16_aLi256ELi8ELb1ELb1ELb1ELi1EEEvPT0_PT_PfS4_S4_S4_diiiiiiib, .Lfunc_end41-_ZN5aiter24add_rmsnorm_quant_kernelIDF16_aLi256ELi8ELb1ELb1ELb1ELi1EEEvPT0_PT_PfS4_S4_S4_diiiiiiib
                                        ; -- End function
	.section	.AMDGPU.csdata,"",@progbits
; Kernel info:
; codeLenInByte = 3452
; NumSgprs: 38
; NumVgprs: 25
; ScratchSize: 0
; MemoryBound: 0
; FloatMode: 240
; IeeeMode: 1
; LDSByteSize: 64 bytes/workgroup (compile time only)
; SGPRBlocks: 4
; VGPRBlocks: 3
; NumSGPRsForWavesPerEU: 38
; NumVGPRsForWavesPerEU: 25
; Occupancy: 16
; WaveLimiterHint : 0
; COMPUTE_PGM_RSRC2:SCRATCH_EN: 0
; COMPUTE_PGM_RSRC2:USER_SGPR: 15
; COMPUTE_PGM_RSRC2:TRAP_HANDLER: 0
; COMPUTE_PGM_RSRC2:TGID_X_EN: 1
; COMPUTE_PGM_RSRC2:TGID_Y_EN: 0
; COMPUTE_PGM_RSRC2:TGID_Z_EN: 0
; COMPUTE_PGM_RSRC2:TIDIG_COMP_CNT: 0
	.section	.text._ZN5aiter24add_rmsnorm_quant_kernelItaLi256ELi8ELb1ELb1ELb1ELi1EEEvPT0_PT_PfS4_S4_S4_diiiiiiib,"axG",@progbits,_ZN5aiter24add_rmsnorm_quant_kernelItaLi256ELi8ELb1ELb1ELb1ELi1EEEvPT0_PT_PfS4_S4_S4_diiiiiiib,comdat
	.protected	_ZN5aiter24add_rmsnorm_quant_kernelItaLi256ELi8ELb1ELb1ELb1ELi1EEEvPT0_PT_PfS4_S4_S4_diiiiiiib ; -- Begin function _ZN5aiter24add_rmsnorm_quant_kernelItaLi256ELi8ELb1ELb1ELb1ELi1EEEvPT0_PT_PfS4_S4_S4_diiiiiiib
	.globl	_ZN5aiter24add_rmsnorm_quant_kernelItaLi256ELi8ELb1ELb1ELb1ELi1EEEvPT0_PT_PfS4_S4_S4_diiiiiiib
	.p2align	8
	.type	_ZN5aiter24add_rmsnorm_quant_kernelItaLi256ELi8ELb1ELb1ELb1ELi1EEEvPT0_PT_PfS4_S4_S4_diiiiiiib,@function
_ZN5aiter24add_rmsnorm_quant_kernelItaLi256ELi8ELb1ELb1ELb1ELi1EEEvPT0_PT_PfS4_S4_S4_diiiiiiib: ; @_ZN5aiter24add_rmsnorm_quant_kernelItaLi256ELi8ELb1ELb1ELb1ELi1EEEvPT0_PT_PfS4_S4_S4_diiiiiiib
; %bb.0:
	s_load_b256 s[4:11], s[0:1], 0x38
	s_mov_b32 s34, s15
	s_mov_b32 s35, 0
	s_waitcnt lgkmcnt(0)
	s_ashr_i32 s3, s4, 31
	s_mov_b32 s2, s4
	s_delay_alu instid0(SALU_CYCLE_1) | instskip(NEXT) | instid1(VALU_DEP_1)
	v_cmp_ge_i64_e64 s2, s[34:35], s[2:3]
	s_and_b32 vcc_lo, exec_lo, s2
	s_cbranch_vccnz .LBB42_44
; %bb.1:
	s_clause 0x1
	s_load_b256 s[12:19], s[0:1], 0x0
	s_load_b256 s[20:27], s[0:1], 0x20
	s_ashr_i32 s1, s6, 31
	s_mul_hi_u32 s2, s6, s34
	s_mul_i32 s1, s1, s34
	s_mul_i32 s0, s6, s34
	s_add_i32 s1, s2, s1
	s_mul_hi_u32 s3, s7, s34
	s_lshl_b64 s[0:1], s[0:1], 1
	s_mul_i32 s2, s7, s34
	v_lshlrev_b32_e32 v19, 4, v0
	s_mov_b32 s31, -1
	s_waitcnt lgkmcnt(0)
	s_add_u32 s28, s18, s0
	s_addc_u32 s0, s19, s1
	s_add_i32 s6, s5, 1
	s_ashr_i32 s7, s7, 31
	s_lshr_b32 s18, s6, 31
	s_mul_i32 s7, s7, s34
	s_add_i32 s6, s6, s18
	s_and_b32 s29, s0, 0xffff
	s_lshl_b32 s0, s6, 1
	s_add_i32 s3, s3, s7
	s_and_b32 s30, s0, -4
	s_lshl_b64 s[2:3], s[2:3], 1
	s_and_b32 s1, s23, 0xffff
	buffer_load_b128 v[5:8], v19, s[28:31], 0 offen glc slc
	s_add_u32 s28, s20, s2
	s_addc_u32 s0, s21, s3
	s_mov_b32 s3, s31
	s_and_b32 s29, s0, 0xffff
	s_mov_b32 s0, s22
	buffer_load_b128 v[9:12], v19, s[28:31], 0 offen glc slc
	s_mov_b32 s2, s30
	s_waitcnt vmcnt(1)
	v_lshrrev_b32_e32 v15, 16, v7
	v_and_b32_e32 v17, 0xffff, v7
	v_lshrrev_b32_e32 v14, 16, v6
	v_lshrrev_b32_e32 v18, 16, v8
	s_waitcnt vmcnt(0)
	v_and_b32_e32 v7, 0xffff, v9
	v_lshrrev_b32_e32 v16, 16, v9
	s_delay_alu instid0(VALU_DEP_2) | instskip(SKIP_2) | instid1(VALU_DEP_4)
	v_cvt_f32_u32_e32 v20, v7
	v_and_b32_e32 v13, 0xffff, v5
	v_lshrrev_b32_e32 v5, 16, v5
	v_cvt_f32_u32_e32 v9, v16
	s_delay_alu instid0(VALU_DEP_2) | instskip(NEXT) | instid1(VALU_DEP_1)
	v_cvt_f32_u32_e32 v5, v5
	v_dual_add_f32 v7, v5, v9 :: v_dual_and_b32 v6, 0xffff, v6
	s_delay_alu instid0(VALU_DEP_1) | instskip(SKIP_3) | instid1(VALU_DEP_2)
	v_cvt_f32_u32_e32 v5, v6
	v_and_b32_e32 v16, 0xffff, v8
	v_cvt_f32_u32_e32 v8, v13
	v_lshrrev_b32_e32 v6, 16, v10
	v_add_f32_e32 v8, v8, v20
	v_mul_f32_e32 v20, v7, v7
	buffer_load_b128 v[1:4], v19, s[0:3], 0 offen
	v_cvt_f32_u32_e32 v6, v6
	s_ashr_i32 s0, s8, 31
	s_mul_hi_u32 s1, s8, s34
	v_dual_fmac_f32 v20, v8, v8 :: v_dual_and_b32 v13, 0xffff, v10
	v_cvt_f32_u32_e32 v10, v14
	s_mul_i32 s2, s0, s34
	s_mul_i32 s0, s8, s34
	s_add_i32 s1, s1, s2
	v_cvt_f32_u32_e32 v9, v13
	v_add_f32_e32 v10, v10, v6
	v_cvt_f32_u32_e32 v6, v15
	s_lshl_b64 s[0:1], s[0:1], 1
	s_delay_alu instid0(VALU_DEP_3) | instskip(SKIP_3) | instid1(VALU_DEP_2)
	v_add_f32_e32 v9, v5, v9
	v_cvt_f32_u32_e32 v5, v17
	s_add_u32 s28, s14, s0
	s_addc_u32 s1, s15, s1
	v_dual_fmac_f32 v20, v9, v9 :: v_dual_and_b32 v13, 0xffff, v11
	v_lshrrev_b32_e32 v11, 16, v11
	s_and_b32 s29, s1, 0xffff
	s_delay_alu instid0(VALU_DEP_2) | instskip(NEXT) | instid1(VALU_DEP_3)
	v_fmac_f32_e32 v20, v10, v10
	v_cvt_f32_u32_e32 v13, v13
	v_and_b32_e32 v14, 0xffff, v12
	v_cvt_f32_u32_e32 v15, v11
	s_delay_alu instid0(VALU_DEP_3)
	v_add_f32_e32 v11, v5, v13
	v_cvt_f32_u32_e32 v5, v16
	v_lshrrev_b32_e32 v13, 16, v12
	v_cvt_f32_u32_e32 v14, v14
	v_add_f32_e32 v12, v6, v15
	v_fmac_f32_e32 v20, v11, v11
	v_cvt_f32_u32_e32 v6, v18
	v_cvt_f32_u32_e32 v15, v13
	v_add_f32_e32 v13, v5, v14
	v_perm_b32 v17, v12, v11, 0x7060302
	v_fmac_f32_e32 v20, v12, v12
	v_perm_b32 v16, v10, v9, 0x7060302
	v_add_f32_e32 v14, v6, v15
	v_perm_b32 v15, v7, v8, 0x7060302
	s_delay_alu instid0(VALU_DEP_4) | instskip(NEXT) | instid1(VALU_DEP_1)
	v_fmac_f32_e32 v20, v13, v13
	v_fmac_f32_e32 v20, v14, v14
	s_delay_alu instid0(VALU_DEP_1) | instskip(NEXT) | instid1(VALU_DEP_1)
	v_mov_b32_dpp v5, v20 quad_perm:[1,0,3,2] row_mask:0xf bank_mask:0xf
	v_dual_add_f32 v5, v20, v5 :: v_dual_and_b32 v20, 31, v0
	v_perm_b32 v18, v14, v13, 0x7060302
	s_delay_alu instid0(VALU_DEP_2) | instskip(NEXT) | instid1(VALU_DEP_3)
	v_mov_b32_dpp v6, v5 quad_perm:[2,3,0,1] row_mask:0xf bank_mask:0xf
	v_cmp_eq_u32_e64 s0, 31, v20
	buffer_store_b128 v[15:18], v19, s[28:31], 0 offen glc slc
	;;#ASMSTART
	s_nop 0
	;;#ASMEND
	v_add_f32_e32 v5, v5, v6
	s_delay_alu instid0(VALU_DEP_1) | instskip(NEXT) | instid1(VALU_DEP_1)
	v_mov_b32_dpp v6, v5 row_xmask:7 row_mask:0xf bank_mask:0xf
	v_add_f32_e32 v5, v5, v6
	s_delay_alu instid0(VALU_DEP_1)
	v_mov_b32_dpp v6, v5 row_xmask:15 row_mask:0xf bank_mask:0xf
	s_and_saveexec_b32 s1, s0
	s_cbranch_execz .LBB42_3
; %bb.2:
	s_delay_alu instid0(VALU_DEP_1) | instskip(SKIP_2) | instid1(VALU_DEP_2)
	v_add_f32_e32 v5, v5, v6
	s_mov_b32 s2, 0x76543210
	v_lshrrev_b32_e32 v6, 3, v0
	v_permlanex16_b32 v15, v5, s2, 0xfedcba98 op_sel:[1,1]
	s_delay_alu instid0(VALU_DEP_1)
	v_dual_add_f32 v5, v5, v15 :: v_dual_and_b32 v6, 0x7c, v6
	ds_store_b32 v6, v5 offset:32
.LBB42_3:
	s_or_b32 exec_lo, exec_lo, s1
	v_and_b32_e32 v5, 7, v0
	s_waitcnt vmcnt(0) lgkmcnt(0)
	s_waitcnt_vscnt null, 0x0
	s_barrier
	buffer_gl0_inv
	v_cvt_f32_i32_e32 v16, s5
	v_lshlrev_b32_e32 v6, 2, v5
	s_cmp_lg_u32 s10, 0
	ds_load_b32 v5, v6 offset:32
	s_waitcnt lgkmcnt(0)
	v_mov_b32_dpp v15, v5 quad_perm:[1,0,3,2] row_mask:0xf bank_mask:0xf
	s_delay_alu instid0(VALU_DEP_1) | instskip(NEXT) | instid1(VALU_DEP_1)
	v_add_f32_e32 v5, v5, v15
	v_mov_b32_dpp v15, v5 quad_perm:[2,3,0,1] row_mask:0xf bank_mask:0xf
	s_delay_alu instid0(VALU_DEP_1) | instskip(NEXT) | instid1(VALU_DEP_1)
	v_add_f32_e32 v5, v5, v15
	v_mov_b32_dpp v15, v5 row_xmask:7 row_mask:0xf bank_mask:0xf
	s_delay_alu instid0(VALU_DEP_1) | instskip(NEXT) | instid1(VALU_DEP_1)
	v_add_f32_e32 v5, v5, v15
	v_div_scale_f32 v15, null, v16, v16, v5
	v_div_scale_f32 v19, vcc_lo, v5, v16, v5
	s_delay_alu instid0(VALU_DEP_2) | instskip(SKIP_2) | instid1(VALU_DEP_1)
	v_rcp_f32_e32 v17, v15
	s_waitcnt_depctr 0xfff
	v_fma_f32 v18, -v15, v17, 1.0
	v_fmac_f32_e32 v17, v18, v17
	s_delay_alu instid0(VALU_DEP_1) | instskip(NEXT) | instid1(VALU_DEP_1)
	v_mul_f32_e32 v18, v19, v17
	v_fma_f32 v20, -v15, v18, v19
	s_delay_alu instid0(VALU_DEP_1) | instskip(SKIP_1) | instid1(VALU_DEP_2)
	v_fmac_f32_e32 v18, v20, v17
	v_mov_b32_e32 v20, 0x2edbe6ff
	v_fma_f32 v15, -v15, v18, v19
	s_delay_alu instid0(VALU_DEP_1) | instskip(SKIP_2) | instid1(VALU_DEP_3)
	v_div_fmas_f32 v15, v15, v17, v18
	v_and_b32_e32 v18, 0xffff, v3
	v_lshrrev_b32_e32 v3, 16, v3
	v_div_fixup_f32 v5, v15, v16, v5
	s_delay_alu instid0(VALU_DEP_3) | instskip(NEXT) | instid1(VALU_DEP_3)
	v_cvt_f32_u32_e32 v18, v18
	v_cvt_f32_u32_e32 v3, v3
	s_delay_alu instid0(VALU_DEP_3) | instskip(NEXT) | instid1(VALU_DEP_1)
	v_cvt_f64_f32_e32 v[15:16], v5
	v_add_f64 v[15:16], v[15:16], s[24:25]
	s_delay_alu instid0(VALU_DEP_1) | instskip(SKIP_2) | instid1(VALU_DEP_2)
	v_cvt_f32_f64_e32 v5, v[15:16]
	v_and_b32_e32 v16, 0xffff, v1
	v_lshrrev_b32_e32 v1, 16, v1
	v_cvt_f32_u32_e32 v16, v16
	s_delay_alu instid0(VALU_DEP_2) | instskip(SKIP_2) | instid1(VALU_DEP_2)
	v_cvt_f32_u32_e32 v1, v1
	v_mul_f32_e32 v15, 0x4b800000, v5
	v_cmp_gt_f32_e32 vcc_lo, 0x800000, v5
	v_cndmask_b32_e32 v15, v5, v15, vcc_lo
	s_delay_alu instid0(VALU_DEP_1) | instskip(SKIP_2) | instid1(VALU_DEP_1)
	v_rsq_f32_e32 v15, v15
	s_waitcnt_depctr 0xfff
	v_mul_f32_e32 v21, 0x45800000, v15
	v_cndmask_b32_e32 v15, v15, v21, vcc_lo
	v_and_b32_e32 v17, 0xffff, v2
	v_lshrrev_b32_e32 v2, 16, v2
	v_and_b32_e32 v19, 0xffff, v4
	v_lshrrev_b32_e32 v4, 16, v4
	v_mul_f32_e32 v10, v15, v10
	s_delay_alu instid0(VALU_DEP_4) | instskip(NEXT) | instid1(VALU_DEP_4)
	v_cvt_f32_u32_e32 v2, v2
	v_cvt_f32_u32_e32 v19, v19
	s_delay_alu instid0(VALU_DEP_4) | instskip(NEXT) | instid1(VALU_DEP_3)
	v_cvt_f32_u32_e32 v4, v4
	v_dual_mul_f32 v10, v10, v2 :: v_dual_lshlrev_b32 v5, 3, v0
	v_mul_f32_e32 v8, v8, v15
	v_mul_f32_e32 v22, v15, v12
	;; [unrolled: 1-line block ×4, first 2 shown]
	s_delay_alu instid0(VALU_DEP_4) | instskip(NEXT) | instid1(VALU_DEP_4)
	v_dual_mul_f32 v7, v7, v15 :: v_dual_mul_f32 v12, v8, v16
	v_mul_f32_e32 v8, v22, v3
	v_cvt_f32_u32_e32 v17, v17
	s_delay_alu instid0(VALU_DEP_4) | instskip(NEXT) | instid1(VALU_DEP_4)
	v_dual_mul_f32 v4, v14, v4 :: v_dual_mul_f32 v21, v15, v11
	v_dual_mul_f32 v11, v7, v1 :: v_dual_and_b32 v14, 0x7fffffff, v10
	s_delay_alu instid0(VALU_DEP_4) | instskip(NEXT) | instid1(VALU_DEP_4)
	v_dual_mul_f32 v13, v15, v13 :: v_dual_and_b32 v16, 0x7fffffff, v8
	v_mul_f32_e32 v9, v9, v17
	s_delay_alu instid0(VALU_DEP_4) | instskip(NEXT) | instid1(VALU_DEP_4)
	v_dual_mul_f32 v7, v21, v18 :: v_dual_and_b32 v18, 0x7fffffff, v4
	v_and_b32_e32 v2, 0x7fffffff, v11
	s_delay_alu instid0(VALU_DEP_4)
	v_mul_f32_e32 v3, v13, v19
	v_and_b32_e32 v1, 0x7fffffff, v12
	;;#ASMSTART
	v_max3_f32 v1, v20, v1, v2

	;;#ASMEND
	v_and_b32_e32 v13, 0x7fffffff, v9
	;;#ASMSTART
	v_max3_f32 v1, v1, v13, v14

	;;#ASMEND
	v_and_b32_e32 v15, 0x7fffffff, v7
	v_and_b32_e32 v17, 0x7fffffff, v3
	;;#ASMSTART
	v_max3_f32 v1, v1, v15, v16

	;;#ASMEND
	;;#ASMSTART
	v_max3_f32 v13, v1, v17, v18

	;;#ASMEND
	s_cbranch_scc0 .LBB42_10
; %bb.4:
	s_ashr_i32 s7, s10, 31
	s_delay_alu instid0(SALU_CYCLE_1) | instskip(NEXT) | instid1(SALU_CYCLE_1)
	s_lshr_b32 s1, s7, 29
	s_add_i32 s1, s10, s1
	s_delay_alu instid0(SALU_CYCLE_1) | instskip(NEXT) | instid1(SALU_CYCLE_1)
	s_ashr_i32 s1, s1, 3
	s_cmp_lt_i32 s1, 8
	s_cbranch_scc1 .LBB42_11
; %bb.5:
	s_cmp_lt_i32 s1, 16
	s_cbranch_scc1 .LBB42_12
; %bb.6:
	s_cmp_lt_i32 s1, 32
	s_cbranch_scc1 .LBB42_13
; %bb.7:
	v_mov_b32_e32 v1, v13
	s_cmp_eq_u32 s1, 32
	s_cbranch_scc0 .LBB42_9
; %bb.8:
	s_delay_alu instid0(VALU_DEP_1) | instskip(SKIP_1) | instid1(VALU_DEP_1)
	v_mov_b32_dpp v1, v13 quad_perm:[1,0,3,2] row_mask:0xf bank_mask:0xf
	s_mov_b32 s2, 0x76543210
	v_cmp_gt_f32_e32 vcc_lo, v13, v1
	v_cndmask_b32_e32 v1, v1, v13, vcc_lo
	s_delay_alu instid0(VALU_DEP_1) | instskip(NEXT) | instid1(VALU_DEP_1)
	v_mov_b32_dpp v2, v1 quad_perm:[2,3,0,1] row_mask:0xf bank_mask:0xf
	v_cmp_gt_f32_e32 vcc_lo, v1, v2
	v_cndmask_b32_e32 v1, v2, v1, vcc_lo
	s_delay_alu instid0(VALU_DEP_1) | instskip(NEXT) | instid1(VALU_DEP_1)
	v_mov_b32_dpp v2, v1 row_xmask:7 row_mask:0xf bank_mask:0xf
	v_cmp_gt_f32_e32 vcc_lo, v1, v2
	v_cndmask_b32_e32 v1, v2, v1, vcc_lo
	s_delay_alu instid0(VALU_DEP_1) | instskip(NEXT) | instid1(VALU_DEP_1)
	v_mov_b32_dpp v2, v1 row_xmask:15 row_mask:0xf bank_mask:0xf
	v_cmp_gt_f32_e32 vcc_lo, v1, v2
	v_cndmask_b32_e32 v1, v2, v1, vcc_lo
	s_delay_alu instid0(VALU_DEP_1) | instskip(NEXT) | instid1(VALU_DEP_1)
	v_permlanex16_b32 v2, v1, s2, 0xfedcba98 op_sel:[1,1]
	v_cmp_gt_f32_e32 vcc_lo, v1, v2
	v_cndmask_b32_e32 v1, v2, v1, vcc_lo
.LBB42_9:
	s_mov_b32 s2, 0
	s_branch .LBB42_14
.LBB42_10:
	s_mov_b32 s1, 0
                                        ; implicit-def: $vgpr14
                                        ; implicit-def: $vgpr1_vgpr2
	s_and_b32 vcc_lo, exec_lo, s31
	s_cbranch_vccnz .LBB42_38
	s_branch .LBB42_41
.LBB42_11:
                                        ; implicit-def: $vgpr1
	s_branch .LBB42_21
.LBB42_12:
                                        ; implicit-def: $vgpr1
	s_branch .LBB42_18
.LBB42_13:
	s_mov_b32 s2, -1
                                        ; implicit-def: $vgpr1
.LBB42_14:
	s_delay_alu instid0(SALU_CYCLE_1)
	s_and_not1_b32 vcc_lo, exec_lo, s2
	s_cbranch_vccnz .LBB42_17
; %bb.15:
	v_mov_b32_e32 v1, v13
	s_cmp_eq_u32 s1, 16
	s_cbranch_scc0 .LBB42_17
; %bb.16:
	s_delay_alu instid0(VALU_DEP_1) | instskip(NEXT) | instid1(VALU_DEP_1)
	v_mov_b32_dpp v1, v13 quad_perm:[1,0,3,2] row_mask:0xf bank_mask:0xf
	v_cmp_gt_f32_e32 vcc_lo, v13, v1
	v_cndmask_b32_e32 v1, v1, v13, vcc_lo
	s_delay_alu instid0(VALU_DEP_1) | instskip(NEXT) | instid1(VALU_DEP_1)
	v_mov_b32_dpp v2, v1 quad_perm:[2,3,0,1] row_mask:0xf bank_mask:0xf
	v_cmp_gt_f32_e32 vcc_lo, v1, v2
	v_cndmask_b32_e32 v1, v2, v1, vcc_lo
	s_delay_alu instid0(VALU_DEP_1) | instskip(NEXT) | instid1(VALU_DEP_1)
	v_mov_b32_dpp v2, v1 row_half_mirror row_mask:0xf bank_mask:0xf
	v_cmp_gt_f32_e32 vcc_lo, v1, v2
	v_cndmask_b32_e32 v1, v2, v1, vcc_lo
	s_delay_alu instid0(VALU_DEP_1) | instskip(NEXT) | instid1(VALU_DEP_1)
	v_mov_b32_dpp v2, v1 row_mirror row_mask:0xf bank_mask:0xf
	v_cmp_gt_f32_e32 vcc_lo, v1, v2
	v_cndmask_b32_e32 v1, v2, v1, vcc_lo
.LBB42_17:
	s_cbranch_execnz .LBB42_20
.LBB42_18:
	v_mov_b32_e32 v1, v13
	s_cmp_eq_u32 s1, 8
	s_cbranch_scc0 .LBB42_20
; %bb.19:
	s_delay_alu instid0(VALU_DEP_1) | instskip(NEXT) | instid1(VALU_DEP_1)
	v_mov_b32_dpp v1, v13 quad_perm:[1,0,3,2] row_mask:0xf bank_mask:0xf
	v_cmp_gt_f32_e32 vcc_lo, v13, v1
	v_cndmask_b32_e32 v1, v1, v13, vcc_lo
	s_delay_alu instid0(VALU_DEP_1) | instskip(NEXT) | instid1(VALU_DEP_1)
	v_mov_b32_dpp v2, v1 quad_perm:[2,3,0,1] row_mask:0xf bank_mask:0xf
	v_cmp_gt_f32_e32 vcc_lo, v1, v2
	v_cndmask_b32_e32 v1, v2, v1, vcc_lo
	s_delay_alu instid0(VALU_DEP_1) | instskip(NEXT) | instid1(VALU_DEP_1)
	v_mov_b32_dpp v2, v1 row_half_mirror row_mask:0xf bank_mask:0xf
	v_cmp_gt_f32_e32 vcc_lo, v1, v2
	v_cndmask_b32_e32 v1, v2, v1, vcc_lo
.LBB42_20:
	s_cbranch_execnz .LBB42_28
.LBB42_21:
	s_cmp_lt_i32 s1, 4
	s_cbranch_scc1 .LBB42_24
; %bb.22:
	v_mov_b32_e32 v1, v13
	s_cmp_eq_u32 s1, 4
	s_cbranch_scc0 .LBB42_25
; %bb.23:
	s_delay_alu instid0(VALU_DEP_1) | instskip(NEXT) | instid1(VALU_DEP_1)
	v_mov_b32_dpp v1, v13 quad_perm:[1,0,3,2] row_mask:0xf bank_mask:0xf
	v_cmp_gt_f32_e32 vcc_lo, v13, v1
	v_cndmask_b32_e32 v1, v1, v13, vcc_lo
	s_delay_alu instid0(VALU_DEP_1) | instskip(NEXT) | instid1(VALU_DEP_1)
	v_mov_b32_dpp v2, v1 quad_perm:[2,3,0,1] row_mask:0xf bank_mask:0xf
	v_cmp_gt_f32_e32 vcc_lo, v1, v2
	v_cndmask_b32_e32 v1, v2, v1, vcc_lo
	s_cbranch_execz .LBB42_26
	s_branch .LBB42_28
.LBB42_24:
                                        ; implicit-def: $vgpr1
	s_branch .LBB42_26
.LBB42_25:
	s_cbranch_execnz .LBB42_28
.LBB42_26:
	v_mov_b32_e32 v1, v13
	s_cmp_lg_u32 s1, 2
	s_cbranch_scc1 .LBB42_28
; %bb.27:
	s_delay_alu instid0(VALU_DEP_1) | instskip(NEXT) | instid1(VALU_DEP_1)
	v_mov_b32_dpp v1, v13 quad_perm:[1,0,3,2] row_mask:0xf bank_mask:0xf
	v_cmp_gt_f32_e32 vcc_lo, v13, v1
	v_cndmask_b32_e32 v1, v1, v13, vcc_lo
.LBB42_28:
	v_cvt_f32_u32_e32 v2, s1
	s_sub_i32 s2, 0, s1
	s_mov_b32 s31, 0
	s_delay_alu instid0(VALU_DEP_1) | instskip(SKIP_2) | instid1(VALU_DEP_1)
	v_rcp_iflag_f32_e32 v2, v2
	s_waitcnt_depctr 0xfff
	v_mul_f32_e32 v2, 0x4f7ffffe, v2
	v_cvt_u32_f32_e32 v2, v2
	s_delay_alu instid0(VALU_DEP_1) | instskip(NEXT) | instid1(VALU_DEP_1)
	v_mul_lo_u32 v14, s2, v2
	v_mul_hi_u32 v14, v2, v14
	s_delay_alu instid0(VALU_DEP_1) | instskip(NEXT) | instid1(VALU_DEP_1)
	v_add_nc_u32_e32 v2, v2, v14
	v_mul_hi_u32 v2, v0, v2
	s_delay_alu instid0(VALU_DEP_1) | instskip(NEXT) | instid1(VALU_DEP_1)
	v_mul_lo_u32 v14, v2, s1
	v_sub_nc_u32_e32 v14, v0, v14
	s_delay_alu instid0(VALU_DEP_1) | instskip(SKIP_1) | instid1(VALU_DEP_2)
	v_subrev_nc_u32_e32 v16, s1, v14
	v_cmp_le_u32_e32 vcc_lo, s1, v14
	v_dual_cndmask_b32 v14, v14, v16 :: v_dual_add_nc_u32 v15, 1, v2
	s_delay_alu instid0(VALU_DEP_1) | instskip(NEXT) | instid1(VALU_DEP_2)
	v_cndmask_b32_e32 v2, v2, v15, vcc_lo
	v_cmp_le_u32_e32 vcc_lo, s1, v14
	s_delay_alu instid0(VALU_DEP_2) | instskip(NEXT) | instid1(VALU_DEP_1)
	v_dual_mul_f32 v14, 0x3c010204, v1 :: v_dual_add_nc_u32 v15, 1, v2
	v_cndmask_b32_e32 v15, v2, v15, vcc_lo
	v_cmp_gt_u32_e32 vcc_lo, s5, v5
	s_delay_alu instid0(VALU_DEP_2) | instskip(NEXT) | instid1(VALU_DEP_1)
	v_mul_lo_u32 v2, v15, s1
	v_sub_nc_u32_e32 v2, v0, v2
	s_delay_alu instid0(VALU_DEP_1) | instskip(NEXT) | instid1(VALU_DEP_1)
	v_cmp_eq_u32_e64 s1, 0, v2
                                        ; implicit-def: $vgpr1_vgpr2
	s_and_b32 s2, s1, vcc_lo
	s_mov_b32 s1, 0
	s_and_saveexec_b32 s3, s2
	s_delay_alu instid0(SALU_CYCLE_1)
	s_xor_b32 s8, exec_lo, s3
	s_cbranch_execz .LBB42_37
; %bb.29:
	s_bitcmp0_b32 s11, 0
	s_mov_b32 s6, 0
	s_cbranch_scc0 .LBB42_34
; %bb.30:
	s_ashr_i32 s1, s5, 31
	s_mul_hi_u32 s3, s5, s34
	s_mul_i32 s1, s1, s34
	s_mul_i32 s2, s5, s34
	s_add_i32 s3, s3, s1
	s_mov_b32 s11, s7
	s_delay_alu instid0(SALU_CYCLE_1) | instskip(NEXT) | instid1(SALU_CYCLE_1)
	s_or_b64 s[14:15], s[2:3], s[10:11]
	s_mov_b32 s7, s15
	s_delay_alu instid0(SALU_CYCLE_1)
	s_cmp_lg_u64 s[6:7], 0
	s_cbranch_scc0 .LBB42_45
; %bb.31:
	s_add_u32 s14, s10, s11
	s_mov_b32 s6, s11
	s_mov_b32 s7, s11
	s_addc_u32 s15, s11, s11
	s_delay_alu instid0(SALU_CYCLE_1) | instskip(NEXT) | instid1(SALU_CYCLE_1)
	s_xor_b64 s[14:15], s[14:15], s[6:7]
	v_cvt_f32_u32_e32 v1, s14
	v_cvt_f32_u32_e32 v2, s15
	s_sub_u32 s18, 0, s14
	s_subb_u32 s19, 0, s15
	s_delay_alu instid0(VALU_DEP_1) | instskip(NEXT) | instid1(VALU_DEP_1)
	v_fmamk_f32 v1, v2, 0x4f800000, v1
	v_rcp_f32_e32 v1, v1
	s_waitcnt_depctr 0xfff
	v_mul_f32_e32 v1, 0x5f7ffffc, v1
	s_delay_alu instid0(VALU_DEP_1) | instskip(NEXT) | instid1(VALU_DEP_1)
	v_mul_f32_e32 v2, 0x2f800000, v1
	v_trunc_f32_e32 v2, v2
	s_delay_alu instid0(VALU_DEP_1) | instskip(SKIP_1) | instid1(VALU_DEP_2)
	v_fmamk_f32 v1, v2, 0xcf800000, v1
	v_cvt_u32_f32_e32 v2, v2
	v_cvt_u32_f32_e32 v1, v1
	s_delay_alu instid0(VALU_DEP_2) | instskip(NEXT) | instid1(VALU_DEP_2)
	v_readfirstlane_b32 s1, v2
	v_readfirstlane_b32 s11, v1
	s_delay_alu instid0(VALU_DEP_2) | instskip(NEXT) | instid1(VALU_DEP_1)
	s_mul_i32 s20, s18, s1
	s_mul_hi_u32 s22, s18, s11
	s_mul_i32 s21, s19, s11
	s_add_i32 s20, s22, s20
	s_mul_i32 s23, s18, s11
	s_add_i32 s20, s20, s21
	s_mul_hi_u32 s22, s11, s23
	s_mul_hi_u32 s24, s1, s23
	s_mul_i32 s21, s1, s23
	s_mul_hi_u32 s23, s11, s20
	s_mul_i32 s11, s11, s20
	s_mul_hi_u32 s25, s1, s20
	s_add_u32 s11, s22, s11
	s_addc_u32 s22, 0, s23
	s_add_u32 s11, s11, s21
	s_mul_i32 s20, s1, s20
	s_addc_u32 s11, s22, s24
	s_addc_u32 s21, s25, 0
	s_add_u32 s11, s11, s20
	s_addc_u32 s20, 0, s21
	v_add_co_u32 v1, s11, v1, s11
	s_delay_alu instid0(VALU_DEP_1) | instskip(SKIP_1) | instid1(VALU_DEP_1)
	s_cmp_lg_u32 s11, 0
	s_addc_u32 s1, s1, s20
	v_readfirstlane_b32 s11, v1
	s_mul_i32 s20, s18, s1
	s_delay_alu instid0(VALU_DEP_1)
	s_mul_hi_u32 s21, s18, s11
	s_mul_i32 s19, s19, s11
	s_add_i32 s20, s21, s20
	s_mul_i32 s18, s18, s11
	s_add_i32 s20, s20, s19
	s_mul_hi_u32 s21, s1, s18
	s_mul_i32 s22, s1, s18
	s_mul_hi_u32 s18, s11, s18
	s_mul_hi_u32 s23, s11, s20
	s_mul_i32 s11, s11, s20
	s_mul_hi_u32 s19, s1, s20
	s_add_u32 s11, s18, s11
	s_addc_u32 s18, 0, s23
	s_add_u32 s11, s11, s22
	s_mul_i32 s20, s1, s20
	s_addc_u32 s11, s18, s21
	s_addc_u32 s18, s19, 0
	s_add_u32 s11, s11, s20
	s_addc_u32 s18, 0, s18
	v_add_co_u32 v1, s11, v1, s11
	s_delay_alu instid0(VALU_DEP_1) | instskip(SKIP_2) | instid1(SALU_CYCLE_1)
	s_cmp_lg_u32 s11, 0
	s_addc_u32 s1, s1, s18
	s_ashr_i32 s18, s3, 31
	s_add_u32 s20, s2, s18
	s_addc_u32 s21, s3, s18
	v_readfirstlane_b32 s3, v1
	s_mov_b32 s19, s18
	s_delay_alu instid0(SALU_CYCLE_1) | instskip(NEXT) | instid1(SALU_CYCLE_1)
	s_xor_b64 s[20:21], s[20:21], s[18:19]
	s_mul_i32 s22, s20, s1
	s_delay_alu instid0(VALU_DEP_1)
	s_mul_hi_u32 s23, s20, s3
	s_mul_hi_u32 s11, s20, s1
	s_mul_hi_u32 s25, s21, s3
	s_mul_i32 s3, s21, s3
	s_add_u32 s22, s23, s22
	s_addc_u32 s11, 0, s11
	s_mul_hi_u32 s24, s21, s1
	s_add_u32 s3, s22, s3
	s_mul_i32 s1, s21, s1
	s_addc_u32 s3, s11, s25
	s_addc_u32 s11, s24, 0
	s_add_u32 s3, s3, s1
	s_addc_u32 s11, 0, s11
	s_mul_i32 s24, s14, s3
	s_mul_hi_u32 s1, s14, s3
	s_mul_i32 s23, s14, s11
	v_sub_co_u32 v1, s20, s20, s24
	s_mul_i32 s22, s15, s3
	s_add_i32 s1, s1, s23
	s_delay_alu instid0(SALU_CYCLE_1) | instskip(NEXT) | instid1(VALU_DEP_1)
	s_add_i32 s1, s1, s22
	v_sub_co_u32 v2, s23, v1, s14
	s_sub_i32 s22, s21, s1
	s_cmp_lg_u32 s20, 0
	s_subb_u32 s22, s22, s15
	s_cmp_lg_u32 s23, 0
	v_cmp_le_u32_e32 vcc_lo, s14, v2
	s_subb_u32 s22, s22, 0
	s_delay_alu instid0(SALU_CYCLE_1)
	s_cmp_ge_u32 s22, s15
	v_cndmask_b32_e64 v2, 0, -1, vcc_lo
	s_cselect_b32 s23, -1, 0
	s_cmp_eq_u32 s22, s15
	s_cselect_b32 vcc_lo, -1, 0
	s_add_u32 s22, s3, 1
	v_cndmask_b32_e32 v2, s23, v2, vcc_lo
	s_addc_u32 s23, s11, 0
	s_add_u32 s24, s3, 2
	s_addc_u32 s25, s11, 0
	s_cmp_lg_u32 s20, 0
	v_cmp_le_u32_e32 vcc_lo, s14, v1
	s_subb_u32 s1, s21, s1
	v_mov_b32_e32 v16, s24
	s_cmp_ge_u32 s1, s15
	v_cndmask_b32_e64 v1, 0, -1, vcc_lo
	s_cselect_b32 s14, -1, 0
	s_cmp_eq_u32 s1, s15
	v_cmp_ne_u32_e32 vcc_lo, 0, v2
	v_mov_b32_e32 v2, s25
	s_cselect_b32 s1, -1, 0
	s_xor_b64 s[6:7], s[18:19], s[6:7]
	v_cndmask_b32_e64 v1, s14, v1, s1
	v_cndmask_b32_e32 v16, s22, v16, vcc_lo
	v_cndmask_b32_e32 v2, s23, v2, vcc_lo
	s_delay_alu instid0(VALU_DEP_3) | instskip(NEXT) | instid1(VALU_DEP_2)
	v_cmp_ne_u32_e32 vcc_lo, 0, v1
	v_cndmask_b32_e32 v1, s11, v2, vcc_lo
	s_delay_alu instid0(VALU_DEP_4) | instskip(NEXT) | instid1(VALU_DEP_2)
	v_cndmask_b32_e32 v2, s3, v16, vcc_lo
	v_xor_b32_e32 v16, s7, v1
	s_delay_alu instid0(VALU_DEP_2) | instskip(NEXT) | instid1(VALU_DEP_1)
	v_xor_b32_e32 v2, s6, v2
	v_sub_co_u32 v1, vcc_lo, v2, s6
	s_delay_alu instid0(VALU_DEP_3)
	v_subrev_co_ci_u32_e32 v2, vcc_lo, s7, v16, vcc_lo
	s_cbranch_execnz .LBB42_33
.LBB42_32:
	v_cvt_f32_u32_e32 v1, s10
	s_sub_i32 s3, 0, s10
	s_delay_alu instid0(VALU_DEP_1) | instskip(SKIP_2) | instid1(VALU_DEP_1)
	v_rcp_iflag_f32_e32 v1, v1
	s_waitcnt_depctr 0xfff
	v_mul_f32_e32 v1, 0x4f7ffffe, v1
	v_cvt_u32_f32_e32 v1, v1
	s_delay_alu instid0(VALU_DEP_1) | instskip(NEXT) | instid1(VALU_DEP_1)
	v_readfirstlane_b32 s1, v1
	s_mul_i32 s3, s3, s1
	s_delay_alu instid0(SALU_CYCLE_1) | instskip(NEXT) | instid1(SALU_CYCLE_1)
	s_mul_hi_u32 s3, s1, s3
	s_add_i32 s1, s1, s3
	s_delay_alu instid0(SALU_CYCLE_1) | instskip(NEXT) | instid1(SALU_CYCLE_1)
	s_mul_hi_u32 s1, s2, s1
	s_mul_i32 s3, s1, s10
	s_delay_alu instid0(SALU_CYCLE_1)
	s_sub_i32 s2, s2, s3
	s_add_i32 s3, s1, 1
	s_sub_i32 s6, s2, s10
	s_cmp_ge_u32 s2, s10
	s_cselect_b32 s1, s3, s1
	s_cselect_b32 s2, s6, s2
	s_add_i32 s6, s1, 1
	s_cmp_ge_u32 s2, s10
	s_mov_b32 s3, 0
	s_cselect_b32 s2, s6, s1
	s_delay_alu instid0(SALU_CYCLE_1)
	v_dual_mov_b32 v1, s2 :: v_dual_mov_b32 v2, s3
.LBB42_33:
	s_delay_alu instid0(VALU_DEP_1) | instskip(NEXT) | instid1(VALU_DEP_2)
	v_add_co_u32 v1, vcc_lo, v1, v15
	v_add_co_ci_u32_e32 v2, vcc_lo, 0, v2, vcc_lo
	s_branch .LBB42_36
.LBB42_34:
                                        ; implicit-def: $vgpr1_vgpr2
	s_cbranch_execz .LBB42_36
; %bb.35:
	v_mul_lo_u32 v1, v15, s4
	s_delay_alu instid0(VALU_DEP_1) | instskip(SKIP_1) | instid1(VALU_DEP_2)
	v_ashrrev_i32_e32 v2, 31, v1
	v_add_co_u32 v1, vcc_lo, v1, s34
	v_add_co_ci_u32_e32 v2, vcc_lo, 0, v2, vcc_lo
.LBB42_36:
	s_mov_b32 s1, exec_lo
.LBB42_37:
	s_or_b32 exec_lo, exec_lo, s8
	s_delay_alu instid0(SALU_CYCLE_1)
	s_and_b32 vcc_lo, exec_lo, s31
	s_cbranch_vccz .LBB42_41
.LBB42_38:
	v_mov_b32_dpp v1, v13 quad_perm:[1,0,3,2] row_mask:0xf bank_mask:0xf
	s_delay_alu instid0(VALU_DEP_1) | instskip(SKIP_1) | instid1(VALU_DEP_1)
	v_cmp_gt_f32_e32 vcc_lo, v13, v1
	v_cndmask_b32_e32 v1, v1, v13, vcc_lo
	v_mov_b32_dpp v2, v1 quad_perm:[2,3,0,1] row_mask:0xf bank_mask:0xf
	s_delay_alu instid0(VALU_DEP_1) | instskip(SKIP_1) | instid1(VALU_DEP_1)
	v_cmp_gt_f32_e32 vcc_lo, v1, v2
	v_cndmask_b32_e32 v1, v2, v1, vcc_lo
	v_mov_b32_dpp v2, v1 row_xmask:7 row_mask:0xf bank_mask:0xf
	s_delay_alu instid0(VALU_DEP_1) | instskip(SKIP_1) | instid1(VALU_DEP_1)
	v_cmp_gt_f32_e32 vcc_lo, v1, v2
	v_cndmask_b32_e32 v1, v2, v1, vcc_lo
	v_mov_b32_dpp v2, v1 row_xmask:15 row_mask:0xf bank_mask:0xf
	s_delay_alu instid0(VALU_DEP_1)
	v_cmp_gt_f32_e32 vcc_lo, v1, v2
	s_and_saveexec_b32 s1, s0
	s_cbranch_execz .LBB42_40
; %bb.39:
	v_cndmask_b32_e32 v1, v2, v1, vcc_lo
	v_lshrrev_b32_e32 v2, 3, v0
	s_mov_b32 s0, 0x76543210
	s_delay_alu instid0(VALU_DEP_1) | instskip(NEXT) | instid1(VALU_DEP_3)
	v_and_b32_e32 v2, 0x7c, v2
	v_permlanex16_b32 v13, v1, s0, 0xfedcba98 op_sel:[1,1]
	s_delay_alu instid0(VALU_DEP_1)
	v_cmp_gt_f32_e32 vcc_lo, v1, v13
	v_cndmask_b32_e32 v1, v13, v1, vcc_lo
	ds_store_b32 v2, v1
.LBB42_40:
	s_or_b32 exec_lo, exec_lo, s1
	s_waitcnt lgkmcnt(0)
	s_barrier
	buffer_gl0_inv
	ds_load_b32 v1, v6
	v_cmp_eq_u32_e64 s1, 0, v0
	s_waitcnt lgkmcnt(0)
	v_mov_b32_dpp v2, v1 quad_perm:[1,0,3,2] row_mask:0xf bank_mask:0xf
	s_delay_alu instid0(VALU_DEP_1) | instskip(SKIP_1) | instid1(VALU_DEP_1)
	v_cmp_gt_f32_e32 vcc_lo, v1, v2
	v_cndmask_b32_e32 v1, v2, v1, vcc_lo
	v_mov_b32_dpp v2, v1 quad_perm:[2,3,0,1] row_mask:0xf bank_mask:0xf
	s_delay_alu instid0(VALU_DEP_1) | instskip(SKIP_1) | instid1(VALU_DEP_1)
	v_cmp_gt_f32_e32 vcc_lo, v1, v2
	v_cndmask_b32_e32 v1, v2, v1, vcc_lo
	v_mov_b32_dpp v2, v1 row_xmask:7 row_mask:0xf bank_mask:0xf
	s_delay_alu instid0(VALU_DEP_1) | instskip(SKIP_1) | instid1(VALU_DEP_1)
	v_cmp_gt_f32_e32 vcc_lo, v1, v2
	v_cndmask_b32_e32 v1, v2, v1, vcc_lo
	v_dual_mul_f32 v14, 0x3c010204, v1 :: v_dual_mov_b32 v1, s34
	v_mov_b32_e32 v2, s35
.LBB42_41:
	s_and_saveexec_b32 s0, s1
	s_cbranch_execz .LBB42_43
; %bb.42:
	s_delay_alu instid0(VALU_DEP_1) | instskip(NEXT) | instid1(VALU_DEP_1)
	v_lshlrev_b64 v[0:1], 2, v[1:2]
	v_add_co_u32 v0, vcc_lo, s16, v0
	s_delay_alu instid0(VALU_DEP_2)
	v_add_co_ci_u32_e32 v1, vcc_lo, s17, v1, vcc_lo
	global_store_b32 v[0:1], v14, off
.LBB42_43:
	s_or_b32 exec_lo, exec_lo, s0
	;;#ASMSTART
	v_rcp_f32 v0, v14
	;;#ASMEND
	v_mul_f32_e32 v7, v7, v0
	v_mul_f32_e32 v1, v12, v0
	;; [unrolled: 1-line block ×4, first 2 shown]
	s_add_i32 s0, s5, 3
	v_cvt_i32_f32_e32 v7, v7
	v_mul_f32_e32 v2, v11, v0
	v_cvt_i32_f32_e32 v1, v1
	v_mul_f32_e32 v6, v9, v0
	v_cvt_i32_f32_e32 v4, v4
	v_and_b32_e32 v7, 0xff, v7
	v_cvt_i32_f32_e32 v2, v2
	v_and_b32_e32 v1, 0xff, v1
	s_ashr_i32 s1, s0, 31
	v_lshlrev_b16 v4, 8, v4
	s_lshr_b32 s1, s1, 30
	v_lshlrev_b16 v2, 8, v2
	s_add_i32 s0, s0, s1
	s_ashr_i32 s1, s9, 31
	s_and_b32 s2, s0, -4
	s_mul_hi_u32 s0, s9, s34
	v_or_b32_e32 v1, v1, v2
	v_mul_f32_e32 v9, v10, v0
	v_mul_f32_e32 v0, v3, v0
	v_cvt_i32_f32_e32 v3, v6
	s_mul_i32 s1, s1, s34
	s_mul_i32 s3, s9, s34
	s_add_i32 s1, s0, s1
	v_cvt_i32_f32_e32 v0, v0
	v_and_b32_e32 v3, 0xff, v3
	v_cvt_i32_f32_e32 v6, v8
	s_add_u32 s0, s12, s3
	s_addc_u32 s1, s13, s1
	v_and_b32_e32 v0, 0xff, v0
	s_and_b32 s1, s1, 0xffff
	v_lshlrev_b16 v6, 8, v6
	s_mov_b32 s3, -1
	s_delay_alu instid0(VALU_DEP_2) | instskip(SKIP_3) | instid1(VALU_DEP_4)
	v_or_b32_e32 v0, v0, v4
	v_and_b32_e32 v4, 0xffff, v1
	v_cvt_i32_f32_e32 v8, v9
	v_or_b32_e32 v6, v7, v6
	v_lshlrev_b32_e32 v0, 16, v0
	s_delay_alu instid0(VALU_DEP_3) | instskip(NEXT) | instid1(VALU_DEP_1)
	v_lshlrev_b16 v8, 8, v8
	v_or_b32_e32 v2, v3, v8
	s_delay_alu instid0(VALU_DEP_4) | instskip(NEXT) | instid1(VALU_DEP_2)
	v_and_b32_e32 v3, 0xffff, v6
	v_lshlrev_b32_e32 v2, 16, v2
	s_delay_alu instid0(VALU_DEP_2) | instskip(NEXT) | instid1(VALU_DEP_2)
	v_or_b32_e32 v1, v3, v0
	v_or_b32_e32 v0, v4, v2
	buffer_store_b64 v[0:1], v5, s[0:3], 0 offen
	;;#ASMSTART
	s_nop 0
	;;#ASMEND
.LBB42_44:
	s_nop 0
	s_sendmsg sendmsg(MSG_DEALLOC_VGPRS)
	s_endpgm
.LBB42_45:
                                        ; implicit-def: $vgpr1_vgpr2
	s_branch .LBB42_32
	.section	.rodata,"a",@progbits
	.p2align	6, 0x0
	.amdhsa_kernel _ZN5aiter24add_rmsnorm_quant_kernelItaLi256ELi8ELb1ELb1ELb1ELi1EEEvPT0_PT_PfS4_S4_S4_diiiiiiib
		.amdhsa_group_segment_fixed_size 64
		.amdhsa_private_segment_fixed_size 0
		.amdhsa_kernarg_size 88
		.amdhsa_user_sgpr_count 15
		.amdhsa_user_sgpr_dispatch_ptr 0
		.amdhsa_user_sgpr_queue_ptr 0
		.amdhsa_user_sgpr_kernarg_segment_ptr 1
		.amdhsa_user_sgpr_dispatch_id 0
		.amdhsa_user_sgpr_private_segment_size 0
		.amdhsa_wavefront_size32 1
		.amdhsa_uses_dynamic_stack 0
		.amdhsa_enable_private_segment 0
		.amdhsa_system_sgpr_workgroup_id_x 1
		.amdhsa_system_sgpr_workgroup_id_y 0
		.amdhsa_system_sgpr_workgroup_id_z 0
		.amdhsa_system_sgpr_workgroup_info 0
		.amdhsa_system_vgpr_workitem_id 0
		.amdhsa_next_free_vgpr 23
		.amdhsa_next_free_sgpr 36
		.amdhsa_reserve_vcc 1
		.amdhsa_float_round_mode_32 0
		.amdhsa_float_round_mode_16_64 0
		.amdhsa_float_denorm_mode_32 3
		.amdhsa_float_denorm_mode_16_64 3
		.amdhsa_dx10_clamp 1
		.amdhsa_ieee_mode 1
		.amdhsa_fp16_overflow 0
		.amdhsa_workgroup_processor_mode 1
		.amdhsa_memory_ordered 1
		.amdhsa_forward_progress 0
		.amdhsa_shared_vgpr_count 0
		.amdhsa_exception_fp_ieee_invalid_op 0
		.amdhsa_exception_fp_denorm_src 0
		.amdhsa_exception_fp_ieee_div_zero 0
		.amdhsa_exception_fp_ieee_overflow 0
		.amdhsa_exception_fp_ieee_underflow 0
		.amdhsa_exception_fp_ieee_inexact 0
		.amdhsa_exception_int_div_zero 0
	.end_amdhsa_kernel
	.section	.text._ZN5aiter24add_rmsnorm_quant_kernelItaLi256ELi8ELb1ELb1ELb1ELi1EEEvPT0_PT_PfS4_S4_S4_diiiiiiib,"axG",@progbits,_ZN5aiter24add_rmsnorm_quant_kernelItaLi256ELi8ELb1ELb1ELb1ELi1EEEvPT0_PT_PfS4_S4_S4_diiiiiiib,comdat
.Lfunc_end42:
	.size	_ZN5aiter24add_rmsnorm_quant_kernelItaLi256ELi8ELb1ELb1ELb1ELi1EEEvPT0_PT_PfS4_S4_S4_diiiiiiib, .Lfunc_end42-_ZN5aiter24add_rmsnorm_quant_kernelItaLi256ELi8ELb1ELb1ELb1ELi1EEEvPT0_PT_PfS4_S4_S4_diiiiiiib
                                        ; -- End function
	.section	.AMDGPU.csdata,"",@progbits
; Kernel info:
; codeLenInByte = 3564
; NumSgprs: 38
; NumVgprs: 23
; ScratchSize: 0
; MemoryBound: 0
; FloatMode: 240
; IeeeMode: 1
; LDSByteSize: 64 bytes/workgroup (compile time only)
; SGPRBlocks: 4
; VGPRBlocks: 2
; NumSGPRsForWavesPerEU: 38
; NumVGPRsForWavesPerEU: 23
; Occupancy: 16
; WaveLimiterHint : 0
; COMPUTE_PGM_RSRC2:SCRATCH_EN: 0
; COMPUTE_PGM_RSRC2:USER_SGPR: 15
; COMPUTE_PGM_RSRC2:TRAP_HANDLER: 0
; COMPUTE_PGM_RSRC2:TGID_X_EN: 1
; COMPUTE_PGM_RSRC2:TGID_Y_EN: 0
; COMPUTE_PGM_RSRC2:TGID_Z_EN: 0
; COMPUTE_PGM_RSRC2:TIDIG_COMP_CNT: 0
	.section	.text._ZN5aiter24add_rmsnorm_quant_kernelIDF16_aLi256ELi8ELb1ELb1ELb0ELi1EEEvPT0_PT_PfS4_S4_S4_diiiiiiib,"axG",@progbits,_ZN5aiter24add_rmsnorm_quant_kernelIDF16_aLi256ELi8ELb1ELb1ELb0ELi1EEEvPT0_PT_PfS4_S4_S4_diiiiiiib,comdat
	.protected	_ZN5aiter24add_rmsnorm_quant_kernelIDF16_aLi256ELi8ELb1ELb1ELb0ELi1EEEvPT0_PT_PfS4_S4_S4_diiiiiiib ; -- Begin function _ZN5aiter24add_rmsnorm_quant_kernelIDF16_aLi256ELi8ELb1ELb1ELb0ELi1EEEvPT0_PT_PfS4_S4_S4_diiiiiiib
	.globl	_ZN5aiter24add_rmsnorm_quant_kernelIDF16_aLi256ELi8ELb1ELb1ELb0ELi1EEEvPT0_PT_PfS4_S4_S4_diiiiiiib
	.p2align	8
	.type	_ZN5aiter24add_rmsnorm_quant_kernelIDF16_aLi256ELi8ELb1ELb1ELb0ELi1EEEvPT0_PT_PfS4_S4_S4_diiiiiiib,@function
_ZN5aiter24add_rmsnorm_quant_kernelIDF16_aLi256ELi8ELb1ELb1ELb0ELi1EEEvPT0_PT_PfS4_S4_S4_diiiiiiib: ; @_ZN5aiter24add_rmsnorm_quant_kernelIDF16_aLi256ELi8ELb1ELb1ELb0ELi1EEEvPT0_PT_PfS4_S4_S4_diiiiiiib
; %bb.0:
	s_load_b256 s[4:11], s[0:1], 0x38
	s_mov_b32 s34, s15
	s_mov_b32 s35, 0
	s_waitcnt lgkmcnt(0)
	s_ashr_i32 s3, s4, 31
	s_mov_b32 s2, s4
	s_delay_alu instid0(SALU_CYCLE_1) | instskip(NEXT) | instid1(VALU_DEP_1)
	v_cmp_ge_i64_e64 s2, s[34:35], s[2:3]
	s_and_b32 vcc_lo, exec_lo, s2
	s_cbranch_vccnz .LBB43_44
; %bb.1:
	s_clause 0x1
	s_load_b256 s[12:19], s[0:1], 0x0
	s_load_b256 s[20:27], s[0:1], 0x20
	s_ashr_i32 s1, s6, 31
	s_mul_hi_u32 s2, s6, s34
	s_mul_i32 s1, s1, s34
	s_mul_i32 s0, s6, s34
	s_add_i32 s1, s2, s1
	s_mul_hi_u32 s3, s7, s34
	s_lshl_b64 s[0:1], s[0:1], 1
	s_mul_i32 s2, s7, s34
	v_lshlrev_b32_e32 v19, 4, v0
	s_mov_b32 s31, -1
	v_and_b32_e32 v20, 31, v0
	s_waitcnt lgkmcnt(0)
	s_add_u32 s28, s18, s0
	s_addc_u32 s0, s19, s1
	s_add_i32 s6, s5, 1
	s_ashr_i32 s7, s7, 31
	s_lshr_b32 s18, s6, 31
	s_mul_i32 s7, s7, s34
	s_add_i32 s6, s6, s18
	s_and_b32 s29, s0, 0xffff
	s_lshl_b32 s0, s6, 1
	s_add_i32 s3, s3, s7
	s_and_b32 s30, s0, -4
	s_lshl_b64 s[2:3], s[2:3], 1
	s_and_b32 s1, s23, 0xffff
	buffer_load_b128 v[9:12], v19, s[28:31], 0 offen glc slc
	s_add_u32 s28, s20, s2
	s_addc_u32 s0, s21, s3
	s_mov_b32 s3, s31
	s_and_b32 s29, s0, 0xffff
	s_mov_b32 s0, s22
	buffer_load_b128 v[13:16], v19, s[28:31], 0 offen glc slc
	s_mov_b32 s2, s30
	s_waitcnt vmcnt(1)
	v_cvt_f32_f16_e32 v8, v9
	v_lshrrev_b32_e32 v5, 16, v9
	v_cvt_f32_f16_e32 v9, v10
	s_waitcnt vmcnt(0)
	v_lshrrev_b32_e32 v6, 16, v13
	v_cvt_f32_f16_e32 v13, v13
	v_cvt_f32_f16_e32 v5, v5
	s_delay_alu instid0(VALU_DEP_3) | instskip(NEXT) | instid1(VALU_DEP_3)
	v_cvt_f32_f16_e32 v6, v6
	v_add_f32_e32 v8, v8, v13
	buffer_load_b128 v[1:4], v19, s[0:3], 0 offen
	v_cvt_f32_f16_e32 v13, v11
	s_ashr_i32 s0, s8, 31
	v_add_f32_e32 v7, v5, v6
	v_lshrrev_b32_e32 v5, 16, v10
	v_cvt_f32_f16_e32 v6, v14
	v_lshrrev_b32_e32 v10, 16, v14
	v_lshrrev_b32_e32 v14, 16, v15
	s_mul_hi_u32 s1, s8, s34
	v_cvt_f32_f16_e32 v5, v5
	v_add_f32_e32 v9, v9, v6
	v_cvt_f32_f16_e32 v10, v10
	v_mul_f32_e32 v17, v7, v7
	v_lshrrev_b32_e32 v6, 16, v11
	v_cvt_f32_f16_e32 v11, v15
	v_cvt_f32_f16_e32 v14, v14
	v_add_f32_e32 v10, v5, v10
	v_cvt_f32_f16_e32 v15, v16
	v_cvt_f32_f16_e32 v6, v6
	v_fmac_f32_e32 v17, v8, v8
	v_add_f32_e32 v11, v13, v11
	v_lshrrev_b32_e32 v13, 16, v12
	v_lshrrev_b32_e32 v16, 16, v16
	v_cvt_f32_f16_e32 v5, v12
	v_add_f32_e32 v12, v6, v14
	s_mul_i32 s2, s0, s34
	v_cvt_f32_f16_e32 v6, v13
	v_cvt_f32_f16_e32 v14, v16
	v_fmac_f32_e32 v17, v9, v9
	v_add_f32_e32 v13, v5, v15
	v_cvt_f16_f32_e32 v15, v9
	v_cvt_f16_f32_e32 v16, v11
	v_add_f32_e32 v14, v6, v14
	v_fmac_f32_e32 v17, v10, v10
	v_cvt_f16_f32_e32 v22, v12
	v_cvt_f16_f32_e32 v23, v10
	;; [unrolled: 1-line block ×4, first 2 shown]
	v_fmac_f32_e32 v17, v11, v11
	s_mul_i32 s0, s8, s34
	s_add_i32 s1, s1, s2
	s_delay_alu instid0(SALU_CYCLE_1) | instskip(NEXT) | instid1(VALU_DEP_1)
	s_lshl_b64 s[0:1], s[0:1], 1
	v_fmac_f32_e32 v17, v12, v12
	s_add_u32 s28, s14, s0
	v_cmp_eq_u32_e64 s0, 31, v20
	s_addc_u32 s1, s15, s1
	s_delay_alu instid0(VALU_DEP_2) | instskip(SKIP_1) | instid1(VALU_DEP_1)
	v_fmac_f32_e32 v17, v13, v13
	s_and_b32 s29, s1, 0xffff
	v_fmac_f32_e32 v17, v14, v14
	s_delay_alu instid0(VALU_DEP_1) | instskip(NEXT) | instid1(VALU_DEP_1)
	v_mov_b32_dpp v5, v17 quad_perm:[1,0,3,2] row_mask:0xf bank_mask:0xf
	v_add_f32_e32 v5, v17, v5
	v_cvt_f16_f32_e32 v17, v13
	s_delay_alu instid0(VALU_DEP_2) | instskip(NEXT) | instid1(VALU_DEP_1)
	v_mov_b32_dpp v6, v5 quad_perm:[2,3,0,1] row_mask:0xf bank_mask:0xf
	v_add_f32_e32 v5, v5, v6
	v_cvt_f16_f32_e32 v6, v8
	s_delay_alu instid0(VALU_DEP_2) | instskip(NEXT) | instid1(VALU_DEP_1)
	v_mov_b32_dpp v18, v5 row_xmask:7 row_mask:0xf bank_mask:0xf
	v_add_f32_e32 v5, v5, v18
	v_pack_b32_f16 v18, v17, v21
	v_pack_b32_f16 v17, v16, v22
	;; [unrolled: 1-line block ×4, first 2 shown]
	v_mov_b32_dpp v6, v5 row_xmask:15 row_mask:0xf bank_mask:0xf
	buffer_store_b128 v[15:18], v19, s[28:31], 0 offen glc slc
	;;#ASMSTART
	s_nop 0
	;;#ASMEND
	s_and_saveexec_b32 s1, s0
	s_cbranch_execz .LBB43_3
; %bb.2:
	v_add_f32_e32 v5, v5, v6
	s_mov_b32 s2, 0x76543210
	v_lshrrev_b32_e32 v6, 3, v0
	s_delay_alu instid0(VALU_DEP_2) | instskip(NEXT) | instid1(VALU_DEP_1)
	v_permlanex16_b32 v15, v5, s2, 0xfedcba98 op_sel:[1,1]
	v_dual_add_f32 v5, v5, v15 :: v_dual_and_b32 v6, 0x7c, v6
	ds_store_b32 v6, v5 offset:32
.LBB43_3:
	s_or_b32 exec_lo, exec_lo, s1
	v_and_b32_e32 v5, 7, v0
	s_waitcnt vmcnt(0) lgkmcnt(0)
	s_waitcnt_vscnt null, 0x0
	s_barrier
	buffer_gl0_inv
	v_cvt_f32_i32_e32 v16, s5
	v_lshlrev_b32_e32 v6, 2, v5
	s_cmp_lg_u32 s10, 0
	ds_load_b32 v5, v6 offset:32
	s_waitcnt lgkmcnt(0)
	v_mov_b32_dpp v15, v5 quad_perm:[1,0,3,2] row_mask:0xf bank_mask:0xf
	s_delay_alu instid0(VALU_DEP_1) | instskip(NEXT) | instid1(VALU_DEP_1)
	v_add_f32_e32 v5, v5, v15
	v_mov_b32_dpp v15, v5 quad_perm:[2,3,0,1] row_mask:0xf bank_mask:0xf
	s_delay_alu instid0(VALU_DEP_1) | instskip(NEXT) | instid1(VALU_DEP_1)
	v_add_f32_e32 v5, v5, v15
	v_mov_b32_dpp v15, v5 row_xmask:7 row_mask:0xf bank_mask:0xf
	s_delay_alu instid0(VALU_DEP_1) | instskip(NEXT) | instid1(VALU_DEP_1)
	v_add_f32_e32 v5, v5, v15
	v_div_scale_f32 v15, null, v16, v16, v5
	v_div_scale_f32 v19, vcc_lo, v5, v16, v5
	s_delay_alu instid0(VALU_DEP_2) | instskip(SKIP_2) | instid1(VALU_DEP_1)
	v_rcp_f32_e32 v17, v15
	s_waitcnt_depctr 0xfff
	v_fma_f32 v18, -v15, v17, 1.0
	v_fmac_f32_e32 v17, v18, v17
	s_delay_alu instid0(VALU_DEP_1) | instskip(NEXT) | instid1(VALU_DEP_1)
	v_mul_f32_e32 v18, v19, v17
	v_fma_f32 v20, -v15, v18, v19
	s_delay_alu instid0(VALU_DEP_1) | instskip(SKIP_2) | instid1(VALU_DEP_3)
	v_fmac_f32_e32 v18, v20, v17
	v_cvt_f32_f16_e32 v20, v4
	v_lshrrev_b32_e32 v4, 16, v4
	v_fma_f32 v15, -v15, v18, v19
	s_delay_alu instid0(VALU_DEP_2) | instskip(NEXT) | instid1(VALU_DEP_2)
	v_cvt_f32_f16_e32 v4, v4
	v_div_fmas_f32 v15, v15, v17, v18
	v_cvt_f32_f16_e32 v17, v2
	v_lshrrev_b32_e32 v2, 16, v2
	v_cvt_f32_f16_e32 v18, v3
	v_lshrrev_b32_e32 v3, 16, v3
	v_div_fixup_f32 v5, v15, v16, v5
	s_delay_alu instid0(VALU_DEP_4) | instskip(NEXT) | instid1(VALU_DEP_3)
	v_cvt_f32_f16_e32 v2, v2
	v_cvt_f32_f16_e32 v3, v3
	s_delay_alu instid0(VALU_DEP_3) | instskip(NEXT) | instid1(VALU_DEP_1)
	v_cvt_f64_f32_e32 v[15:16], v5
	v_add_f64 v[15:16], v[15:16], s[24:25]
	s_delay_alu instid0(VALU_DEP_1) | instskip(SKIP_2) | instid1(VALU_DEP_1)
	v_cvt_f32_f64_e32 v5, v[15:16]
	v_cvt_f32_f16_e32 v16, v1
	v_lshrrev_b32_e32 v1, 16, v1
	v_cvt_f32_f16_e32 v1, v1
	s_delay_alu instid0(VALU_DEP_4) | instskip(SKIP_1) | instid1(VALU_DEP_2)
	v_mul_f32_e32 v15, 0x4b800000, v5
	v_cmp_gt_f32_e32 vcc_lo, 0x800000, v5
	v_cndmask_b32_e32 v5, v5, v15, vcc_lo
	s_delay_alu instid0(VALU_DEP_1) | instskip(SKIP_2) | instid1(VALU_DEP_1)
	v_rsq_f32_e32 v15, v5
	s_waitcnt_depctr 0xfff
	v_mul_f32_e32 v19, 0x45800000, v15
	v_cndmask_b32_e32 v15, v15, v19, vcc_lo
	s_delay_alu instid0(VALU_DEP_1) | instskip(SKIP_1) | instid1(VALU_DEP_2)
	v_dual_mul_f32 v10, v10, v15 :: v_dual_lshlrev_b32 v5, 3, v0
	v_mul_f32_e32 v14, v14, v15
	v_mul_f32_e32 v10, v10, v2
	s_delay_alu instid0(VALU_DEP_2) | instskip(NEXT) | instid1(VALU_DEP_2)
	v_mul_f32_e32 v4, v14, v4
	v_and_b32_e32 v14, 0x7fffffff, v10
	v_dual_mov_b32 v21, 0x2edbe6ff :: v_dual_mul_f32 v22, v12, v15
	v_mul_f32_e32 v8, v8, v15
	v_mul_f32_e32 v13, v13, v15
	;; [unrolled: 1-line block ×3, first 2 shown]
	s_delay_alu instid0(VALU_DEP_3) | instskip(NEXT) | instid1(VALU_DEP_3)
	v_dual_mul_f32 v19, v11, v15 :: v_dual_mul_f32 v12, v8, v16
	v_dual_mul_f32 v8, v22, v3 :: v_dual_mul_f32 v3, v13, v20
	s_delay_alu instid0(VALU_DEP_1) | instskip(NEXT) | instid1(VALU_DEP_1)
	v_dual_mul_f32 v7, v7, v15 :: v_dual_and_b32 v16, 0x7fffffff, v8
	v_mul_f32_e32 v11, v7, v1
	s_delay_alu instid0(VALU_DEP_4) | instskip(SKIP_2) | instid1(VALU_DEP_4)
	v_dual_mul_f32 v7, v19, v18 :: v_dual_and_b32 v18, 0x7fffffff, v4
	v_mul_f32_e32 v9, v9, v17
	v_and_b32_e32 v1, 0x7fffffff, v12
	v_and_b32_e32 v2, 0x7fffffff, v11
	;;#ASMSTART
	v_max3_f32 v1, v21, v1, v2

	;;#ASMEND
	v_and_b32_e32 v15, 0x7fffffff, v7
	v_and_b32_e32 v13, 0x7fffffff, v9
	;;#ASMSTART
	v_max3_f32 v1, v1, v13, v14

	;;#ASMEND
	v_and_b32_e32 v17, 0x7fffffff, v3
	;;#ASMSTART
	v_max3_f32 v1, v1, v15, v16

	;;#ASMEND
	;;#ASMSTART
	v_max3_f32 v13, v1, v17, v18

	;;#ASMEND
	s_cbranch_scc0 .LBB43_10
; %bb.4:
	s_ashr_i32 s7, s10, 31
	s_delay_alu instid0(SALU_CYCLE_1) | instskip(NEXT) | instid1(SALU_CYCLE_1)
	s_lshr_b32 s1, s7, 29
	s_add_i32 s1, s10, s1
	s_delay_alu instid0(SALU_CYCLE_1) | instskip(NEXT) | instid1(SALU_CYCLE_1)
	s_ashr_i32 s1, s1, 3
	s_cmp_lt_i32 s1, 8
	s_cbranch_scc1 .LBB43_11
; %bb.5:
	s_cmp_lt_i32 s1, 16
	s_cbranch_scc1 .LBB43_12
; %bb.6:
	;; [unrolled: 3-line block ×3, first 2 shown]
	v_mov_b32_e32 v1, v13
	s_cmp_eq_u32 s1, 32
	s_cbranch_scc0 .LBB43_9
; %bb.8:
	s_delay_alu instid0(VALU_DEP_1) | instskip(SKIP_1) | instid1(VALU_DEP_1)
	v_mov_b32_dpp v1, v13 quad_perm:[1,0,3,2] row_mask:0xf bank_mask:0xf
	s_mov_b32 s2, 0x76543210
	v_cmp_gt_f32_e32 vcc_lo, v13, v1
	v_cndmask_b32_e32 v1, v1, v13, vcc_lo
	s_delay_alu instid0(VALU_DEP_1) | instskip(NEXT) | instid1(VALU_DEP_1)
	v_mov_b32_dpp v2, v1 quad_perm:[2,3,0,1] row_mask:0xf bank_mask:0xf
	v_cmp_gt_f32_e32 vcc_lo, v1, v2
	v_cndmask_b32_e32 v1, v2, v1, vcc_lo
	s_delay_alu instid0(VALU_DEP_1) | instskip(NEXT) | instid1(VALU_DEP_1)
	v_mov_b32_dpp v2, v1 row_xmask:7 row_mask:0xf bank_mask:0xf
	v_cmp_gt_f32_e32 vcc_lo, v1, v2
	v_cndmask_b32_e32 v1, v2, v1, vcc_lo
	s_delay_alu instid0(VALU_DEP_1) | instskip(NEXT) | instid1(VALU_DEP_1)
	v_mov_b32_dpp v2, v1 row_xmask:15 row_mask:0xf bank_mask:0xf
	v_cmp_gt_f32_e32 vcc_lo, v1, v2
	v_cndmask_b32_e32 v1, v2, v1, vcc_lo
	s_delay_alu instid0(VALU_DEP_1) | instskip(NEXT) | instid1(VALU_DEP_1)
	v_permlanex16_b32 v2, v1, s2, 0xfedcba98 op_sel:[1,1]
	v_cmp_gt_f32_e32 vcc_lo, v1, v2
	v_cndmask_b32_e32 v1, v2, v1, vcc_lo
.LBB43_9:
	s_mov_b32 s2, 0
	s_branch .LBB43_14
.LBB43_10:
	s_mov_b32 s1, 0
                                        ; implicit-def: $vgpr14
                                        ; implicit-def: $vgpr1_vgpr2
	s_and_b32 vcc_lo, exec_lo, s31
	s_cbranch_vccnz .LBB43_38
	s_branch .LBB43_41
.LBB43_11:
                                        ; implicit-def: $vgpr1
	s_branch .LBB43_21
.LBB43_12:
                                        ; implicit-def: $vgpr1
	s_branch .LBB43_18
.LBB43_13:
	s_mov_b32 s2, -1
                                        ; implicit-def: $vgpr1
.LBB43_14:
	s_delay_alu instid0(SALU_CYCLE_1)
	s_and_not1_b32 vcc_lo, exec_lo, s2
	s_cbranch_vccnz .LBB43_17
; %bb.15:
	v_mov_b32_e32 v1, v13
	s_cmp_eq_u32 s1, 16
	s_cbranch_scc0 .LBB43_17
; %bb.16:
	s_delay_alu instid0(VALU_DEP_1) | instskip(NEXT) | instid1(VALU_DEP_1)
	v_mov_b32_dpp v1, v13 quad_perm:[1,0,3,2] row_mask:0xf bank_mask:0xf
	v_cmp_gt_f32_e32 vcc_lo, v13, v1
	v_cndmask_b32_e32 v1, v1, v13, vcc_lo
	s_delay_alu instid0(VALU_DEP_1) | instskip(NEXT) | instid1(VALU_DEP_1)
	v_mov_b32_dpp v2, v1 quad_perm:[2,3,0,1] row_mask:0xf bank_mask:0xf
	v_cmp_gt_f32_e32 vcc_lo, v1, v2
	v_cndmask_b32_e32 v1, v2, v1, vcc_lo
	s_delay_alu instid0(VALU_DEP_1) | instskip(NEXT) | instid1(VALU_DEP_1)
	v_mov_b32_dpp v2, v1 row_half_mirror row_mask:0xf bank_mask:0xf
	v_cmp_gt_f32_e32 vcc_lo, v1, v2
	v_cndmask_b32_e32 v1, v2, v1, vcc_lo
	s_delay_alu instid0(VALU_DEP_1) | instskip(NEXT) | instid1(VALU_DEP_1)
	v_mov_b32_dpp v2, v1 row_mirror row_mask:0xf bank_mask:0xf
	v_cmp_gt_f32_e32 vcc_lo, v1, v2
	v_cndmask_b32_e32 v1, v2, v1, vcc_lo
.LBB43_17:
	s_cbranch_execnz .LBB43_20
.LBB43_18:
	v_mov_b32_e32 v1, v13
	s_cmp_eq_u32 s1, 8
	s_cbranch_scc0 .LBB43_20
; %bb.19:
	s_delay_alu instid0(VALU_DEP_1) | instskip(NEXT) | instid1(VALU_DEP_1)
	v_mov_b32_dpp v1, v13 quad_perm:[1,0,3,2] row_mask:0xf bank_mask:0xf
	v_cmp_gt_f32_e32 vcc_lo, v13, v1
	v_cndmask_b32_e32 v1, v1, v13, vcc_lo
	s_delay_alu instid0(VALU_DEP_1) | instskip(NEXT) | instid1(VALU_DEP_1)
	v_mov_b32_dpp v2, v1 quad_perm:[2,3,0,1] row_mask:0xf bank_mask:0xf
	v_cmp_gt_f32_e32 vcc_lo, v1, v2
	v_cndmask_b32_e32 v1, v2, v1, vcc_lo
	s_delay_alu instid0(VALU_DEP_1) | instskip(NEXT) | instid1(VALU_DEP_1)
	v_mov_b32_dpp v2, v1 row_half_mirror row_mask:0xf bank_mask:0xf
	v_cmp_gt_f32_e32 vcc_lo, v1, v2
	v_cndmask_b32_e32 v1, v2, v1, vcc_lo
.LBB43_20:
	s_cbranch_execnz .LBB43_28
.LBB43_21:
	s_cmp_lt_i32 s1, 4
	s_cbranch_scc1 .LBB43_24
; %bb.22:
	v_mov_b32_e32 v1, v13
	s_cmp_eq_u32 s1, 4
	s_cbranch_scc0 .LBB43_25
; %bb.23:
	s_delay_alu instid0(VALU_DEP_1) | instskip(NEXT) | instid1(VALU_DEP_1)
	v_mov_b32_dpp v1, v13 quad_perm:[1,0,3,2] row_mask:0xf bank_mask:0xf
	v_cmp_gt_f32_e32 vcc_lo, v13, v1
	v_cndmask_b32_e32 v1, v1, v13, vcc_lo
	s_delay_alu instid0(VALU_DEP_1) | instskip(NEXT) | instid1(VALU_DEP_1)
	v_mov_b32_dpp v2, v1 quad_perm:[2,3,0,1] row_mask:0xf bank_mask:0xf
	v_cmp_gt_f32_e32 vcc_lo, v1, v2
	v_cndmask_b32_e32 v1, v2, v1, vcc_lo
	s_cbranch_execz .LBB43_26
	s_branch .LBB43_28
.LBB43_24:
                                        ; implicit-def: $vgpr1
	s_branch .LBB43_26
.LBB43_25:
	s_cbranch_execnz .LBB43_28
.LBB43_26:
	v_mov_b32_e32 v1, v13
	s_cmp_lg_u32 s1, 2
	s_cbranch_scc1 .LBB43_28
; %bb.27:
	s_delay_alu instid0(VALU_DEP_1) | instskip(NEXT) | instid1(VALU_DEP_1)
	v_mov_b32_dpp v1, v13 quad_perm:[1,0,3,2] row_mask:0xf bank_mask:0xf
	v_cmp_gt_f32_e32 vcc_lo, v13, v1
	v_cndmask_b32_e32 v1, v1, v13, vcc_lo
.LBB43_28:
	v_cvt_f32_u32_e32 v2, s1
	s_sub_i32 s2, 0, s1
	s_mov_b32 s31, 0
	s_delay_alu instid0(VALU_DEP_1) | instskip(SKIP_2) | instid1(VALU_DEP_1)
	v_rcp_iflag_f32_e32 v2, v2
	s_waitcnt_depctr 0xfff
	v_mul_f32_e32 v2, 0x4f7ffffe, v2
	v_cvt_u32_f32_e32 v2, v2
	s_delay_alu instid0(VALU_DEP_1) | instskip(NEXT) | instid1(VALU_DEP_1)
	v_mul_lo_u32 v14, s2, v2
	v_mul_hi_u32 v14, v2, v14
	s_delay_alu instid0(VALU_DEP_1) | instskip(NEXT) | instid1(VALU_DEP_1)
	v_add_nc_u32_e32 v2, v2, v14
	v_mul_hi_u32 v2, v0, v2
	s_delay_alu instid0(VALU_DEP_1) | instskip(NEXT) | instid1(VALU_DEP_1)
	v_mul_lo_u32 v14, v2, s1
	v_sub_nc_u32_e32 v14, v0, v14
	s_delay_alu instid0(VALU_DEP_1) | instskip(SKIP_1) | instid1(VALU_DEP_2)
	v_subrev_nc_u32_e32 v16, s1, v14
	v_cmp_le_u32_e32 vcc_lo, s1, v14
	v_dual_cndmask_b32 v14, v14, v16 :: v_dual_add_nc_u32 v15, 1, v2
	s_delay_alu instid0(VALU_DEP_1) | instskip(NEXT) | instid1(VALU_DEP_2)
	v_cndmask_b32_e32 v2, v2, v15, vcc_lo
	v_cmp_le_u32_e32 vcc_lo, s1, v14
	s_delay_alu instid0(VALU_DEP_2) | instskip(NEXT) | instid1(VALU_DEP_1)
	v_dual_mul_f32 v14, 0x3c010204, v1 :: v_dual_add_nc_u32 v15, 1, v2
	v_cndmask_b32_e32 v15, v2, v15, vcc_lo
	v_cmp_gt_u32_e32 vcc_lo, s5, v5
	s_delay_alu instid0(VALU_DEP_2) | instskip(NEXT) | instid1(VALU_DEP_1)
	v_mul_lo_u32 v2, v15, s1
	v_sub_nc_u32_e32 v2, v0, v2
	s_delay_alu instid0(VALU_DEP_1) | instskip(NEXT) | instid1(VALU_DEP_1)
	v_cmp_eq_u32_e64 s1, 0, v2
                                        ; implicit-def: $vgpr1_vgpr2
	s_and_b32 s2, s1, vcc_lo
	s_mov_b32 s1, 0
	s_and_saveexec_b32 s3, s2
	s_delay_alu instid0(SALU_CYCLE_1)
	s_xor_b32 s8, exec_lo, s3
	s_cbranch_execz .LBB43_37
; %bb.29:
	s_bitcmp0_b32 s11, 0
	s_mov_b32 s6, 0
	s_cbranch_scc0 .LBB43_34
; %bb.30:
	s_ashr_i32 s1, s5, 31
	s_mul_hi_u32 s3, s5, s34
	s_mul_i32 s1, s1, s34
	s_mul_i32 s2, s5, s34
	s_add_i32 s3, s3, s1
	s_mov_b32 s11, s7
	s_delay_alu instid0(SALU_CYCLE_1) | instskip(NEXT) | instid1(SALU_CYCLE_1)
	s_or_b64 s[14:15], s[2:3], s[10:11]
	s_mov_b32 s7, s15
	s_delay_alu instid0(SALU_CYCLE_1)
	s_cmp_lg_u64 s[6:7], 0
	s_cbranch_scc0 .LBB43_45
; %bb.31:
	s_add_u32 s14, s10, s11
	s_mov_b32 s6, s11
	s_mov_b32 s7, s11
	s_addc_u32 s15, s11, s11
	s_delay_alu instid0(SALU_CYCLE_1) | instskip(NEXT) | instid1(SALU_CYCLE_1)
	s_xor_b64 s[14:15], s[14:15], s[6:7]
	v_cvt_f32_u32_e32 v1, s14
	v_cvt_f32_u32_e32 v2, s15
	s_sub_u32 s18, 0, s14
	s_subb_u32 s19, 0, s15
	s_delay_alu instid0(VALU_DEP_1) | instskip(NEXT) | instid1(VALU_DEP_1)
	v_fmamk_f32 v1, v2, 0x4f800000, v1
	v_rcp_f32_e32 v1, v1
	s_waitcnt_depctr 0xfff
	v_mul_f32_e32 v1, 0x5f7ffffc, v1
	s_delay_alu instid0(VALU_DEP_1) | instskip(NEXT) | instid1(VALU_DEP_1)
	v_mul_f32_e32 v2, 0x2f800000, v1
	v_trunc_f32_e32 v2, v2
	s_delay_alu instid0(VALU_DEP_1) | instskip(SKIP_1) | instid1(VALU_DEP_2)
	v_fmamk_f32 v1, v2, 0xcf800000, v1
	v_cvt_u32_f32_e32 v2, v2
	v_cvt_u32_f32_e32 v1, v1
	s_delay_alu instid0(VALU_DEP_2) | instskip(NEXT) | instid1(VALU_DEP_2)
	v_readfirstlane_b32 s1, v2
	v_readfirstlane_b32 s11, v1
	s_delay_alu instid0(VALU_DEP_2) | instskip(NEXT) | instid1(VALU_DEP_1)
	s_mul_i32 s20, s18, s1
	s_mul_hi_u32 s22, s18, s11
	s_mul_i32 s21, s19, s11
	s_add_i32 s20, s22, s20
	s_mul_i32 s23, s18, s11
	s_add_i32 s20, s20, s21
	s_mul_hi_u32 s22, s11, s23
	s_mul_hi_u32 s24, s1, s23
	s_mul_i32 s21, s1, s23
	s_mul_hi_u32 s23, s11, s20
	s_mul_i32 s11, s11, s20
	s_mul_hi_u32 s25, s1, s20
	s_add_u32 s11, s22, s11
	s_addc_u32 s22, 0, s23
	s_add_u32 s11, s11, s21
	s_mul_i32 s20, s1, s20
	s_addc_u32 s11, s22, s24
	s_addc_u32 s21, s25, 0
	s_add_u32 s11, s11, s20
	s_addc_u32 s20, 0, s21
	v_add_co_u32 v1, s11, v1, s11
	s_delay_alu instid0(VALU_DEP_1) | instskip(SKIP_1) | instid1(VALU_DEP_1)
	s_cmp_lg_u32 s11, 0
	s_addc_u32 s1, s1, s20
	v_readfirstlane_b32 s11, v1
	s_mul_i32 s20, s18, s1
	s_delay_alu instid0(VALU_DEP_1)
	s_mul_hi_u32 s21, s18, s11
	s_mul_i32 s19, s19, s11
	s_add_i32 s20, s21, s20
	s_mul_i32 s18, s18, s11
	s_add_i32 s20, s20, s19
	s_mul_hi_u32 s21, s1, s18
	s_mul_i32 s22, s1, s18
	s_mul_hi_u32 s18, s11, s18
	s_mul_hi_u32 s23, s11, s20
	s_mul_i32 s11, s11, s20
	s_mul_hi_u32 s19, s1, s20
	s_add_u32 s11, s18, s11
	s_addc_u32 s18, 0, s23
	s_add_u32 s11, s11, s22
	s_mul_i32 s20, s1, s20
	s_addc_u32 s11, s18, s21
	s_addc_u32 s18, s19, 0
	s_add_u32 s11, s11, s20
	s_addc_u32 s18, 0, s18
	v_add_co_u32 v1, s11, v1, s11
	s_delay_alu instid0(VALU_DEP_1) | instskip(SKIP_2) | instid1(SALU_CYCLE_1)
	s_cmp_lg_u32 s11, 0
	s_addc_u32 s1, s1, s18
	s_ashr_i32 s18, s3, 31
	s_add_u32 s20, s2, s18
	s_addc_u32 s21, s3, s18
	v_readfirstlane_b32 s3, v1
	s_mov_b32 s19, s18
	s_delay_alu instid0(SALU_CYCLE_1) | instskip(NEXT) | instid1(SALU_CYCLE_1)
	s_xor_b64 s[20:21], s[20:21], s[18:19]
	s_mul_i32 s22, s20, s1
	s_delay_alu instid0(VALU_DEP_1)
	s_mul_hi_u32 s23, s20, s3
	s_mul_hi_u32 s11, s20, s1
	;; [unrolled: 1-line block ×3, first 2 shown]
	s_mul_i32 s3, s21, s3
	s_add_u32 s22, s23, s22
	s_addc_u32 s11, 0, s11
	s_mul_hi_u32 s24, s21, s1
	s_add_u32 s3, s22, s3
	s_mul_i32 s1, s21, s1
	s_addc_u32 s3, s11, s25
	s_addc_u32 s11, s24, 0
	s_add_u32 s3, s3, s1
	s_addc_u32 s11, 0, s11
	s_mul_i32 s24, s14, s3
	s_mul_hi_u32 s1, s14, s3
	s_mul_i32 s23, s14, s11
	v_sub_co_u32 v1, s20, s20, s24
	s_mul_i32 s22, s15, s3
	s_add_i32 s1, s1, s23
	s_delay_alu instid0(SALU_CYCLE_1) | instskip(NEXT) | instid1(VALU_DEP_1)
	s_add_i32 s1, s1, s22
	v_sub_co_u32 v2, s23, v1, s14
	s_sub_i32 s22, s21, s1
	s_cmp_lg_u32 s20, 0
	s_subb_u32 s22, s22, s15
	s_cmp_lg_u32 s23, 0
	v_cmp_le_u32_e32 vcc_lo, s14, v2
	s_subb_u32 s22, s22, 0
	s_delay_alu instid0(SALU_CYCLE_1)
	s_cmp_ge_u32 s22, s15
	v_cndmask_b32_e64 v2, 0, -1, vcc_lo
	s_cselect_b32 s23, -1, 0
	s_cmp_eq_u32 s22, s15
	s_cselect_b32 vcc_lo, -1, 0
	s_add_u32 s22, s3, 1
	v_cndmask_b32_e32 v2, s23, v2, vcc_lo
	s_addc_u32 s23, s11, 0
	s_add_u32 s24, s3, 2
	s_addc_u32 s25, s11, 0
	s_cmp_lg_u32 s20, 0
	v_cmp_le_u32_e32 vcc_lo, s14, v1
	s_subb_u32 s1, s21, s1
	v_mov_b32_e32 v16, s24
	s_cmp_ge_u32 s1, s15
	v_cndmask_b32_e64 v1, 0, -1, vcc_lo
	s_cselect_b32 s14, -1, 0
	s_cmp_eq_u32 s1, s15
	v_cmp_ne_u32_e32 vcc_lo, 0, v2
	v_mov_b32_e32 v2, s25
	s_cselect_b32 s1, -1, 0
	s_xor_b64 s[6:7], s[18:19], s[6:7]
	v_cndmask_b32_e64 v1, s14, v1, s1
	v_cndmask_b32_e32 v16, s22, v16, vcc_lo
	v_cndmask_b32_e32 v2, s23, v2, vcc_lo
	s_delay_alu instid0(VALU_DEP_3) | instskip(NEXT) | instid1(VALU_DEP_2)
	v_cmp_ne_u32_e32 vcc_lo, 0, v1
	v_cndmask_b32_e32 v1, s11, v2, vcc_lo
	s_delay_alu instid0(VALU_DEP_4) | instskip(NEXT) | instid1(VALU_DEP_2)
	v_cndmask_b32_e32 v2, s3, v16, vcc_lo
	v_xor_b32_e32 v16, s7, v1
	s_delay_alu instid0(VALU_DEP_2) | instskip(NEXT) | instid1(VALU_DEP_1)
	v_xor_b32_e32 v2, s6, v2
	v_sub_co_u32 v1, vcc_lo, v2, s6
	s_delay_alu instid0(VALU_DEP_3)
	v_subrev_co_ci_u32_e32 v2, vcc_lo, s7, v16, vcc_lo
	s_cbranch_execnz .LBB43_33
.LBB43_32:
	v_cvt_f32_u32_e32 v1, s10
	s_sub_i32 s3, 0, s10
	s_delay_alu instid0(VALU_DEP_1) | instskip(SKIP_2) | instid1(VALU_DEP_1)
	v_rcp_iflag_f32_e32 v1, v1
	s_waitcnt_depctr 0xfff
	v_mul_f32_e32 v1, 0x4f7ffffe, v1
	v_cvt_u32_f32_e32 v1, v1
	s_delay_alu instid0(VALU_DEP_1) | instskip(NEXT) | instid1(VALU_DEP_1)
	v_readfirstlane_b32 s1, v1
	s_mul_i32 s3, s3, s1
	s_delay_alu instid0(SALU_CYCLE_1) | instskip(NEXT) | instid1(SALU_CYCLE_1)
	s_mul_hi_u32 s3, s1, s3
	s_add_i32 s1, s1, s3
	s_delay_alu instid0(SALU_CYCLE_1) | instskip(NEXT) | instid1(SALU_CYCLE_1)
	s_mul_hi_u32 s1, s2, s1
	s_mul_i32 s3, s1, s10
	s_delay_alu instid0(SALU_CYCLE_1)
	s_sub_i32 s2, s2, s3
	s_add_i32 s3, s1, 1
	s_sub_i32 s6, s2, s10
	s_cmp_ge_u32 s2, s10
	s_cselect_b32 s1, s3, s1
	s_cselect_b32 s2, s6, s2
	s_add_i32 s6, s1, 1
	s_cmp_ge_u32 s2, s10
	s_mov_b32 s3, 0
	s_cselect_b32 s2, s6, s1
	s_delay_alu instid0(SALU_CYCLE_1)
	v_dual_mov_b32 v1, s2 :: v_dual_mov_b32 v2, s3
.LBB43_33:
	s_delay_alu instid0(VALU_DEP_1) | instskip(NEXT) | instid1(VALU_DEP_2)
	v_add_co_u32 v1, vcc_lo, v1, v15
	v_add_co_ci_u32_e32 v2, vcc_lo, 0, v2, vcc_lo
	s_branch .LBB43_36
.LBB43_34:
                                        ; implicit-def: $vgpr1_vgpr2
	s_cbranch_execz .LBB43_36
; %bb.35:
	v_mul_lo_u32 v1, v15, s4
	s_delay_alu instid0(VALU_DEP_1) | instskip(SKIP_1) | instid1(VALU_DEP_2)
	v_ashrrev_i32_e32 v2, 31, v1
	v_add_co_u32 v1, vcc_lo, v1, s34
	v_add_co_ci_u32_e32 v2, vcc_lo, 0, v2, vcc_lo
.LBB43_36:
	s_mov_b32 s1, exec_lo
.LBB43_37:
	s_or_b32 exec_lo, exec_lo, s8
	s_delay_alu instid0(SALU_CYCLE_1)
	s_and_b32 vcc_lo, exec_lo, s31
	s_cbranch_vccz .LBB43_41
.LBB43_38:
	v_mov_b32_dpp v1, v13 quad_perm:[1,0,3,2] row_mask:0xf bank_mask:0xf
	s_delay_alu instid0(VALU_DEP_1) | instskip(SKIP_1) | instid1(VALU_DEP_1)
	v_cmp_gt_f32_e32 vcc_lo, v13, v1
	v_cndmask_b32_e32 v1, v1, v13, vcc_lo
	v_mov_b32_dpp v2, v1 quad_perm:[2,3,0,1] row_mask:0xf bank_mask:0xf
	s_delay_alu instid0(VALU_DEP_1) | instskip(SKIP_1) | instid1(VALU_DEP_1)
	v_cmp_gt_f32_e32 vcc_lo, v1, v2
	v_cndmask_b32_e32 v1, v2, v1, vcc_lo
	v_mov_b32_dpp v2, v1 row_xmask:7 row_mask:0xf bank_mask:0xf
	s_delay_alu instid0(VALU_DEP_1) | instskip(SKIP_1) | instid1(VALU_DEP_1)
	v_cmp_gt_f32_e32 vcc_lo, v1, v2
	v_cndmask_b32_e32 v1, v2, v1, vcc_lo
	v_mov_b32_dpp v2, v1 row_xmask:15 row_mask:0xf bank_mask:0xf
	s_delay_alu instid0(VALU_DEP_1)
	v_cmp_gt_f32_e32 vcc_lo, v1, v2
	s_and_saveexec_b32 s1, s0
	s_cbranch_execz .LBB43_40
; %bb.39:
	v_cndmask_b32_e32 v1, v2, v1, vcc_lo
	v_lshrrev_b32_e32 v2, 3, v0
	s_mov_b32 s0, 0x76543210
	s_delay_alu instid0(VALU_DEP_1) | instskip(NEXT) | instid1(VALU_DEP_3)
	v_and_b32_e32 v2, 0x7c, v2
	v_permlanex16_b32 v13, v1, s0, 0xfedcba98 op_sel:[1,1]
	s_delay_alu instid0(VALU_DEP_1)
	v_cmp_gt_f32_e32 vcc_lo, v1, v13
	v_cndmask_b32_e32 v1, v13, v1, vcc_lo
	ds_store_b32 v2, v1
.LBB43_40:
	s_or_b32 exec_lo, exec_lo, s1
	s_waitcnt lgkmcnt(0)
	s_barrier
	buffer_gl0_inv
	ds_load_b32 v1, v6
	v_cmp_eq_u32_e64 s1, 0, v0
	s_waitcnt lgkmcnt(0)
	v_mov_b32_dpp v2, v1 quad_perm:[1,0,3,2] row_mask:0xf bank_mask:0xf
	s_delay_alu instid0(VALU_DEP_1) | instskip(SKIP_1) | instid1(VALU_DEP_1)
	v_cmp_gt_f32_e32 vcc_lo, v1, v2
	v_cndmask_b32_e32 v1, v2, v1, vcc_lo
	v_mov_b32_dpp v2, v1 quad_perm:[2,3,0,1] row_mask:0xf bank_mask:0xf
	s_delay_alu instid0(VALU_DEP_1) | instskip(SKIP_1) | instid1(VALU_DEP_1)
	v_cmp_gt_f32_e32 vcc_lo, v1, v2
	v_cndmask_b32_e32 v1, v2, v1, vcc_lo
	v_mov_b32_dpp v2, v1 row_xmask:7 row_mask:0xf bank_mask:0xf
	s_delay_alu instid0(VALU_DEP_1) | instskip(SKIP_1) | instid1(VALU_DEP_1)
	v_cmp_gt_f32_e32 vcc_lo, v1, v2
	v_cndmask_b32_e32 v1, v2, v1, vcc_lo
	v_dual_mul_f32 v14, 0x3c010204, v1 :: v_dual_mov_b32 v1, s34
	v_mov_b32_e32 v2, s35
.LBB43_41:
	s_and_saveexec_b32 s0, s1
	s_cbranch_execz .LBB43_43
; %bb.42:
	s_delay_alu instid0(VALU_DEP_1) | instskip(NEXT) | instid1(VALU_DEP_1)
	v_lshlrev_b64 v[0:1], 2, v[1:2]
	v_add_co_u32 v0, vcc_lo, s16, v0
	s_delay_alu instid0(VALU_DEP_2)
	v_add_co_ci_u32_e32 v1, vcc_lo, s17, v1, vcc_lo
	global_store_b32 v[0:1], v14, off
.LBB43_43:
	s_or_b32 exec_lo, exec_lo, s0
	;;#ASMSTART
	v_rcp_f32 v0, v14
	;;#ASMEND
	v_mul_f32_e32 v7, v7, v0
	v_mul_f32_e32 v1, v12, v0
	;; [unrolled: 1-line block ×4, first 2 shown]
	s_add_i32 s0, s5, 3
	v_cvt_i32_f32_e32 v7, v7
	v_mul_f32_e32 v2, v11, v0
	v_cvt_i32_f32_e32 v1, v1
	v_mul_f32_e32 v6, v9, v0
	v_cvt_i32_f32_e32 v4, v4
	v_and_b32_e32 v7, 0xff, v7
	v_cvt_i32_f32_e32 v2, v2
	v_and_b32_e32 v1, 0xff, v1
	s_ashr_i32 s1, s0, 31
	v_lshlrev_b16 v4, 8, v4
	s_lshr_b32 s1, s1, 30
	v_lshlrev_b16 v2, 8, v2
	s_add_i32 s0, s0, s1
	s_ashr_i32 s1, s9, 31
	s_and_b32 s2, s0, -4
	s_mul_hi_u32 s0, s9, s34
	v_or_b32_e32 v1, v1, v2
	v_mul_f32_e32 v9, v10, v0
	v_mul_f32_e32 v0, v3, v0
	v_cvt_i32_f32_e32 v3, v6
	s_mul_i32 s1, s1, s34
	s_mul_i32 s3, s9, s34
	s_add_i32 s1, s0, s1
	v_cvt_i32_f32_e32 v0, v0
	v_and_b32_e32 v3, 0xff, v3
	v_cvt_i32_f32_e32 v6, v8
	s_add_u32 s0, s12, s3
	s_addc_u32 s1, s13, s1
	v_and_b32_e32 v0, 0xff, v0
	s_and_b32 s1, s1, 0xffff
	v_lshlrev_b16 v6, 8, v6
	s_mov_b32 s3, -1
	s_delay_alu instid0(VALU_DEP_2) | instskip(SKIP_3) | instid1(VALU_DEP_4)
	v_or_b32_e32 v0, v0, v4
	v_and_b32_e32 v4, 0xffff, v1
	v_cvt_i32_f32_e32 v8, v9
	v_or_b32_e32 v6, v7, v6
	v_lshlrev_b32_e32 v0, 16, v0
	s_delay_alu instid0(VALU_DEP_3) | instskip(NEXT) | instid1(VALU_DEP_1)
	v_lshlrev_b16 v8, 8, v8
	v_or_b32_e32 v2, v3, v8
	s_delay_alu instid0(VALU_DEP_4) | instskip(NEXT) | instid1(VALU_DEP_2)
	v_and_b32_e32 v3, 0xffff, v6
	v_lshlrev_b32_e32 v2, 16, v2
	s_delay_alu instid0(VALU_DEP_2) | instskip(NEXT) | instid1(VALU_DEP_2)
	v_or_b32_e32 v1, v3, v0
	v_or_b32_e32 v0, v4, v2
	buffer_store_b64 v[0:1], v5, s[0:3], 0 offen
	;;#ASMSTART
	s_nop 0
	;;#ASMEND
.LBB43_44:
	s_nop 0
	s_sendmsg sendmsg(MSG_DEALLOC_VGPRS)
	s_endpgm
.LBB43_45:
                                        ; implicit-def: $vgpr1_vgpr2
	s_branch .LBB43_32
	.section	.rodata,"a",@progbits
	.p2align	6, 0x0
	.amdhsa_kernel _ZN5aiter24add_rmsnorm_quant_kernelIDF16_aLi256ELi8ELb1ELb1ELb0ELi1EEEvPT0_PT_PfS4_S4_S4_diiiiiiib
		.amdhsa_group_segment_fixed_size 64
		.amdhsa_private_segment_fixed_size 0
		.amdhsa_kernarg_size 88
		.amdhsa_user_sgpr_count 15
		.amdhsa_user_sgpr_dispatch_ptr 0
		.amdhsa_user_sgpr_queue_ptr 0
		.amdhsa_user_sgpr_kernarg_segment_ptr 1
		.amdhsa_user_sgpr_dispatch_id 0
		.amdhsa_user_sgpr_private_segment_size 0
		.amdhsa_wavefront_size32 1
		.amdhsa_uses_dynamic_stack 0
		.amdhsa_enable_private_segment 0
		.amdhsa_system_sgpr_workgroup_id_x 1
		.amdhsa_system_sgpr_workgroup_id_y 0
		.amdhsa_system_sgpr_workgroup_id_z 0
		.amdhsa_system_sgpr_workgroup_info 0
		.amdhsa_system_vgpr_workitem_id 0
		.amdhsa_next_free_vgpr 25
		.amdhsa_next_free_sgpr 36
		.amdhsa_reserve_vcc 1
		.amdhsa_float_round_mode_32 0
		.amdhsa_float_round_mode_16_64 0
		.amdhsa_float_denorm_mode_32 3
		.amdhsa_float_denorm_mode_16_64 3
		.amdhsa_dx10_clamp 1
		.amdhsa_ieee_mode 1
		.amdhsa_fp16_overflow 0
		.amdhsa_workgroup_processor_mode 1
		.amdhsa_memory_ordered 1
		.amdhsa_forward_progress 0
		.amdhsa_shared_vgpr_count 0
		.amdhsa_exception_fp_ieee_invalid_op 0
		.amdhsa_exception_fp_denorm_src 0
		.amdhsa_exception_fp_ieee_div_zero 0
		.amdhsa_exception_fp_ieee_overflow 0
		.amdhsa_exception_fp_ieee_underflow 0
		.amdhsa_exception_fp_ieee_inexact 0
		.amdhsa_exception_int_div_zero 0
	.end_amdhsa_kernel
	.section	.text._ZN5aiter24add_rmsnorm_quant_kernelIDF16_aLi256ELi8ELb1ELb1ELb0ELi1EEEvPT0_PT_PfS4_S4_S4_diiiiiiib,"axG",@progbits,_ZN5aiter24add_rmsnorm_quant_kernelIDF16_aLi256ELi8ELb1ELb1ELb0ELi1EEEvPT0_PT_PfS4_S4_S4_diiiiiiib,comdat
.Lfunc_end43:
	.size	_ZN5aiter24add_rmsnorm_quant_kernelIDF16_aLi256ELi8ELb1ELb1ELb0ELi1EEEvPT0_PT_PfS4_S4_S4_diiiiiiib, .Lfunc_end43-_ZN5aiter24add_rmsnorm_quant_kernelIDF16_aLi256ELi8ELb1ELb1ELb0ELi1EEEvPT0_PT_PfS4_S4_S4_diiiiiiib
                                        ; -- End function
	.section	.AMDGPU.csdata,"",@progbits
; Kernel info:
; codeLenInByte = 3452
; NumSgprs: 38
; NumVgprs: 25
; ScratchSize: 0
; MemoryBound: 0
; FloatMode: 240
; IeeeMode: 1
; LDSByteSize: 64 bytes/workgroup (compile time only)
; SGPRBlocks: 4
; VGPRBlocks: 3
; NumSGPRsForWavesPerEU: 38
; NumVGPRsForWavesPerEU: 25
; Occupancy: 16
; WaveLimiterHint : 0
; COMPUTE_PGM_RSRC2:SCRATCH_EN: 0
; COMPUTE_PGM_RSRC2:USER_SGPR: 15
; COMPUTE_PGM_RSRC2:TRAP_HANDLER: 0
; COMPUTE_PGM_RSRC2:TGID_X_EN: 1
; COMPUTE_PGM_RSRC2:TGID_Y_EN: 0
; COMPUTE_PGM_RSRC2:TGID_Z_EN: 0
; COMPUTE_PGM_RSRC2:TIDIG_COMP_CNT: 0
	.section	.text._ZN5aiter24add_rmsnorm_quant_kernelItaLi256ELi8ELb1ELb1ELb0ELi1EEEvPT0_PT_PfS4_S4_S4_diiiiiiib,"axG",@progbits,_ZN5aiter24add_rmsnorm_quant_kernelItaLi256ELi8ELb1ELb1ELb0ELi1EEEvPT0_PT_PfS4_S4_S4_diiiiiiib,comdat
	.protected	_ZN5aiter24add_rmsnorm_quant_kernelItaLi256ELi8ELb1ELb1ELb0ELi1EEEvPT0_PT_PfS4_S4_S4_diiiiiiib ; -- Begin function _ZN5aiter24add_rmsnorm_quant_kernelItaLi256ELi8ELb1ELb1ELb0ELi1EEEvPT0_PT_PfS4_S4_S4_diiiiiiib
	.globl	_ZN5aiter24add_rmsnorm_quant_kernelItaLi256ELi8ELb1ELb1ELb0ELi1EEEvPT0_PT_PfS4_S4_S4_diiiiiiib
	.p2align	8
	.type	_ZN5aiter24add_rmsnorm_quant_kernelItaLi256ELi8ELb1ELb1ELb0ELi1EEEvPT0_PT_PfS4_S4_S4_diiiiiiib,@function
_ZN5aiter24add_rmsnorm_quant_kernelItaLi256ELi8ELb1ELb1ELb0ELi1EEEvPT0_PT_PfS4_S4_S4_diiiiiiib: ; @_ZN5aiter24add_rmsnorm_quant_kernelItaLi256ELi8ELb1ELb1ELb0ELi1EEEvPT0_PT_PfS4_S4_S4_diiiiiiib
; %bb.0:
	s_load_b256 s[4:11], s[0:1], 0x38
	s_mov_b32 s34, s15
	s_mov_b32 s35, 0
	s_waitcnt lgkmcnt(0)
	s_ashr_i32 s3, s4, 31
	s_mov_b32 s2, s4
	s_delay_alu instid0(SALU_CYCLE_1) | instskip(NEXT) | instid1(VALU_DEP_1)
	v_cmp_ge_i64_e64 s2, s[34:35], s[2:3]
	s_and_b32 vcc_lo, exec_lo, s2
	s_cbranch_vccnz .LBB44_44
; %bb.1:
	s_clause 0x1
	s_load_b256 s[12:19], s[0:1], 0x0
	s_load_b256 s[20:27], s[0:1], 0x20
	s_ashr_i32 s1, s6, 31
	s_mul_hi_u32 s2, s6, s34
	s_mul_i32 s1, s1, s34
	s_mul_i32 s0, s6, s34
	s_add_i32 s1, s2, s1
	s_mul_hi_u32 s3, s7, s34
	s_lshl_b64 s[0:1], s[0:1], 1
	s_mul_i32 s2, s7, s34
	v_lshlrev_b32_e32 v19, 4, v0
	s_mov_b32 s31, -1
	s_waitcnt lgkmcnt(0)
	s_add_u32 s28, s18, s0
	s_addc_u32 s0, s19, s1
	s_add_i32 s6, s5, 1
	s_ashr_i32 s7, s7, 31
	s_lshr_b32 s18, s6, 31
	s_mul_i32 s7, s7, s34
	s_add_i32 s6, s6, s18
	s_and_b32 s29, s0, 0xffff
	s_lshl_b32 s0, s6, 1
	s_add_i32 s3, s3, s7
	s_and_b32 s30, s0, -4
	s_lshl_b64 s[2:3], s[2:3], 1
	s_and_b32 s1, s23, 0xffff
	buffer_load_b128 v[5:8], v19, s[28:31], 0 offen glc slc
	s_add_u32 s28, s20, s2
	s_addc_u32 s0, s21, s3
	s_mov_b32 s3, s31
	s_and_b32 s29, s0, 0xffff
	s_mov_b32 s0, s22
	buffer_load_b128 v[9:12], v19, s[28:31], 0 offen glc slc
	s_mov_b32 s2, s30
	s_waitcnt vmcnt(1)
	v_lshrrev_b32_e32 v15, 16, v7
	v_and_b32_e32 v17, 0xffff, v7
	v_lshrrev_b32_e32 v14, 16, v6
	v_lshrrev_b32_e32 v18, 16, v8
	s_waitcnt vmcnt(0)
	v_and_b32_e32 v7, 0xffff, v9
	v_lshrrev_b32_e32 v16, 16, v9
	s_delay_alu instid0(VALU_DEP_2) | instskip(SKIP_2) | instid1(VALU_DEP_4)
	v_cvt_f32_u32_e32 v20, v7
	v_and_b32_e32 v13, 0xffff, v5
	v_lshrrev_b32_e32 v5, 16, v5
	v_cvt_f32_u32_e32 v9, v16
	s_delay_alu instid0(VALU_DEP_2) | instskip(NEXT) | instid1(VALU_DEP_1)
	v_cvt_f32_u32_e32 v5, v5
	v_dual_add_f32 v7, v5, v9 :: v_dual_and_b32 v6, 0xffff, v6
	s_delay_alu instid0(VALU_DEP_1) | instskip(SKIP_3) | instid1(VALU_DEP_2)
	v_cvt_f32_u32_e32 v5, v6
	v_and_b32_e32 v16, 0xffff, v8
	v_cvt_f32_u32_e32 v8, v13
	v_lshrrev_b32_e32 v6, 16, v10
	v_add_f32_e32 v8, v8, v20
	v_mul_f32_e32 v20, v7, v7
	buffer_load_b128 v[1:4], v19, s[0:3], 0 offen
	v_cvt_f32_u32_e32 v6, v6
	s_ashr_i32 s0, s8, 31
	s_mul_hi_u32 s1, s8, s34
	v_dual_fmac_f32 v20, v8, v8 :: v_dual_and_b32 v13, 0xffff, v10
	v_cvt_f32_u32_e32 v10, v14
	s_mul_i32 s2, s0, s34
	s_mul_i32 s0, s8, s34
	s_add_i32 s1, s1, s2
	v_cvt_f32_u32_e32 v9, v13
	v_add_f32_e32 v10, v10, v6
	v_cvt_f32_u32_e32 v6, v15
	s_lshl_b64 s[0:1], s[0:1], 1
	s_delay_alu instid0(VALU_DEP_3) | instskip(SKIP_3) | instid1(VALU_DEP_2)
	v_add_f32_e32 v9, v5, v9
	v_cvt_f32_u32_e32 v5, v17
	s_add_u32 s28, s14, s0
	s_addc_u32 s1, s15, s1
	v_dual_fmac_f32 v20, v9, v9 :: v_dual_and_b32 v13, 0xffff, v11
	v_lshrrev_b32_e32 v11, 16, v11
	s_and_b32 s29, s1, 0xffff
	s_delay_alu instid0(VALU_DEP_2) | instskip(NEXT) | instid1(VALU_DEP_3)
	v_fmac_f32_e32 v20, v10, v10
	v_cvt_f32_u32_e32 v13, v13
	v_and_b32_e32 v14, 0xffff, v12
	v_cvt_f32_u32_e32 v15, v11
	s_delay_alu instid0(VALU_DEP_3)
	v_add_f32_e32 v11, v5, v13
	v_cvt_f32_u32_e32 v5, v16
	v_lshrrev_b32_e32 v13, 16, v12
	v_cvt_f32_u32_e32 v14, v14
	v_add_f32_e32 v12, v6, v15
	v_fmac_f32_e32 v20, v11, v11
	v_cvt_f32_u32_e32 v6, v18
	v_cvt_f32_u32_e32 v15, v13
	v_add_f32_e32 v13, v5, v14
	v_perm_b32 v17, v12, v11, 0x7060302
	v_fmac_f32_e32 v20, v12, v12
	v_perm_b32 v16, v10, v9, 0x7060302
	v_add_f32_e32 v14, v6, v15
	v_perm_b32 v15, v7, v8, 0x7060302
	s_delay_alu instid0(VALU_DEP_4) | instskip(NEXT) | instid1(VALU_DEP_1)
	v_fmac_f32_e32 v20, v13, v13
	v_fmac_f32_e32 v20, v14, v14
	s_delay_alu instid0(VALU_DEP_1) | instskip(NEXT) | instid1(VALU_DEP_1)
	v_mov_b32_dpp v5, v20 quad_perm:[1,0,3,2] row_mask:0xf bank_mask:0xf
	v_dual_add_f32 v5, v20, v5 :: v_dual_and_b32 v20, 31, v0
	v_perm_b32 v18, v14, v13, 0x7060302
	s_delay_alu instid0(VALU_DEP_2) | instskip(NEXT) | instid1(VALU_DEP_3)
	v_mov_b32_dpp v6, v5 quad_perm:[2,3,0,1] row_mask:0xf bank_mask:0xf
	v_cmp_eq_u32_e64 s0, 31, v20
	buffer_store_b128 v[15:18], v19, s[28:31], 0 offen glc slc
	;;#ASMSTART
	s_nop 0
	;;#ASMEND
	v_add_f32_e32 v5, v5, v6
	s_delay_alu instid0(VALU_DEP_1) | instskip(NEXT) | instid1(VALU_DEP_1)
	v_mov_b32_dpp v6, v5 row_xmask:7 row_mask:0xf bank_mask:0xf
	v_add_f32_e32 v5, v5, v6
	s_delay_alu instid0(VALU_DEP_1)
	v_mov_b32_dpp v6, v5 row_xmask:15 row_mask:0xf bank_mask:0xf
	s_and_saveexec_b32 s1, s0
	s_cbranch_execz .LBB44_3
; %bb.2:
	s_delay_alu instid0(VALU_DEP_1) | instskip(SKIP_2) | instid1(VALU_DEP_2)
	v_add_f32_e32 v5, v5, v6
	s_mov_b32 s2, 0x76543210
	v_lshrrev_b32_e32 v6, 3, v0
	v_permlanex16_b32 v15, v5, s2, 0xfedcba98 op_sel:[1,1]
	s_delay_alu instid0(VALU_DEP_1)
	v_dual_add_f32 v5, v5, v15 :: v_dual_and_b32 v6, 0x7c, v6
	ds_store_b32 v6, v5 offset:32
.LBB44_3:
	s_or_b32 exec_lo, exec_lo, s1
	v_and_b32_e32 v5, 7, v0
	s_waitcnt vmcnt(0) lgkmcnt(0)
	s_waitcnt_vscnt null, 0x0
	s_barrier
	buffer_gl0_inv
	v_cvt_f32_i32_e32 v16, s5
	v_lshlrev_b32_e32 v6, 2, v5
	s_cmp_lg_u32 s10, 0
	ds_load_b32 v5, v6 offset:32
	s_waitcnt lgkmcnt(0)
	v_mov_b32_dpp v15, v5 quad_perm:[1,0,3,2] row_mask:0xf bank_mask:0xf
	s_delay_alu instid0(VALU_DEP_1) | instskip(NEXT) | instid1(VALU_DEP_1)
	v_add_f32_e32 v5, v5, v15
	v_mov_b32_dpp v15, v5 quad_perm:[2,3,0,1] row_mask:0xf bank_mask:0xf
	s_delay_alu instid0(VALU_DEP_1) | instskip(NEXT) | instid1(VALU_DEP_1)
	v_add_f32_e32 v5, v5, v15
	v_mov_b32_dpp v15, v5 row_xmask:7 row_mask:0xf bank_mask:0xf
	s_delay_alu instid0(VALU_DEP_1) | instskip(NEXT) | instid1(VALU_DEP_1)
	v_add_f32_e32 v5, v5, v15
	v_div_scale_f32 v15, null, v16, v16, v5
	v_div_scale_f32 v19, vcc_lo, v5, v16, v5
	s_delay_alu instid0(VALU_DEP_2) | instskip(SKIP_2) | instid1(VALU_DEP_1)
	v_rcp_f32_e32 v17, v15
	s_waitcnt_depctr 0xfff
	v_fma_f32 v18, -v15, v17, 1.0
	v_fmac_f32_e32 v17, v18, v17
	s_delay_alu instid0(VALU_DEP_1) | instskip(NEXT) | instid1(VALU_DEP_1)
	v_mul_f32_e32 v18, v19, v17
	v_fma_f32 v20, -v15, v18, v19
	s_delay_alu instid0(VALU_DEP_1) | instskip(SKIP_1) | instid1(VALU_DEP_2)
	v_fmac_f32_e32 v18, v20, v17
	v_mov_b32_e32 v20, 0x2edbe6ff
	v_fma_f32 v15, -v15, v18, v19
	s_delay_alu instid0(VALU_DEP_1) | instskip(SKIP_2) | instid1(VALU_DEP_3)
	v_div_fmas_f32 v15, v15, v17, v18
	v_and_b32_e32 v18, 0xffff, v3
	v_lshrrev_b32_e32 v3, 16, v3
	v_div_fixup_f32 v5, v15, v16, v5
	s_delay_alu instid0(VALU_DEP_3) | instskip(NEXT) | instid1(VALU_DEP_3)
	v_cvt_f32_u32_e32 v18, v18
	v_cvt_f32_u32_e32 v3, v3
	s_delay_alu instid0(VALU_DEP_3) | instskip(NEXT) | instid1(VALU_DEP_1)
	v_cvt_f64_f32_e32 v[15:16], v5
	v_add_f64 v[15:16], v[15:16], s[24:25]
	s_delay_alu instid0(VALU_DEP_1) | instskip(SKIP_2) | instid1(VALU_DEP_2)
	v_cvt_f32_f64_e32 v5, v[15:16]
	v_and_b32_e32 v16, 0xffff, v1
	v_lshrrev_b32_e32 v1, 16, v1
	v_cvt_f32_u32_e32 v16, v16
	s_delay_alu instid0(VALU_DEP_2) | instskip(SKIP_2) | instid1(VALU_DEP_2)
	v_cvt_f32_u32_e32 v1, v1
	v_mul_f32_e32 v15, 0x4b800000, v5
	v_cmp_gt_f32_e32 vcc_lo, 0x800000, v5
	v_cndmask_b32_e32 v15, v5, v15, vcc_lo
	s_delay_alu instid0(VALU_DEP_1) | instskip(SKIP_2) | instid1(VALU_DEP_1)
	v_rsq_f32_e32 v15, v15
	s_waitcnt_depctr 0xfff
	v_mul_f32_e32 v21, 0x45800000, v15
	v_cndmask_b32_e32 v15, v15, v21, vcc_lo
	v_and_b32_e32 v17, 0xffff, v2
	v_lshrrev_b32_e32 v2, 16, v2
	v_and_b32_e32 v19, 0xffff, v4
	v_lshrrev_b32_e32 v4, 16, v4
	v_mul_f32_e32 v10, v15, v10
	s_delay_alu instid0(VALU_DEP_4) | instskip(NEXT) | instid1(VALU_DEP_4)
	v_cvt_f32_u32_e32 v2, v2
	v_cvt_f32_u32_e32 v19, v19
	s_delay_alu instid0(VALU_DEP_4) | instskip(NEXT) | instid1(VALU_DEP_3)
	v_cvt_f32_u32_e32 v4, v4
	v_dual_mul_f32 v10, v10, v2 :: v_dual_lshlrev_b32 v5, 3, v0
	v_mul_f32_e32 v8, v8, v15
	v_mul_f32_e32 v22, v15, v12
	v_mul_f32_e32 v9, v15, v9
	v_mul_f32_e32 v14, v15, v14
	s_delay_alu instid0(VALU_DEP_4) | instskip(NEXT) | instid1(VALU_DEP_4)
	v_dual_mul_f32 v7, v7, v15 :: v_dual_mul_f32 v12, v8, v16
	v_mul_f32_e32 v8, v22, v3
	v_cvt_f32_u32_e32 v17, v17
	s_delay_alu instid0(VALU_DEP_4) | instskip(NEXT) | instid1(VALU_DEP_4)
	v_dual_mul_f32 v4, v14, v4 :: v_dual_mul_f32 v21, v15, v11
	v_dual_mul_f32 v11, v7, v1 :: v_dual_and_b32 v14, 0x7fffffff, v10
	s_delay_alu instid0(VALU_DEP_4) | instskip(NEXT) | instid1(VALU_DEP_4)
	v_dual_mul_f32 v13, v15, v13 :: v_dual_and_b32 v16, 0x7fffffff, v8
	v_mul_f32_e32 v9, v9, v17
	s_delay_alu instid0(VALU_DEP_4) | instskip(NEXT) | instid1(VALU_DEP_4)
	v_dual_mul_f32 v7, v21, v18 :: v_dual_and_b32 v18, 0x7fffffff, v4
	v_and_b32_e32 v2, 0x7fffffff, v11
	s_delay_alu instid0(VALU_DEP_4)
	v_mul_f32_e32 v3, v13, v19
	v_and_b32_e32 v1, 0x7fffffff, v12
	;;#ASMSTART
	v_max3_f32 v1, v20, v1, v2

	;;#ASMEND
	v_and_b32_e32 v13, 0x7fffffff, v9
	;;#ASMSTART
	v_max3_f32 v1, v1, v13, v14

	;;#ASMEND
	v_and_b32_e32 v15, 0x7fffffff, v7
	v_and_b32_e32 v17, 0x7fffffff, v3
	;;#ASMSTART
	v_max3_f32 v1, v1, v15, v16

	;;#ASMEND
	;;#ASMSTART
	v_max3_f32 v13, v1, v17, v18

	;;#ASMEND
	s_cbranch_scc0 .LBB44_10
; %bb.4:
	s_ashr_i32 s7, s10, 31
	s_delay_alu instid0(SALU_CYCLE_1) | instskip(NEXT) | instid1(SALU_CYCLE_1)
	s_lshr_b32 s1, s7, 29
	s_add_i32 s1, s10, s1
	s_delay_alu instid0(SALU_CYCLE_1) | instskip(NEXT) | instid1(SALU_CYCLE_1)
	s_ashr_i32 s1, s1, 3
	s_cmp_lt_i32 s1, 8
	s_cbranch_scc1 .LBB44_11
; %bb.5:
	s_cmp_lt_i32 s1, 16
	s_cbranch_scc1 .LBB44_12
; %bb.6:
	;; [unrolled: 3-line block ×3, first 2 shown]
	v_mov_b32_e32 v1, v13
	s_cmp_eq_u32 s1, 32
	s_cbranch_scc0 .LBB44_9
; %bb.8:
	s_delay_alu instid0(VALU_DEP_1) | instskip(SKIP_1) | instid1(VALU_DEP_1)
	v_mov_b32_dpp v1, v13 quad_perm:[1,0,3,2] row_mask:0xf bank_mask:0xf
	s_mov_b32 s2, 0x76543210
	v_cmp_gt_f32_e32 vcc_lo, v13, v1
	v_cndmask_b32_e32 v1, v1, v13, vcc_lo
	s_delay_alu instid0(VALU_DEP_1) | instskip(NEXT) | instid1(VALU_DEP_1)
	v_mov_b32_dpp v2, v1 quad_perm:[2,3,0,1] row_mask:0xf bank_mask:0xf
	v_cmp_gt_f32_e32 vcc_lo, v1, v2
	v_cndmask_b32_e32 v1, v2, v1, vcc_lo
	s_delay_alu instid0(VALU_DEP_1) | instskip(NEXT) | instid1(VALU_DEP_1)
	v_mov_b32_dpp v2, v1 row_xmask:7 row_mask:0xf bank_mask:0xf
	v_cmp_gt_f32_e32 vcc_lo, v1, v2
	v_cndmask_b32_e32 v1, v2, v1, vcc_lo
	s_delay_alu instid0(VALU_DEP_1) | instskip(NEXT) | instid1(VALU_DEP_1)
	v_mov_b32_dpp v2, v1 row_xmask:15 row_mask:0xf bank_mask:0xf
	v_cmp_gt_f32_e32 vcc_lo, v1, v2
	v_cndmask_b32_e32 v1, v2, v1, vcc_lo
	s_delay_alu instid0(VALU_DEP_1) | instskip(NEXT) | instid1(VALU_DEP_1)
	v_permlanex16_b32 v2, v1, s2, 0xfedcba98 op_sel:[1,1]
	v_cmp_gt_f32_e32 vcc_lo, v1, v2
	v_cndmask_b32_e32 v1, v2, v1, vcc_lo
.LBB44_9:
	s_mov_b32 s2, 0
	s_branch .LBB44_14
.LBB44_10:
	s_mov_b32 s1, 0
                                        ; implicit-def: $vgpr14
                                        ; implicit-def: $vgpr1_vgpr2
	s_and_b32 vcc_lo, exec_lo, s31
	s_cbranch_vccnz .LBB44_38
	s_branch .LBB44_41
.LBB44_11:
                                        ; implicit-def: $vgpr1
	s_branch .LBB44_21
.LBB44_12:
                                        ; implicit-def: $vgpr1
	s_branch .LBB44_18
.LBB44_13:
	s_mov_b32 s2, -1
                                        ; implicit-def: $vgpr1
.LBB44_14:
	s_delay_alu instid0(SALU_CYCLE_1)
	s_and_not1_b32 vcc_lo, exec_lo, s2
	s_cbranch_vccnz .LBB44_17
; %bb.15:
	v_mov_b32_e32 v1, v13
	s_cmp_eq_u32 s1, 16
	s_cbranch_scc0 .LBB44_17
; %bb.16:
	s_delay_alu instid0(VALU_DEP_1) | instskip(NEXT) | instid1(VALU_DEP_1)
	v_mov_b32_dpp v1, v13 quad_perm:[1,0,3,2] row_mask:0xf bank_mask:0xf
	v_cmp_gt_f32_e32 vcc_lo, v13, v1
	v_cndmask_b32_e32 v1, v1, v13, vcc_lo
	s_delay_alu instid0(VALU_DEP_1) | instskip(NEXT) | instid1(VALU_DEP_1)
	v_mov_b32_dpp v2, v1 quad_perm:[2,3,0,1] row_mask:0xf bank_mask:0xf
	v_cmp_gt_f32_e32 vcc_lo, v1, v2
	v_cndmask_b32_e32 v1, v2, v1, vcc_lo
	s_delay_alu instid0(VALU_DEP_1) | instskip(NEXT) | instid1(VALU_DEP_1)
	v_mov_b32_dpp v2, v1 row_half_mirror row_mask:0xf bank_mask:0xf
	v_cmp_gt_f32_e32 vcc_lo, v1, v2
	v_cndmask_b32_e32 v1, v2, v1, vcc_lo
	s_delay_alu instid0(VALU_DEP_1) | instskip(NEXT) | instid1(VALU_DEP_1)
	v_mov_b32_dpp v2, v1 row_mirror row_mask:0xf bank_mask:0xf
	v_cmp_gt_f32_e32 vcc_lo, v1, v2
	v_cndmask_b32_e32 v1, v2, v1, vcc_lo
.LBB44_17:
	s_cbranch_execnz .LBB44_20
.LBB44_18:
	v_mov_b32_e32 v1, v13
	s_cmp_eq_u32 s1, 8
	s_cbranch_scc0 .LBB44_20
; %bb.19:
	s_delay_alu instid0(VALU_DEP_1) | instskip(NEXT) | instid1(VALU_DEP_1)
	v_mov_b32_dpp v1, v13 quad_perm:[1,0,3,2] row_mask:0xf bank_mask:0xf
	v_cmp_gt_f32_e32 vcc_lo, v13, v1
	v_cndmask_b32_e32 v1, v1, v13, vcc_lo
	s_delay_alu instid0(VALU_DEP_1) | instskip(NEXT) | instid1(VALU_DEP_1)
	v_mov_b32_dpp v2, v1 quad_perm:[2,3,0,1] row_mask:0xf bank_mask:0xf
	v_cmp_gt_f32_e32 vcc_lo, v1, v2
	v_cndmask_b32_e32 v1, v2, v1, vcc_lo
	s_delay_alu instid0(VALU_DEP_1) | instskip(NEXT) | instid1(VALU_DEP_1)
	v_mov_b32_dpp v2, v1 row_half_mirror row_mask:0xf bank_mask:0xf
	v_cmp_gt_f32_e32 vcc_lo, v1, v2
	v_cndmask_b32_e32 v1, v2, v1, vcc_lo
.LBB44_20:
	s_cbranch_execnz .LBB44_28
.LBB44_21:
	s_cmp_lt_i32 s1, 4
	s_cbranch_scc1 .LBB44_24
; %bb.22:
	v_mov_b32_e32 v1, v13
	s_cmp_eq_u32 s1, 4
	s_cbranch_scc0 .LBB44_25
; %bb.23:
	s_delay_alu instid0(VALU_DEP_1) | instskip(NEXT) | instid1(VALU_DEP_1)
	v_mov_b32_dpp v1, v13 quad_perm:[1,0,3,2] row_mask:0xf bank_mask:0xf
	v_cmp_gt_f32_e32 vcc_lo, v13, v1
	v_cndmask_b32_e32 v1, v1, v13, vcc_lo
	s_delay_alu instid0(VALU_DEP_1) | instskip(NEXT) | instid1(VALU_DEP_1)
	v_mov_b32_dpp v2, v1 quad_perm:[2,3,0,1] row_mask:0xf bank_mask:0xf
	v_cmp_gt_f32_e32 vcc_lo, v1, v2
	v_cndmask_b32_e32 v1, v2, v1, vcc_lo
	s_cbranch_execz .LBB44_26
	s_branch .LBB44_28
.LBB44_24:
                                        ; implicit-def: $vgpr1
	s_branch .LBB44_26
.LBB44_25:
	s_cbranch_execnz .LBB44_28
.LBB44_26:
	v_mov_b32_e32 v1, v13
	s_cmp_lg_u32 s1, 2
	s_cbranch_scc1 .LBB44_28
; %bb.27:
	s_delay_alu instid0(VALU_DEP_1) | instskip(NEXT) | instid1(VALU_DEP_1)
	v_mov_b32_dpp v1, v13 quad_perm:[1,0,3,2] row_mask:0xf bank_mask:0xf
	v_cmp_gt_f32_e32 vcc_lo, v13, v1
	v_cndmask_b32_e32 v1, v1, v13, vcc_lo
.LBB44_28:
	v_cvt_f32_u32_e32 v2, s1
	s_sub_i32 s2, 0, s1
	s_mov_b32 s31, 0
	s_delay_alu instid0(VALU_DEP_1) | instskip(SKIP_2) | instid1(VALU_DEP_1)
	v_rcp_iflag_f32_e32 v2, v2
	s_waitcnt_depctr 0xfff
	v_mul_f32_e32 v2, 0x4f7ffffe, v2
	v_cvt_u32_f32_e32 v2, v2
	s_delay_alu instid0(VALU_DEP_1) | instskip(NEXT) | instid1(VALU_DEP_1)
	v_mul_lo_u32 v14, s2, v2
	v_mul_hi_u32 v14, v2, v14
	s_delay_alu instid0(VALU_DEP_1) | instskip(NEXT) | instid1(VALU_DEP_1)
	v_add_nc_u32_e32 v2, v2, v14
	v_mul_hi_u32 v2, v0, v2
	s_delay_alu instid0(VALU_DEP_1) | instskip(NEXT) | instid1(VALU_DEP_1)
	v_mul_lo_u32 v14, v2, s1
	v_sub_nc_u32_e32 v14, v0, v14
	s_delay_alu instid0(VALU_DEP_1) | instskip(SKIP_1) | instid1(VALU_DEP_2)
	v_subrev_nc_u32_e32 v16, s1, v14
	v_cmp_le_u32_e32 vcc_lo, s1, v14
	v_dual_cndmask_b32 v14, v14, v16 :: v_dual_add_nc_u32 v15, 1, v2
	s_delay_alu instid0(VALU_DEP_1) | instskip(NEXT) | instid1(VALU_DEP_2)
	v_cndmask_b32_e32 v2, v2, v15, vcc_lo
	v_cmp_le_u32_e32 vcc_lo, s1, v14
	s_delay_alu instid0(VALU_DEP_2) | instskip(NEXT) | instid1(VALU_DEP_1)
	v_dual_mul_f32 v14, 0x3c010204, v1 :: v_dual_add_nc_u32 v15, 1, v2
	v_cndmask_b32_e32 v15, v2, v15, vcc_lo
	v_cmp_gt_u32_e32 vcc_lo, s5, v5
	s_delay_alu instid0(VALU_DEP_2) | instskip(NEXT) | instid1(VALU_DEP_1)
	v_mul_lo_u32 v2, v15, s1
	v_sub_nc_u32_e32 v2, v0, v2
	s_delay_alu instid0(VALU_DEP_1) | instskip(NEXT) | instid1(VALU_DEP_1)
	v_cmp_eq_u32_e64 s1, 0, v2
                                        ; implicit-def: $vgpr1_vgpr2
	s_and_b32 s2, s1, vcc_lo
	s_mov_b32 s1, 0
	s_and_saveexec_b32 s3, s2
	s_delay_alu instid0(SALU_CYCLE_1)
	s_xor_b32 s8, exec_lo, s3
	s_cbranch_execz .LBB44_37
; %bb.29:
	s_bitcmp0_b32 s11, 0
	s_mov_b32 s6, 0
	s_cbranch_scc0 .LBB44_34
; %bb.30:
	s_ashr_i32 s1, s5, 31
	s_mul_hi_u32 s3, s5, s34
	s_mul_i32 s1, s1, s34
	s_mul_i32 s2, s5, s34
	s_add_i32 s3, s3, s1
	s_mov_b32 s11, s7
	s_delay_alu instid0(SALU_CYCLE_1) | instskip(NEXT) | instid1(SALU_CYCLE_1)
	s_or_b64 s[14:15], s[2:3], s[10:11]
	s_mov_b32 s7, s15
	s_delay_alu instid0(SALU_CYCLE_1)
	s_cmp_lg_u64 s[6:7], 0
	s_cbranch_scc0 .LBB44_45
; %bb.31:
	s_add_u32 s14, s10, s11
	s_mov_b32 s6, s11
	s_mov_b32 s7, s11
	s_addc_u32 s15, s11, s11
	s_delay_alu instid0(SALU_CYCLE_1) | instskip(NEXT) | instid1(SALU_CYCLE_1)
	s_xor_b64 s[14:15], s[14:15], s[6:7]
	v_cvt_f32_u32_e32 v1, s14
	v_cvt_f32_u32_e32 v2, s15
	s_sub_u32 s18, 0, s14
	s_subb_u32 s19, 0, s15
	s_delay_alu instid0(VALU_DEP_1) | instskip(NEXT) | instid1(VALU_DEP_1)
	v_fmamk_f32 v1, v2, 0x4f800000, v1
	v_rcp_f32_e32 v1, v1
	s_waitcnt_depctr 0xfff
	v_mul_f32_e32 v1, 0x5f7ffffc, v1
	s_delay_alu instid0(VALU_DEP_1) | instskip(NEXT) | instid1(VALU_DEP_1)
	v_mul_f32_e32 v2, 0x2f800000, v1
	v_trunc_f32_e32 v2, v2
	s_delay_alu instid0(VALU_DEP_1) | instskip(SKIP_1) | instid1(VALU_DEP_2)
	v_fmamk_f32 v1, v2, 0xcf800000, v1
	v_cvt_u32_f32_e32 v2, v2
	v_cvt_u32_f32_e32 v1, v1
	s_delay_alu instid0(VALU_DEP_2) | instskip(NEXT) | instid1(VALU_DEP_2)
	v_readfirstlane_b32 s1, v2
	v_readfirstlane_b32 s11, v1
	s_delay_alu instid0(VALU_DEP_2) | instskip(NEXT) | instid1(VALU_DEP_1)
	s_mul_i32 s20, s18, s1
	s_mul_hi_u32 s22, s18, s11
	s_mul_i32 s21, s19, s11
	s_add_i32 s20, s22, s20
	s_mul_i32 s23, s18, s11
	s_add_i32 s20, s20, s21
	s_mul_hi_u32 s22, s11, s23
	s_mul_hi_u32 s24, s1, s23
	s_mul_i32 s21, s1, s23
	s_mul_hi_u32 s23, s11, s20
	s_mul_i32 s11, s11, s20
	s_mul_hi_u32 s25, s1, s20
	s_add_u32 s11, s22, s11
	s_addc_u32 s22, 0, s23
	s_add_u32 s11, s11, s21
	s_mul_i32 s20, s1, s20
	s_addc_u32 s11, s22, s24
	s_addc_u32 s21, s25, 0
	s_add_u32 s11, s11, s20
	s_addc_u32 s20, 0, s21
	v_add_co_u32 v1, s11, v1, s11
	s_delay_alu instid0(VALU_DEP_1) | instskip(SKIP_1) | instid1(VALU_DEP_1)
	s_cmp_lg_u32 s11, 0
	s_addc_u32 s1, s1, s20
	v_readfirstlane_b32 s11, v1
	s_mul_i32 s20, s18, s1
	s_delay_alu instid0(VALU_DEP_1)
	s_mul_hi_u32 s21, s18, s11
	s_mul_i32 s19, s19, s11
	s_add_i32 s20, s21, s20
	s_mul_i32 s18, s18, s11
	s_add_i32 s20, s20, s19
	s_mul_hi_u32 s21, s1, s18
	s_mul_i32 s22, s1, s18
	s_mul_hi_u32 s18, s11, s18
	s_mul_hi_u32 s23, s11, s20
	s_mul_i32 s11, s11, s20
	s_mul_hi_u32 s19, s1, s20
	s_add_u32 s11, s18, s11
	s_addc_u32 s18, 0, s23
	s_add_u32 s11, s11, s22
	s_mul_i32 s20, s1, s20
	s_addc_u32 s11, s18, s21
	s_addc_u32 s18, s19, 0
	s_add_u32 s11, s11, s20
	s_addc_u32 s18, 0, s18
	v_add_co_u32 v1, s11, v1, s11
	s_delay_alu instid0(VALU_DEP_1) | instskip(SKIP_2) | instid1(SALU_CYCLE_1)
	s_cmp_lg_u32 s11, 0
	s_addc_u32 s1, s1, s18
	s_ashr_i32 s18, s3, 31
	s_add_u32 s20, s2, s18
	s_addc_u32 s21, s3, s18
	v_readfirstlane_b32 s3, v1
	s_mov_b32 s19, s18
	s_delay_alu instid0(SALU_CYCLE_1) | instskip(NEXT) | instid1(SALU_CYCLE_1)
	s_xor_b64 s[20:21], s[20:21], s[18:19]
	s_mul_i32 s22, s20, s1
	s_delay_alu instid0(VALU_DEP_1)
	s_mul_hi_u32 s23, s20, s3
	s_mul_hi_u32 s11, s20, s1
	;; [unrolled: 1-line block ×3, first 2 shown]
	s_mul_i32 s3, s21, s3
	s_add_u32 s22, s23, s22
	s_addc_u32 s11, 0, s11
	s_mul_hi_u32 s24, s21, s1
	s_add_u32 s3, s22, s3
	s_mul_i32 s1, s21, s1
	s_addc_u32 s3, s11, s25
	s_addc_u32 s11, s24, 0
	s_add_u32 s3, s3, s1
	s_addc_u32 s11, 0, s11
	s_mul_i32 s24, s14, s3
	s_mul_hi_u32 s1, s14, s3
	s_mul_i32 s23, s14, s11
	v_sub_co_u32 v1, s20, s20, s24
	s_mul_i32 s22, s15, s3
	s_add_i32 s1, s1, s23
	s_delay_alu instid0(SALU_CYCLE_1) | instskip(NEXT) | instid1(VALU_DEP_1)
	s_add_i32 s1, s1, s22
	v_sub_co_u32 v2, s23, v1, s14
	s_sub_i32 s22, s21, s1
	s_cmp_lg_u32 s20, 0
	s_subb_u32 s22, s22, s15
	s_cmp_lg_u32 s23, 0
	v_cmp_le_u32_e32 vcc_lo, s14, v2
	s_subb_u32 s22, s22, 0
	s_delay_alu instid0(SALU_CYCLE_1)
	s_cmp_ge_u32 s22, s15
	v_cndmask_b32_e64 v2, 0, -1, vcc_lo
	s_cselect_b32 s23, -1, 0
	s_cmp_eq_u32 s22, s15
	s_cselect_b32 vcc_lo, -1, 0
	s_add_u32 s22, s3, 1
	v_cndmask_b32_e32 v2, s23, v2, vcc_lo
	s_addc_u32 s23, s11, 0
	s_add_u32 s24, s3, 2
	s_addc_u32 s25, s11, 0
	s_cmp_lg_u32 s20, 0
	v_cmp_le_u32_e32 vcc_lo, s14, v1
	s_subb_u32 s1, s21, s1
	v_mov_b32_e32 v16, s24
	s_cmp_ge_u32 s1, s15
	v_cndmask_b32_e64 v1, 0, -1, vcc_lo
	s_cselect_b32 s14, -1, 0
	s_cmp_eq_u32 s1, s15
	v_cmp_ne_u32_e32 vcc_lo, 0, v2
	v_mov_b32_e32 v2, s25
	s_cselect_b32 s1, -1, 0
	s_xor_b64 s[6:7], s[18:19], s[6:7]
	v_cndmask_b32_e64 v1, s14, v1, s1
	v_cndmask_b32_e32 v16, s22, v16, vcc_lo
	v_cndmask_b32_e32 v2, s23, v2, vcc_lo
	s_delay_alu instid0(VALU_DEP_3) | instskip(NEXT) | instid1(VALU_DEP_2)
	v_cmp_ne_u32_e32 vcc_lo, 0, v1
	v_cndmask_b32_e32 v1, s11, v2, vcc_lo
	s_delay_alu instid0(VALU_DEP_4) | instskip(NEXT) | instid1(VALU_DEP_2)
	v_cndmask_b32_e32 v2, s3, v16, vcc_lo
	v_xor_b32_e32 v16, s7, v1
	s_delay_alu instid0(VALU_DEP_2) | instskip(NEXT) | instid1(VALU_DEP_1)
	v_xor_b32_e32 v2, s6, v2
	v_sub_co_u32 v1, vcc_lo, v2, s6
	s_delay_alu instid0(VALU_DEP_3)
	v_subrev_co_ci_u32_e32 v2, vcc_lo, s7, v16, vcc_lo
	s_cbranch_execnz .LBB44_33
.LBB44_32:
	v_cvt_f32_u32_e32 v1, s10
	s_sub_i32 s3, 0, s10
	s_delay_alu instid0(VALU_DEP_1) | instskip(SKIP_2) | instid1(VALU_DEP_1)
	v_rcp_iflag_f32_e32 v1, v1
	s_waitcnt_depctr 0xfff
	v_mul_f32_e32 v1, 0x4f7ffffe, v1
	v_cvt_u32_f32_e32 v1, v1
	s_delay_alu instid0(VALU_DEP_1) | instskip(NEXT) | instid1(VALU_DEP_1)
	v_readfirstlane_b32 s1, v1
	s_mul_i32 s3, s3, s1
	s_delay_alu instid0(SALU_CYCLE_1) | instskip(NEXT) | instid1(SALU_CYCLE_1)
	s_mul_hi_u32 s3, s1, s3
	s_add_i32 s1, s1, s3
	s_delay_alu instid0(SALU_CYCLE_1) | instskip(NEXT) | instid1(SALU_CYCLE_1)
	s_mul_hi_u32 s1, s2, s1
	s_mul_i32 s3, s1, s10
	s_delay_alu instid0(SALU_CYCLE_1)
	s_sub_i32 s2, s2, s3
	s_add_i32 s3, s1, 1
	s_sub_i32 s6, s2, s10
	s_cmp_ge_u32 s2, s10
	s_cselect_b32 s1, s3, s1
	s_cselect_b32 s2, s6, s2
	s_add_i32 s6, s1, 1
	s_cmp_ge_u32 s2, s10
	s_mov_b32 s3, 0
	s_cselect_b32 s2, s6, s1
	s_delay_alu instid0(SALU_CYCLE_1)
	v_dual_mov_b32 v1, s2 :: v_dual_mov_b32 v2, s3
.LBB44_33:
	s_delay_alu instid0(VALU_DEP_1) | instskip(NEXT) | instid1(VALU_DEP_2)
	v_add_co_u32 v1, vcc_lo, v1, v15
	v_add_co_ci_u32_e32 v2, vcc_lo, 0, v2, vcc_lo
	s_branch .LBB44_36
.LBB44_34:
                                        ; implicit-def: $vgpr1_vgpr2
	s_cbranch_execz .LBB44_36
; %bb.35:
	v_mul_lo_u32 v1, v15, s4
	s_delay_alu instid0(VALU_DEP_1) | instskip(SKIP_1) | instid1(VALU_DEP_2)
	v_ashrrev_i32_e32 v2, 31, v1
	v_add_co_u32 v1, vcc_lo, v1, s34
	v_add_co_ci_u32_e32 v2, vcc_lo, 0, v2, vcc_lo
.LBB44_36:
	s_mov_b32 s1, exec_lo
.LBB44_37:
	s_or_b32 exec_lo, exec_lo, s8
	s_delay_alu instid0(SALU_CYCLE_1)
	s_and_b32 vcc_lo, exec_lo, s31
	s_cbranch_vccz .LBB44_41
.LBB44_38:
	v_mov_b32_dpp v1, v13 quad_perm:[1,0,3,2] row_mask:0xf bank_mask:0xf
	s_delay_alu instid0(VALU_DEP_1) | instskip(SKIP_1) | instid1(VALU_DEP_1)
	v_cmp_gt_f32_e32 vcc_lo, v13, v1
	v_cndmask_b32_e32 v1, v1, v13, vcc_lo
	v_mov_b32_dpp v2, v1 quad_perm:[2,3,0,1] row_mask:0xf bank_mask:0xf
	s_delay_alu instid0(VALU_DEP_1) | instskip(SKIP_1) | instid1(VALU_DEP_1)
	v_cmp_gt_f32_e32 vcc_lo, v1, v2
	v_cndmask_b32_e32 v1, v2, v1, vcc_lo
	v_mov_b32_dpp v2, v1 row_xmask:7 row_mask:0xf bank_mask:0xf
	s_delay_alu instid0(VALU_DEP_1) | instskip(SKIP_1) | instid1(VALU_DEP_1)
	v_cmp_gt_f32_e32 vcc_lo, v1, v2
	v_cndmask_b32_e32 v1, v2, v1, vcc_lo
	v_mov_b32_dpp v2, v1 row_xmask:15 row_mask:0xf bank_mask:0xf
	s_delay_alu instid0(VALU_DEP_1)
	v_cmp_gt_f32_e32 vcc_lo, v1, v2
	s_and_saveexec_b32 s1, s0
	s_cbranch_execz .LBB44_40
; %bb.39:
	v_cndmask_b32_e32 v1, v2, v1, vcc_lo
	v_lshrrev_b32_e32 v2, 3, v0
	s_mov_b32 s0, 0x76543210
	s_delay_alu instid0(VALU_DEP_1) | instskip(NEXT) | instid1(VALU_DEP_3)
	v_and_b32_e32 v2, 0x7c, v2
	v_permlanex16_b32 v13, v1, s0, 0xfedcba98 op_sel:[1,1]
	s_delay_alu instid0(VALU_DEP_1)
	v_cmp_gt_f32_e32 vcc_lo, v1, v13
	v_cndmask_b32_e32 v1, v13, v1, vcc_lo
	ds_store_b32 v2, v1
.LBB44_40:
	s_or_b32 exec_lo, exec_lo, s1
	s_waitcnt lgkmcnt(0)
	s_barrier
	buffer_gl0_inv
	ds_load_b32 v1, v6
	v_cmp_eq_u32_e64 s1, 0, v0
	s_waitcnt lgkmcnt(0)
	v_mov_b32_dpp v2, v1 quad_perm:[1,0,3,2] row_mask:0xf bank_mask:0xf
	s_delay_alu instid0(VALU_DEP_1) | instskip(SKIP_1) | instid1(VALU_DEP_1)
	v_cmp_gt_f32_e32 vcc_lo, v1, v2
	v_cndmask_b32_e32 v1, v2, v1, vcc_lo
	v_mov_b32_dpp v2, v1 quad_perm:[2,3,0,1] row_mask:0xf bank_mask:0xf
	s_delay_alu instid0(VALU_DEP_1) | instskip(SKIP_1) | instid1(VALU_DEP_1)
	v_cmp_gt_f32_e32 vcc_lo, v1, v2
	v_cndmask_b32_e32 v1, v2, v1, vcc_lo
	v_mov_b32_dpp v2, v1 row_xmask:7 row_mask:0xf bank_mask:0xf
	s_delay_alu instid0(VALU_DEP_1) | instskip(SKIP_1) | instid1(VALU_DEP_1)
	v_cmp_gt_f32_e32 vcc_lo, v1, v2
	v_cndmask_b32_e32 v1, v2, v1, vcc_lo
	v_dual_mul_f32 v14, 0x3c010204, v1 :: v_dual_mov_b32 v1, s34
	v_mov_b32_e32 v2, s35
.LBB44_41:
	s_and_saveexec_b32 s0, s1
	s_cbranch_execz .LBB44_43
; %bb.42:
	s_delay_alu instid0(VALU_DEP_1) | instskip(NEXT) | instid1(VALU_DEP_1)
	v_lshlrev_b64 v[0:1], 2, v[1:2]
	v_add_co_u32 v0, vcc_lo, s16, v0
	s_delay_alu instid0(VALU_DEP_2)
	v_add_co_ci_u32_e32 v1, vcc_lo, s17, v1, vcc_lo
	global_store_b32 v[0:1], v14, off
.LBB44_43:
	s_or_b32 exec_lo, exec_lo, s0
	;;#ASMSTART
	v_rcp_f32 v0, v14
	;;#ASMEND
	v_mul_f32_e32 v7, v7, v0
	v_mul_f32_e32 v1, v12, v0
	v_mul_f32_e32 v8, v8, v0
	v_mul_f32_e32 v4, v4, v0
	s_add_i32 s0, s5, 3
	v_cvt_i32_f32_e32 v7, v7
	v_mul_f32_e32 v2, v11, v0
	v_cvt_i32_f32_e32 v1, v1
	v_mul_f32_e32 v6, v9, v0
	v_cvt_i32_f32_e32 v4, v4
	v_and_b32_e32 v7, 0xff, v7
	v_cvt_i32_f32_e32 v2, v2
	v_and_b32_e32 v1, 0xff, v1
	s_ashr_i32 s1, s0, 31
	v_lshlrev_b16 v4, 8, v4
	s_lshr_b32 s1, s1, 30
	v_lshlrev_b16 v2, 8, v2
	s_add_i32 s0, s0, s1
	s_ashr_i32 s1, s9, 31
	s_and_b32 s2, s0, -4
	s_mul_hi_u32 s0, s9, s34
	v_or_b32_e32 v1, v1, v2
	v_mul_f32_e32 v9, v10, v0
	v_mul_f32_e32 v0, v3, v0
	v_cvt_i32_f32_e32 v3, v6
	s_mul_i32 s1, s1, s34
	s_mul_i32 s3, s9, s34
	s_add_i32 s1, s0, s1
	v_cvt_i32_f32_e32 v0, v0
	v_and_b32_e32 v3, 0xff, v3
	v_cvt_i32_f32_e32 v6, v8
	s_add_u32 s0, s12, s3
	s_addc_u32 s1, s13, s1
	v_and_b32_e32 v0, 0xff, v0
	s_and_b32 s1, s1, 0xffff
	v_lshlrev_b16 v6, 8, v6
	s_mov_b32 s3, -1
	s_delay_alu instid0(VALU_DEP_2) | instskip(SKIP_3) | instid1(VALU_DEP_4)
	v_or_b32_e32 v0, v0, v4
	v_and_b32_e32 v4, 0xffff, v1
	v_cvt_i32_f32_e32 v8, v9
	v_or_b32_e32 v6, v7, v6
	v_lshlrev_b32_e32 v0, 16, v0
	s_delay_alu instid0(VALU_DEP_3) | instskip(NEXT) | instid1(VALU_DEP_1)
	v_lshlrev_b16 v8, 8, v8
	v_or_b32_e32 v2, v3, v8
	s_delay_alu instid0(VALU_DEP_4) | instskip(NEXT) | instid1(VALU_DEP_2)
	v_and_b32_e32 v3, 0xffff, v6
	v_lshlrev_b32_e32 v2, 16, v2
	s_delay_alu instid0(VALU_DEP_2) | instskip(NEXT) | instid1(VALU_DEP_2)
	v_or_b32_e32 v1, v3, v0
	v_or_b32_e32 v0, v4, v2
	buffer_store_b64 v[0:1], v5, s[0:3], 0 offen
	;;#ASMSTART
	s_nop 0
	;;#ASMEND
.LBB44_44:
	s_nop 0
	s_sendmsg sendmsg(MSG_DEALLOC_VGPRS)
	s_endpgm
.LBB44_45:
                                        ; implicit-def: $vgpr1_vgpr2
	s_branch .LBB44_32
	.section	.rodata,"a",@progbits
	.p2align	6, 0x0
	.amdhsa_kernel _ZN5aiter24add_rmsnorm_quant_kernelItaLi256ELi8ELb1ELb1ELb0ELi1EEEvPT0_PT_PfS4_S4_S4_diiiiiiib
		.amdhsa_group_segment_fixed_size 64
		.amdhsa_private_segment_fixed_size 0
		.amdhsa_kernarg_size 88
		.amdhsa_user_sgpr_count 15
		.amdhsa_user_sgpr_dispatch_ptr 0
		.amdhsa_user_sgpr_queue_ptr 0
		.amdhsa_user_sgpr_kernarg_segment_ptr 1
		.amdhsa_user_sgpr_dispatch_id 0
		.amdhsa_user_sgpr_private_segment_size 0
		.amdhsa_wavefront_size32 1
		.amdhsa_uses_dynamic_stack 0
		.amdhsa_enable_private_segment 0
		.amdhsa_system_sgpr_workgroup_id_x 1
		.amdhsa_system_sgpr_workgroup_id_y 0
		.amdhsa_system_sgpr_workgroup_id_z 0
		.amdhsa_system_sgpr_workgroup_info 0
		.amdhsa_system_vgpr_workitem_id 0
		.amdhsa_next_free_vgpr 23
		.amdhsa_next_free_sgpr 36
		.amdhsa_reserve_vcc 1
		.amdhsa_float_round_mode_32 0
		.amdhsa_float_round_mode_16_64 0
		.amdhsa_float_denorm_mode_32 3
		.amdhsa_float_denorm_mode_16_64 3
		.amdhsa_dx10_clamp 1
		.amdhsa_ieee_mode 1
		.amdhsa_fp16_overflow 0
		.amdhsa_workgroup_processor_mode 1
		.amdhsa_memory_ordered 1
		.amdhsa_forward_progress 0
		.amdhsa_shared_vgpr_count 0
		.amdhsa_exception_fp_ieee_invalid_op 0
		.amdhsa_exception_fp_denorm_src 0
		.amdhsa_exception_fp_ieee_div_zero 0
		.amdhsa_exception_fp_ieee_overflow 0
		.amdhsa_exception_fp_ieee_underflow 0
		.amdhsa_exception_fp_ieee_inexact 0
		.amdhsa_exception_int_div_zero 0
	.end_amdhsa_kernel
	.section	.text._ZN5aiter24add_rmsnorm_quant_kernelItaLi256ELi8ELb1ELb1ELb0ELi1EEEvPT0_PT_PfS4_S4_S4_diiiiiiib,"axG",@progbits,_ZN5aiter24add_rmsnorm_quant_kernelItaLi256ELi8ELb1ELb1ELb0ELi1EEEvPT0_PT_PfS4_S4_S4_diiiiiiib,comdat
.Lfunc_end44:
	.size	_ZN5aiter24add_rmsnorm_quant_kernelItaLi256ELi8ELb1ELb1ELb0ELi1EEEvPT0_PT_PfS4_S4_S4_diiiiiiib, .Lfunc_end44-_ZN5aiter24add_rmsnorm_quant_kernelItaLi256ELi8ELb1ELb1ELb0ELi1EEEvPT0_PT_PfS4_S4_S4_diiiiiiib
                                        ; -- End function
	.section	.AMDGPU.csdata,"",@progbits
; Kernel info:
; codeLenInByte = 3564
; NumSgprs: 38
; NumVgprs: 23
; ScratchSize: 0
; MemoryBound: 0
; FloatMode: 240
; IeeeMode: 1
; LDSByteSize: 64 bytes/workgroup (compile time only)
; SGPRBlocks: 4
; VGPRBlocks: 2
; NumSGPRsForWavesPerEU: 38
; NumVGPRsForWavesPerEU: 23
; Occupancy: 16
; WaveLimiterHint : 0
; COMPUTE_PGM_RSRC2:SCRATCH_EN: 0
; COMPUTE_PGM_RSRC2:USER_SGPR: 15
; COMPUTE_PGM_RSRC2:TRAP_HANDLER: 0
; COMPUTE_PGM_RSRC2:TGID_X_EN: 1
; COMPUTE_PGM_RSRC2:TGID_Y_EN: 0
; COMPUTE_PGM_RSRC2:TGID_Z_EN: 0
; COMPUTE_PGM_RSRC2:TIDIG_COMP_CNT: 0
	.section	.text._ZN5aiter24add_rmsnorm_quant_kernelIDF16_aLi256ELi16ELb1ELb1ELb1ELi1EEEvPT0_PT_PfS4_S4_S4_diiiiiiib,"axG",@progbits,_ZN5aiter24add_rmsnorm_quant_kernelIDF16_aLi256ELi16ELb1ELb1ELb1ELi1EEEvPT0_PT_PfS4_S4_S4_diiiiiiib,comdat
	.protected	_ZN5aiter24add_rmsnorm_quant_kernelIDF16_aLi256ELi16ELb1ELb1ELb1ELi1EEEvPT0_PT_PfS4_S4_S4_diiiiiiib ; -- Begin function _ZN5aiter24add_rmsnorm_quant_kernelIDF16_aLi256ELi16ELb1ELb1ELb1ELi1EEEvPT0_PT_PfS4_S4_S4_diiiiiiib
	.globl	_ZN5aiter24add_rmsnorm_quant_kernelIDF16_aLi256ELi16ELb1ELb1ELb1ELi1EEEvPT0_PT_PfS4_S4_S4_diiiiiiib
	.p2align	8
	.type	_ZN5aiter24add_rmsnorm_quant_kernelIDF16_aLi256ELi16ELb1ELb1ELb1ELi1EEEvPT0_PT_PfS4_S4_S4_diiiiiiib,@function
_ZN5aiter24add_rmsnorm_quant_kernelIDF16_aLi256ELi16ELb1ELb1ELb1ELi1EEEvPT0_PT_PfS4_S4_S4_diiiiiiib: ; @_ZN5aiter24add_rmsnorm_quant_kernelIDF16_aLi256ELi16ELb1ELb1ELb1ELi1EEEvPT0_PT_PfS4_S4_S4_diiiiiiib
; %bb.0:
	s_mov_b32 s2, s15
	s_load_b256 s[12:19], s[0:1], 0x38
	s_mov_b32 s3, 0
	s_waitcnt lgkmcnt(0)
	s_ashr_i32 s5, s12, 31
	s_mov_b32 s4, s12
	s_delay_alu instid0(SALU_CYCLE_1) | instskip(NEXT) | instid1(VALU_DEP_1)
	v_cmp_ge_i64_e64 s4, s[2:3], s[4:5]
	s_and_b32 vcc_lo, exec_lo, s4
	s_cbranch_vccnz .LBB45_44
; %bb.1:
	s_clause 0x1
	s_load_b256 s[4:11], s[0:1], 0x0
	s_load_b256 s[20:27], s[0:1], 0x20
	v_lshlrev_b32_e32 v21, 4, v0
	s_ashr_i32 s0, s14, 31
	s_waitcnt lgkmcnt(0)
	s_mul_hi_u32 s27, s14, s2
	s_mul_i32 s0, s0, s2
	v_lshlrev_b32_e32 v1, 3, v0
	v_and_b32_e32 v2, 0x3e00, v21
	s_mul_i32 s26, s14, s2
	s_add_i32 s27, s27, s0
	s_mul_hi_u32 s30, s15, s2
	s_lshl_b64 s[26:27], s[26:27], 1
	v_and_or_b32 v9, 0xf8, v1, v2
	s_mul_i32 s14, s15, s2
	s_mov_b32 s31, -1
	s_movk_i32 s1, 0x200
	s_mov_b32 s39, s31
	v_lshlrev_b32_e32 v37, 1, v9
	v_and_b32_e32 v38, 31, v0
	s_add_u32 s28, s10, s26
	s_addc_u32 s0, s11, s27
	s_add_i32 s10, s13, 1
	s_ashr_i32 s11, s15, 31
	s_lshr_b32 s15, s10, 31
	s_mul_i32 s11, s11, s2
	s_add_i32 s10, s10, s15
	s_and_b32 s29, s0, 0xffff
	s_lshl_b32 s0, s10, 1
	s_add_i32 s15, s30, s11
	s_and_b32 s30, s0, -4
	s_lshl_b64 s[10:11], s[14:15], 1
	s_and_b32 s37, s23, 0xffff
	s_clause 0x1
	buffer_load_b128 v[13:16], v37, s[28:31], 0 offen glc slc
	buffer_load_b128 v[22:25], v37, s[28:31], s1 offen glc slc
	s_add_u32 s28, s20, s10
	s_addc_u32 s0, s21, s11
	s_mov_b32 s36, s22
	s_and_b32 s29, s0, 0xffff
	s_clause 0x1
	buffer_load_b128 v[17:20], v37, s[28:31], 0 offen glc slc
	buffer_load_b128 v[26:29], v37, s[28:31], s1 offen glc slc
	s_mov_b32 s38, s30
	s_ashr_i32 s0, s16, 31
	s_mul_hi_u32 s11, s16, s2
	s_mul_i32 s0, s0, s2
	s_mul_i32 s10, s16, s2
	s_add_i32 s11, s11, s0
	s_delay_alu instid0(SALU_CYCLE_1) | instskip(NEXT) | instid1(SALU_CYCLE_1)
	s_lshl_b64 s[10:11], s[10:11], 1
	s_add_u32 s28, s6, s10
	s_addc_u32 s0, s7, s11
	s_delay_alu instid0(SALU_CYCLE_1)
	s_and_b32 s29, s0, 0xffff
	v_cmp_eq_u32_e64 s0, 31, v38
	s_waitcnt vmcnt(3)
	v_lshrrev_b32_e32 v10, 16, v13
	v_cvt_f32_f16_e32 v12, v13
	v_cvt_f32_f16_e32 v13, v14
	s_delay_alu instid0(VALU_DEP_3)
	v_cvt_f32_f16_e32 v10, v10
	s_waitcnt vmcnt(1)
	v_lshrrev_b32_e32 v11, 16, v17
	v_cvt_f32_f16_e32 v17, v17
	v_cvt_f32_f16_e32 v31, v19
	v_lshrrev_b32_e32 v19, 16, v19
	s_delay_alu instid0(VALU_DEP_4) | instskip(NEXT) | instid1(VALU_DEP_4)
	v_cvt_f32_f16_e32 v11, v11
	v_add_f32_e32 v12, v12, v17
	v_cvt_f32_f16_e32 v17, v15
	v_lshrrev_b32_e32 v15, 16, v15
	v_cvt_f32_f16_e32 v19, v19
	v_add_f32_e32 v11, v10, v11
	v_lshrrev_b32_e32 v10, 16, v14
	v_cvt_f32_f16_e32 v14, v18
	v_lshrrev_b32_e32 v18, 16, v18
	s_delay_alu instid0(VALU_DEP_4) | instskip(NEXT) | instid1(VALU_DEP_4)
	v_mul_f32_e32 v30, v11, v11
	v_cvt_f32_f16_e32 v10, v10
	s_delay_alu instid0(VALU_DEP_4) | instskip(NEXT) | instid1(VALU_DEP_4)
	v_add_f32_e32 v13, v13, v14
	v_cvt_f32_f16_e32 v18, v18
	v_cvt_f16_f32_e32 v39, v11
	v_fmac_f32_e32 v30, v12, v12
	s_clause 0x1
	buffer_load_b128 v[5:8], v37, s[36:39], 0 offen
	buffer_load_b128 v[1:4], v37, s[36:39], s1 offen
	v_add_f32_e32 v14, v10, v18
	v_cvt_f32_f16_e32 v10, v16
	v_cvt_f32_f16_e32 v18, v15
	v_add_f32_e32 v15, v17, v31
	v_lshrrev_b32_e32 v17, 16, v16
	v_cvt_f32_f16_e32 v31, v20
	v_lshrrev_b32_e32 v20, 16, v20
	v_add_f32_e32 v16, v18, v19
	v_fmac_f32_e32 v30, v13, v13
	v_cvt_f32_f16_e32 v19, v22
	v_cvt_f32_f16_e32 v18, v17
	v_add_f32_e32 v17, v10, v31
	v_cvt_f32_f16_e32 v20, v20
	v_lshrrev_b32_e32 v10, 16, v22
	s_waitcnt vmcnt(2)
	v_cvt_f32_f16_e32 v22, v26
	v_lshrrev_b32_e32 v26, 16, v26
	v_cvt_f32_f16_e32 v31, v23
	v_add_f32_e32 v18, v18, v20
	v_cvt_f32_f16_e32 v10, v10
	v_add_f32_e32 v19, v19, v22
	v_cvt_f32_f16_e32 v20, v26
	v_lshrrev_b32_e32 v22, 16, v23
	v_cvt_f32_f16_e32 v23, v27
	v_lshrrev_b32_e32 v26, 16, v27
	v_cvt_f16_f32_e32 v32, v17
	v_cvt_f16_f32_e32 v33, v19
	v_cvt_f32_f16_e32 v27, v22
	v_add_f32_e32 v22, v31, v23
	v_cvt_f32_f16_e32 v26, v26
	v_add_f32_e32 v20, v10, v20
	v_cvt_f32_f16_e32 v10, v24
	v_lshrrev_b32_e32 v24, 16, v24
	v_cvt_f32_f16_e32 v31, v28
	v_add_f32_e32 v23, v27, v26
	v_lshrrev_b32_e32 v28, 16, v28
	v_cvt_f32_f16_e32 v26, v25
	v_cvt_f32_f16_e32 v27, v24
	v_add_f32_e32 v24, v10, v31
	v_lshrrev_b32_e32 v10, 16, v25
	v_cvt_f32_f16_e32 v28, v28
	v_fmac_f32_e32 v30, v14, v14
	v_cvt_f32_f16_e32 v31, v29
	v_lshrrev_b32_e32 v29, 16, v29
	v_cvt_f32_f16_e32 v10, v10
	v_add_f32_e32 v25, v27, v28
	v_fmac_f32_e32 v30, v15, v15
	v_add_f32_e32 v26, v26, v31
	v_cvt_f32_f16_e32 v27, v29
	v_cvt_f16_f32_e32 v28, v12
	v_cvt_f16_f32_e32 v29, v13
	v_fmac_f32_e32 v30, v16, v16
	v_cvt_f16_f32_e32 v31, v15
	v_add_f32_e32 v27, v10, v27
	v_cvt_f16_f32_e32 v34, v22
	v_cvt_f16_f32_e32 v35, v24
	v_fmac_f32_e32 v30, v17, v17
	v_cvt_f16_f32_e32 v36, v26
	v_cvt_f16_f32_e32 v40, v14
	;; [unrolled: 1-line block ×4, first 2 shown]
	v_fmac_f32_e32 v30, v18, v18
	v_cvt_f16_f32_e32 v43, v20
	v_cvt_f16_f32_e32 v44, v23
	v_cvt_f16_f32_e32 v45, v25
	v_cvt_f16_f32_e32 v46, v27
	v_fmac_f32_e32 v30, v19, v19
	v_pack_b32_f16 v32, v32, v42
	v_pack_b32_f16 v31, v31, v41
	;; [unrolled: 1-line block ×4, first 2 shown]
	v_fmac_f32_e32 v30, v20, v20
	v_pack_b32_f16 v34, v34, v44
	v_pack_b32_f16 v33, v33, v43
	s_delay_alu instid0(VALU_DEP_3) | instskip(NEXT) | instid1(VALU_DEP_1)
	v_fmac_f32_e32 v30, v22, v22
	v_fmac_f32_e32 v30, v23, v23
	s_delay_alu instid0(VALU_DEP_1) | instskip(NEXT) | instid1(VALU_DEP_1)
	v_fmac_f32_e32 v30, v24, v24
	v_fmac_f32_e32 v30, v25, v25
	s_delay_alu instid0(VALU_DEP_1) | instskip(NEXT) | instid1(VALU_DEP_1)
	;; [unrolled: 3-line block ×3, first 2 shown]
	v_mov_b32_dpp v10, v30 quad_perm:[1,0,3,2] row_mask:0xf bank_mask:0xf
	v_add_f32_e32 v10, v30, v10
	s_delay_alu instid0(VALU_DEP_1) | instskip(NEXT) | instid1(VALU_DEP_1)
	v_mov_b32_dpp v30, v10 quad_perm:[2,3,0,1] row_mask:0xf bank_mask:0xf
	v_add_f32_e32 v10, v10, v30
	v_pack_b32_f16 v30, v29, v40
	v_pack_b32_f16 v29, v28, v39
	s_delay_alu instid0(VALU_DEP_3)
	v_mov_b32_dpp v47, v10 row_xmask:7 row_mask:0xf bank_mask:0xf
	buffer_store_b128 v[29:32], v37, s[28:31], 0 offen glc slc
	;;#ASMSTART
	s_nop 0
	;;#ASMEND
	buffer_store_b128 v[33:36], v37, s[28:31], s1 offen glc slc
	v_add_f32_e32 v10, v10, v47
	;;#ASMSTART
	s_nop 0
	;;#ASMEND
	s_delay_alu instid0(VALU_DEP_1)
	v_mov_b32_dpp v28, v10 row_xmask:15 row_mask:0xf bank_mask:0xf
	s_and_saveexec_b32 s1, s0
	s_cbranch_execz .LBB45_3
; %bb.2:
	s_delay_alu instid0(VALU_DEP_1) | instskip(SKIP_2) | instid1(VALU_DEP_2)
	v_add_f32_e32 v10, v10, v28
	s_mov_b32 s6, 0x76543210
	v_lshrrev_b32_e32 v28, 3, v0
	v_permlanex16_b32 v29, v10, s6, 0xfedcba98 op_sel:[1,1]
	s_delay_alu instid0(VALU_DEP_2) | instskip(NEXT) | instid1(VALU_DEP_2)
	v_and_b32_e32 v28, 0x7c, v28
	v_add_f32_e32 v10, v10, v29
	ds_store_b32 v28, v10 offset:32
.LBB45_3:
	s_or_b32 exec_lo, exec_lo, s1
	v_and_b32_e32 v10, 7, v0
	s_waitcnt vmcnt(0) lgkmcnt(0)
	s_waitcnt_vscnt null, 0x0
	s_barrier
	buffer_gl0_inv
	v_cvt_f32_i32_e32 v30, s13
	v_dual_mov_b32 v37, 0x2edbe6ff :: v_dual_lshlrev_b32 v10, 2, v10
	v_cvt_f32_f16_e32 v35, v3
	v_lshrrev_b32_e32 v3, 16, v3
	v_cvt_f32_f16_e32 v36, v4
	ds_load_b32 v28, v10 offset:32
	v_lshrrev_b32_e32 v4, 16, v4
	s_cmp_lg_u32 s18, 0
	v_cvt_f32_f16_e32 v3, v3
	s_delay_alu instid0(VALU_DEP_2) | instskip(SKIP_2) | instid1(VALU_DEP_1)
	v_cvt_f32_f16_e32 v4, v4
	s_waitcnt lgkmcnt(0)
	v_mov_b32_dpp v29, v28 quad_perm:[1,0,3,2] row_mask:0xf bank_mask:0xf
	v_add_f32_e32 v28, v28, v29
	s_delay_alu instid0(VALU_DEP_1) | instskip(NEXT) | instid1(VALU_DEP_1)
	v_mov_b32_dpp v29, v28 quad_perm:[2,3,0,1] row_mask:0xf bank_mask:0xf
	v_add_f32_e32 v28, v28, v29
	s_delay_alu instid0(VALU_DEP_1) | instskip(NEXT) | instid1(VALU_DEP_1)
	v_mov_b32_dpp v29, v28 row_xmask:7 row_mask:0xf bank_mask:0xf
	v_add_f32_e32 v28, v28, v29
	s_delay_alu instid0(VALU_DEP_1) | instskip(SKIP_1) | instid1(VALU_DEP_2)
	v_div_scale_f32 v29, null, v30, v30, v28
	v_div_scale_f32 v33, vcc_lo, v28, v30, v28
	v_rcp_f32_e32 v31, v29
	s_waitcnt_depctr 0xfff
	v_fma_f32 v32, -v29, v31, 1.0
	s_delay_alu instid0(VALU_DEP_1) | instskip(NEXT) | instid1(VALU_DEP_1)
	v_fmac_f32_e32 v31, v32, v31
	v_mul_f32_e32 v32, v33, v31
	s_delay_alu instid0(VALU_DEP_1) | instskip(NEXT) | instid1(VALU_DEP_1)
	v_fma_f32 v34, -v29, v32, v33
	v_fmac_f32_e32 v32, v34, v31
	v_cvt_f32_f16_e32 v34, v2
	v_lshrrev_b32_e32 v2, 16, v2
	s_delay_alu instid0(VALU_DEP_3) | instskip(SKIP_1) | instid1(VALU_DEP_3)
	v_fma_f32 v29, -v29, v32, v33
	v_cvt_f32_f16_e32 v33, v1
	v_cvt_f32_f16_e32 v2, v2
	v_lshrrev_b32_e32 v1, 16, v1
	s_delay_alu instid0(VALU_DEP_4)
	v_div_fmas_f32 v29, v29, v31, v32
	v_cvt_f32_f16_e32 v31, v6
	v_lshrrev_b32_e32 v6, 16, v6
	v_cvt_f32_f16_e32 v32, v8
	v_lshrrev_b32_e32 v8, 16, v8
	v_div_fixup_f32 v28, v29, v30, v28
	v_cvt_f32_f16_e32 v1, v1
	v_cvt_f32_f16_e32 v6, v6
	s_delay_alu instid0(VALU_DEP_4) | instskip(NEXT) | instid1(VALU_DEP_4)
	v_cvt_f32_f16_e32 v8, v8
	v_cvt_f64_f32_e32 v[28:29], v28
	s_delay_alu instid0(VALU_DEP_1) | instskip(NEXT) | instid1(VALU_DEP_1)
	v_add_f64 v[28:29], v[28:29], s[24:25]
	v_cvt_f32_f64_e32 v28, v[28:29]
	v_cvt_f32_f16_e32 v29, v5
	v_lshrrev_b32_e32 v5, 16, v5
	s_delay_alu instid0(VALU_DEP_1) | instskip(NEXT) | instid1(VALU_DEP_4)
	v_cvt_f32_f16_e32 v5, v5
	v_mul_f32_e32 v30, 0x4b800000, v28
	v_cmp_gt_f32_e32 vcc_lo, 0x800000, v28
	s_delay_alu instid0(VALU_DEP_2) | instskip(SKIP_2) | instid1(VALU_DEP_3)
	v_cndmask_b32_e32 v28, v28, v30, vcc_lo
	v_cvt_f32_f16_e32 v30, v7
	v_lshrrev_b32_e32 v7, 16, v7
	v_rsq_f32_e32 v28, v28
	s_delay_alu instid0(VALU_DEP_1) | instskip(SKIP_2) | instid1(VALU_DEP_1)
	v_cvt_f32_f16_e32 v7, v7
	s_waitcnt_depctr 0xfff
	v_mul_f32_e32 v38, 0x45800000, v28
	v_cndmask_b32_e32 v28, v28, v38, vcc_lo
	s_delay_alu instid0(VALU_DEP_1) | instskip(SKIP_3) | instid1(VALU_DEP_3)
	v_mul_f32_e32 v13, v13, v28
	v_mul_f32_e32 v38, v14, v28
	;; [unrolled: 1-line block ×4, first 2 shown]
	v_dual_mul_f32 v14, v13, v31 :: v_dual_mul_f32 v13, v38, v6
	s_delay_alu instid0(VALU_DEP_2)
	v_dual_mul_f32 v6, v25, v3 :: v_dual_mul_f32 v3, v26, v36
	v_mul_f32_e32 v11, v11, v28
	v_mul_f32_e32 v12, v12, v28
	v_mul_f32_e32 v16, v16, v28
	v_mul_f32_e32 v40, v18, v28
	v_mul_f32_e32 v42, v20, v28
	v_mul_f32_e32 v41, v19, v28
	v_mul_f32_e32 v19, v11, v5
	v_mul_f32_e32 v23, v23, v28
	v_dual_mul_f32 v39, v17, v28 :: v_dual_mul_f32 v18, v16, v7
	s_delay_alu instid0(VALU_DEP_4) | instskip(SKIP_1) | instid1(VALU_DEP_4)
	v_mul_f32_e32 v11, v41, v33
	v_dual_mul_f32 v16, v40, v8 :: v_dual_and_b32 v33, 0x7fffffff, v6
	v_dual_mul_f32 v8, v23, v2 :: v_dual_and_b32 v23, 0x7fffffff, v13
	v_dual_mul_f32 v15, v15, v28 :: v_dual_mul_f32 v20, v12, v29
	v_mul_f32_e32 v22, v22, v28
	v_mul_f32_e32 v24, v24, v28
	s_delay_alu instid0(VALU_DEP_3) | instskip(NEXT) | instid1(VALU_DEP_4)
	v_dual_mul_f32 v12, v42, v1 :: v_dual_mul_f32 v17, v15, v30
	v_and_b32_e32 v1, 0x7fffffff, v20
	v_mul_f32_e32 v27, v27, v28
	v_mul_f32_e32 v15, v39, v32
	;; [unrolled: 1-line block ×3, first 2 shown]
	v_and_b32_e32 v22, 0x7fffffff, v14
	v_and_b32_e32 v2, 0x7fffffff, v19
	;;#ASMSTART
	v_max3_f32 v1, v37, v1, v2

	;;#ASMEND
	v_dual_mul_f32 v5, v24, v35 :: v_dual_mul_f32 v4, v27, v4
	;;#ASMSTART
	v_max3_f32 v1, v1, v22, v23

	;;#ASMEND
	v_and_b32_e32 v24, 0x7fffffff, v17
	v_and_b32_e32 v25, 0x7fffffff, v18
	;;#ASMSTART
	v_max3_f32 v1, v1, v24, v25

	;;#ASMEND
	v_and_b32_e32 v26, 0x7fffffff, v15
	v_and_b32_e32 v27, 0x7fffffff, v16
	;; [unrolled: 6-line block ×5, first 2 shown]
	v_and_b32_e32 v35, 0x7fffffff, v4
	;;#ASMSTART
	v_max3_f32 v1, v1, v32, v33

	;;#ASMEND
	;;#ASMSTART
	v_max3_f32 v22, v1, v34, v35

	;;#ASMEND
	s_cbranch_scc0 .LBB45_10
; %bb.4:
	s_ashr_i32 s11, s18, 31
	s_delay_alu instid0(SALU_CYCLE_1) | instskip(NEXT) | instid1(SALU_CYCLE_1)
	s_lshr_b32 s1, s11, 28
	s_add_i32 s1, s18, s1
	s_delay_alu instid0(SALU_CYCLE_1) | instskip(NEXT) | instid1(SALU_CYCLE_1)
	s_ashr_i32 s1, s1, 4
	s_cmp_lt_i32 s1, 8
	s_cbranch_scc1 .LBB45_11
; %bb.5:
	s_cmp_lt_i32 s1, 16
	s_cbranch_scc1 .LBB45_12
; %bb.6:
	;; [unrolled: 3-line block ×3, first 2 shown]
	v_mov_b32_e32 v1, v22
	s_cmp_eq_u32 s1, 32
	s_cbranch_scc0 .LBB45_9
; %bb.8:
	s_delay_alu instid0(VALU_DEP_1) | instskip(SKIP_1) | instid1(VALU_DEP_1)
	v_mov_b32_dpp v1, v22 quad_perm:[1,0,3,2] row_mask:0xf bank_mask:0xf
	s_mov_b32 s6, 0x76543210
	v_cmp_gt_f32_e32 vcc_lo, v22, v1
	v_cndmask_b32_e32 v1, v1, v22, vcc_lo
	s_delay_alu instid0(VALU_DEP_1) | instskip(NEXT) | instid1(VALU_DEP_1)
	v_mov_b32_dpp v2, v1 quad_perm:[2,3,0,1] row_mask:0xf bank_mask:0xf
	v_cmp_gt_f32_e32 vcc_lo, v1, v2
	v_cndmask_b32_e32 v1, v2, v1, vcc_lo
	s_delay_alu instid0(VALU_DEP_1) | instskip(NEXT) | instid1(VALU_DEP_1)
	v_mov_b32_dpp v2, v1 row_xmask:7 row_mask:0xf bank_mask:0xf
	v_cmp_gt_f32_e32 vcc_lo, v1, v2
	v_cndmask_b32_e32 v1, v2, v1, vcc_lo
	s_delay_alu instid0(VALU_DEP_1) | instskip(NEXT) | instid1(VALU_DEP_1)
	v_mov_b32_dpp v2, v1 row_xmask:15 row_mask:0xf bank_mask:0xf
	v_cmp_gt_f32_e32 vcc_lo, v1, v2
	v_cndmask_b32_e32 v1, v2, v1, vcc_lo
	s_delay_alu instid0(VALU_DEP_1) | instskip(NEXT) | instid1(VALU_DEP_1)
	v_permlanex16_b32 v2, v1, s6, 0xfedcba98 op_sel:[1,1]
	v_cmp_gt_f32_e32 vcc_lo, v1, v2
	v_cndmask_b32_e32 v1, v2, v1, vcc_lo
.LBB45_9:
	s_mov_b32 s6, 0
	s_branch .LBB45_14
.LBB45_10:
	s_mov_b32 s1, 0
                                        ; implicit-def: $vgpr21
                                        ; implicit-def: $vgpr1_vgpr2
	s_and_b32 vcc_lo, exec_lo, s31
	s_cbranch_vccnz .LBB45_38
	s_branch .LBB45_41
.LBB45_11:
                                        ; implicit-def: $vgpr1
	s_branch .LBB45_21
.LBB45_12:
                                        ; implicit-def: $vgpr1
	s_branch .LBB45_18
.LBB45_13:
	s_mov_b32 s6, -1
                                        ; implicit-def: $vgpr1
.LBB45_14:
	s_delay_alu instid0(SALU_CYCLE_1)
	s_and_not1_b32 vcc_lo, exec_lo, s6
	s_cbranch_vccnz .LBB45_17
; %bb.15:
	v_mov_b32_e32 v1, v22
	s_cmp_eq_u32 s1, 16
	s_cbranch_scc0 .LBB45_17
; %bb.16:
	s_delay_alu instid0(VALU_DEP_1) | instskip(NEXT) | instid1(VALU_DEP_1)
	v_mov_b32_dpp v1, v22 quad_perm:[1,0,3,2] row_mask:0xf bank_mask:0xf
	v_cmp_gt_f32_e32 vcc_lo, v22, v1
	v_cndmask_b32_e32 v1, v1, v22, vcc_lo
	s_delay_alu instid0(VALU_DEP_1) | instskip(NEXT) | instid1(VALU_DEP_1)
	v_mov_b32_dpp v2, v1 quad_perm:[2,3,0,1] row_mask:0xf bank_mask:0xf
	v_cmp_gt_f32_e32 vcc_lo, v1, v2
	v_cndmask_b32_e32 v1, v2, v1, vcc_lo
	s_delay_alu instid0(VALU_DEP_1) | instskip(NEXT) | instid1(VALU_DEP_1)
	v_mov_b32_dpp v2, v1 row_half_mirror row_mask:0xf bank_mask:0xf
	v_cmp_gt_f32_e32 vcc_lo, v1, v2
	v_cndmask_b32_e32 v1, v2, v1, vcc_lo
	s_delay_alu instid0(VALU_DEP_1) | instskip(NEXT) | instid1(VALU_DEP_1)
	v_mov_b32_dpp v2, v1 row_mirror row_mask:0xf bank_mask:0xf
	v_cmp_gt_f32_e32 vcc_lo, v1, v2
	v_cndmask_b32_e32 v1, v2, v1, vcc_lo
.LBB45_17:
	s_cbranch_execnz .LBB45_20
.LBB45_18:
	v_mov_b32_e32 v1, v22
	s_cmp_eq_u32 s1, 8
	s_cbranch_scc0 .LBB45_20
; %bb.19:
	s_delay_alu instid0(VALU_DEP_1) | instskip(NEXT) | instid1(VALU_DEP_1)
	v_mov_b32_dpp v1, v22 quad_perm:[1,0,3,2] row_mask:0xf bank_mask:0xf
	v_cmp_gt_f32_e32 vcc_lo, v22, v1
	v_cndmask_b32_e32 v1, v1, v22, vcc_lo
	s_delay_alu instid0(VALU_DEP_1) | instskip(NEXT) | instid1(VALU_DEP_1)
	v_mov_b32_dpp v2, v1 quad_perm:[2,3,0,1] row_mask:0xf bank_mask:0xf
	v_cmp_gt_f32_e32 vcc_lo, v1, v2
	v_cndmask_b32_e32 v1, v2, v1, vcc_lo
	s_delay_alu instid0(VALU_DEP_1) | instskip(NEXT) | instid1(VALU_DEP_1)
	v_mov_b32_dpp v2, v1 row_half_mirror row_mask:0xf bank_mask:0xf
	v_cmp_gt_f32_e32 vcc_lo, v1, v2
	v_cndmask_b32_e32 v1, v2, v1, vcc_lo
.LBB45_20:
	s_cbranch_execnz .LBB45_28
.LBB45_21:
	s_cmp_lt_i32 s1, 4
	s_cbranch_scc1 .LBB45_24
; %bb.22:
	v_mov_b32_e32 v1, v22
	s_cmp_eq_u32 s1, 4
	s_cbranch_scc0 .LBB45_25
; %bb.23:
	s_delay_alu instid0(VALU_DEP_1) | instskip(NEXT) | instid1(VALU_DEP_1)
	v_mov_b32_dpp v1, v22 quad_perm:[1,0,3,2] row_mask:0xf bank_mask:0xf
	v_cmp_gt_f32_e32 vcc_lo, v22, v1
	v_cndmask_b32_e32 v1, v1, v22, vcc_lo
	s_delay_alu instid0(VALU_DEP_1) | instskip(NEXT) | instid1(VALU_DEP_1)
	v_mov_b32_dpp v2, v1 quad_perm:[2,3,0,1] row_mask:0xf bank_mask:0xf
	v_cmp_gt_f32_e32 vcc_lo, v1, v2
	v_cndmask_b32_e32 v1, v2, v1, vcc_lo
	s_cbranch_execz .LBB45_26
	s_branch .LBB45_28
.LBB45_24:
                                        ; implicit-def: $vgpr1
	s_branch .LBB45_26
.LBB45_25:
	s_cbranch_execnz .LBB45_28
.LBB45_26:
	v_mov_b32_e32 v1, v22
	s_cmp_lg_u32 s1, 2
	s_cbranch_scc1 .LBB45_28
; %bb.27:
	s_delay_alu instid0(VALU_DEP_1) | instskip(NEXT) | instid1(VALU_DEP_1)
	v_mov_b32_dpp v1, v22 quad_perm:[1,0,3,2] row_mask:0xf bank_mask:0xf
	v_cmp_gt_f32_e32 vcc_lo, v22, v1
	v_cndmask_b32_e32 v1, v1, v22, vcc_lo
.LBB45_28:
	v_cvt_f32_u32_e32 v2, s1
	s_sub_i32 s6, 0, s1
	s_mov_b32 s31, 0
	s_delay_alu instid0(VALU_DEP_1) | instskip(SKIP_2) | instid1(VALU_DEP_1)
	v_rcp_iflag_f32_e32 v2, v2
	s_waitcnt_depctr 0xfff
	v_mul_f32_e32 v2, 0x4f7ffffe, v2
	v_cvt_u32_f32_e32 v2, v2
	s_delay_alu instid0(VALU_DEP_1) | instskip(NEXT) | instid1(VALU_DEP_1)
	v_mul_lo_u32 v23, s6, v2
	v_mul_hi_u32 v23, v2, v23
	s_delay_alu instid0(VALU_DEP_1) | instskip(NEXT) | instid1(VALU_DEP_1)
	v_add_nc_u32_e32 v2, v2, v23
	v_mul_hi_u32 v2, v0, v2
	s_delay_alu instid0(VALU_DEP_1) | instskip(SKIP_1) | instid1(VALU_DEP_2)
	v_mul_lo_u32 v23, v2, s1
	v_add_nc_u32_e32 v24, 1, v2
	v_sub_nc_u32_e32 v23, v0, v23
	s_delay_alu instid0(VALU_DEP_1) | instskip(SKIP_1) | instid1(VALU_DEP_2)
	v_subrev_nc_u32_e32 v25, s1, v23
	v_cmp_le_u32_e32 vcc_lo, s1, v23
	v_dual_cndmask_b32 v2, v2, v24 :: v_dual_cndmask_b32 v23, v23, v25
	s_delay_alu instid0(VALU_DEP_1) | instskip(NEXT) | instid1(VALU_DEP_2)
	v_add_nc_u32_e32 v24, 1, v2
	v_cmp_le_u32_e32 vcc_lo, s1, v23
	s_delay_alu instid0(VALU_DEP_2) | instskip(SKIP_2) | instid1(VALU_DEP_3)
	v_cndmask_b32_e32 v23, v2, v24, vcc_lo
	v_cmp_gt_u32_e32 vcc_lo, s13, v21
	v_mul_f32_e32 v21, 0x3c010204, v1
	v_mul_lo_u32 v2, v23, s1
	s_delay_alu instid0(VALU_DEP_1) | instskip(NEXT) | instid1(VALU_DEP_1)
	v_sub_nc_u32_e32 v2, v0, v2
	v_cmp_eq_u32_e64 s1, 0, v2
                                        ; implicit-def: $vgpr1_vgpr2
	s_delay_alu instid0(VALU_DEP_1) | instskip(SKIP_2) | instid1(SALU_CYCLE_1)
	s_and_b32 s6, s1, vcc_lo
	s_mov_b32 s1, 0
	s_and_saveexec_b32 s7, s6
	s_xor_b32 s16, exec_lo, s7
	s_cbranch_execz .LBB45_37
; %bb.29:
	s_bitcmp0_b32 s19, 0
	s_mov_b32 s10, 0
	s_cbranch_scc0 .LBB45_34
; %bb.30:
	s_ashr_i32 s1, s13, 31
	s_mul_hi_u32 s7, s13, s2
	s_mul_i32 s1, s1, s2
	s_mul_i32 s6, s13, s2
	s_add_i32 s7, s7, s1
	s_mov_b32 s19, s11
	s_delay_alu instid0(SALU_CYCLE_1) | instskip(NEXT) | instid1(SALU_CYCLE_1)
	s_or_b64 s[14:15], s[6:7], s[18:19]
	s_mov_b32 s11, s15
	s_delay_alu instid0(SALU_CYCLE_1)
	s_cmp_lg_u64 s[10:11], 0
	s_cbranch_scc0 .LBB45_45
; %bb.31:
	s_add_u32 s14, s18, s19
	s_mov_b32 s10, s19
	s_mov_b32 s11, s19
	s_addc_u32 s15, s19, s19
	s_delay_alu instid0(SALU_CYCLE_1) | instskip(NEXT) | instid1(SALU_CYCLE_1)
	s_xor_b64 s[14:15], s[14:15], s[10:11]
	v_cvt_f32_u32_e32 v1, s14
	v_cvt_f32_u32_e32 v2, s15
	s_sub_u32 s20, 0, s14
	s_subb_u32 s21, 0, s15
	s_delay_alu instid0(VALU_DEP_1) | instskip(NEXT) | instid1(VALU_DEP_1)
	v_fmamk_f32 v1, v2, 0x4f800000, v1
	v_rcp_f32_e32 v1, v1
	s_waitcnt_depctr 0xfff
	v_mul_f32_e32 v1, 0x5f7ffffc, v1
	s_delay_alu instid0(VALU_DEP_1) | instskip(NEXT) | instid1(VALU_DEP_1)
	v_mul_f32_e32 v2, 0x2f800000, v1
	v_trunc_f32_e32 v2, v2
	s_delay_alu instid0(VALU_DEP_1) | instskip(SKIP_1) | instid1(VALU_DEP_2)
	v_fmamk_f32 v1, v2, 0xcf800000, v1
	v_cvt_u32_f32_e32 v2, v2
	v_cvt_u32_f32_e32 v1, v1
	s_delay_alu instid0(VALU_DEP_2) | instskip(NEXT) | instid1(VALU_DEP_2)
	v_readfirstlane_b32 s1, v2
	v_readfirstlane_b32 s19, v1
	s_delay_alu instid0(VALU_DEP_2) | instskip(NEXT) | instid1(VALU_DEP_1)
	s_mul_i32 s22, s20, s1
	s_mul_hi_u32 s24, s20, s19
	s_mul_i32 s23, s21, s19
	s_add_i32 s22, s24, s22
	s_mul_i32 s25, s20, s19
	s_add_i32 s22, s22, s23
	s_mul_hi_u32 s24, s19, s25
	s_mul_hi_u32 s26, s1, s25
	s_mul_i32 s23, s1, s25
	s_mul_hi_u32 s25, s19, s22
	s_mul_i32 s19, s19, s22
	s_mul_hi_u32 s27, s1, s22
	s_add_u32 s19, s24, s19
	s_addc_u32 s24, 0, s25
	s_add_u32 s19, s19, s23
	s_mul_i32 s22, s1, s22
	s_addc_u32 s19, s24, s26
	s_addc_u32 s23, s27, 0
	s_add_u32 s19, s19, s22
	s_addc_u32 s22, 0, s23
	v_add_co_u32 v1, s19, v1, s19
	s_delay_alu instid0(VALU_DEP_1) | instskip(SKIP_1) | instid1(VALU_DEP_1)
	s_cmp_lg_u32 s19, 0
	s_addc_u32 s1, s1, s22
	v_readfirstlane_b32 s19, v1
	s_mul_i32 s22, s20, s1
	s_delay_alu instid0(VALU_DEP_1)
	s_mul_hi_u32 s23, s20, s19
	s_mul_i32 s21, s21, s19
	s_add_i32 s22, s23, s22
	s_mul_i32 s20, s20, s19
	s_add_i32 s22, s22, s21
	s_mul_hi_u32 s23, s1, s20
	s_mul_i32 s24, s1, s20
	s_mul_hi_u32 s20, s19, s20
	s_mul_hi_u32 s25, s19, s22
	s_mul_i32 s19, s19, s22
	s_mul_hi_u32 s21, s1, s22
	s_add_u32 s19, s20, s19
	s_addc_u32 s20, 0, s25
	s_add_u32 s19, s19, s24
	s_mul_i32 s22, s1, s22
	s_addc_u32 s19, s20, s23
	s_addc_u32 s20, s21, 0
	s_add_u32 s19, s19, s22
	s_addc_u32 s20, 0, s20
	v_add_co_u32 v1, s19, v1, s19
	s_delay_alu instid0(VALU_DEP_1) | instskip(SKIP_2) | instid1(SALU_CYCLE_1)
	s_cmp_lg_u32 s19, 0
	s_addc_u32 s1, s1, s20
	s_ashr_i32 s20, s7, 31
	s_add_u32 s22, s6, s20
	s_addc_u32 s23, s7, s20
	v_readfirstlane_b32 s7, v1
	s_mov_b32 s21, s20
	s_delay_alu instid0(SALU_CYCLE_1) | instskip(NEXT) | instid1(SALU_CYCLE_1)
	s_xor_b64 s[22:23], s[22:23], s[20:21]
	s_mul_i32 s24, s22, s1
	s_delay_alu instid0(VALU_DEP_1)
	s_mul_hi_u32 s25, s22, s7
	s_mul_hi_u32 s19, s22, s1
	;; [unrolled: 1-line block ×3, first 2 shown]
	s_mul_i32 s7, s23, s7
	s_add_u32 s24, s25, s24
	s_addc_u32 s19, 0, s19
	s_mul_hi_u32 s26, s23, s1
	s_add_u32 s7, s24, s7
	s_mul_i32 s1, s23, s1
	s_addc_u32 s7, s19, s27
	s_addc_u32 s19, s26, 0
	s_add_u32 s7, s7, s1
	s_addc_u32 s19, 0, s19
	s_mul_i32 s26, s14, s7
	s_mul_hi_u32 s1, s14, s7
	s_mul_i32 s25, s14, s19
	v_sub_co_u32 v1, s22, s22, s26
	s_mul_i32 s24, s15, s7
	s_add_i32 s1, s1, s25
	s_delay_alu instid0(SALU_CYCLE_1) | instskip(NEXT) | instid1(VALU_DEP_1)
	s_add_i32 s1, s1, s24
	v_sub_co_u32 v2, s25, v1, s14
	s_sub_i32 s24, s23, s1
	s_cmp_lg_u32 s22, 0
	s_subb_u32 s24, s24, s15
	s_cmp_lg_u32 s25, 0
	v_cmp_le_u32_e32 vcc_lo, s14, v2
	s_subb_u32 s24, s24, 0
	s_delay_alu instid0(SALU_CYCLE_1)
	s_cmp_ge_u32 s24, s15
	v_cndmask_b32_e64 v2, 0, -1, vcc_lo
	s_cselect_b32 s25, -1, 0
	s_cmp_eq_u32 s24, s15
	s_cselect_b32 vcc_lo, -1, 0
	s_add_u32 s24, s7, 1
	v_cndmask_b32_e32 v2, s25, v2, vcc_lo
	s_addc_u32 s25, s19, 0
	s_add_u32 s26, s7, 2
	s_addc_u32 s27, s19, 0
	s_cmp_lg_u32 s22, 0
	v_cmp_le_u32_e32 vcc_lo, s14, v1
	s_subb_u32 s1, s23, s1
	v_mov_b32_e32 v24, s26
	s_cmp_ge_u32 s1, s15
	v_cndmask_b32_e64 v1, 0, -1, vcc_lo
	s_cselect_b32 s14, -1, 0
	s_cmp_eq_u32 s1, s15
	v_cmp_ne_u32_e32 vcc_lo, 0, v2
	v_mov_b32_e32 v2, s27
	s_cselect_b32 s1, -1, 0
	s_xor_b64 s[10:11], s[20:21], s[10:11]
	v_cndmask_b32_e64 v1, s14, v1, s1
	v_cndmask_b32_e32 v24, s24, v24, vcc_lo
	v_cndmask_b32_e32 v2, s25, v2, vcc_lo
	s_delay_alu instid0(VALU_DEP_3) | instskip(NEXT) | instid1(VALU_DEP_2)
	v_cmp_ne_u32_e32 vcc_lo, 0, v1
	v_cndmask_b32_e32 v1, s19, v2, vcc_lo
	s_delay_alu instid0(VALU_DEP_4) | instskip(NEXT) | instid1(VALU_DEP_2)
	v_cndmask_b32_e32 v2, s7, v24, vcc_lo
	v_xor_b32_e32 v24, s11, v1
	s_delay_alu instid0(VALU_DEP_2) | instskip(NEXT) | instid1(VALU_DEP_1)
	v_xor_b32_e32 v2, s10, v2
	v_sub_co_u32 v1, vcc_lo, v2, s10
	s_delay_alu instid0(VALU_DEP_3)
	v_subrev_co_ci_u32_e32 v2, vcc_lo, s11, v24, vcc_lo
	s_cbranch_execnz .LBB45_33
.LBB45_32:
	v_cvt_f32_u32_e32 v1, s18
	s_sub_i32 s7, 0, s18
	s_delay_alu instid0(VALU_DEP_1) | instskip(SKIP_2) | instid1(VALU_DEP_1)
	v_rcp_iflag_f32_e32 v1, v1
	s_waitcnt_depctr 0xfff
	v_mul_f32_e32 v1, 0x4f7ffffe, v1
	v_cvt_u32_f32_e32 v1, v1
	s_delay_alu instid0(VALU_DEP_1) | instskip(NEXT) | instid1(VALU_DEP_1)
	v_readfirstlane_b32 s1, v1
	s_mul_i32 s7, s7, s1
	s_delay_alu instid0(SALU_CYCLE_1) | instskip(NEXT) | instid1(SALU_CYCLE_1)
	s_mul_hi_u32 s7, s1, s7
	s_add_i32 s1, s1, s7
	s_delay_alu instid0(SALU_CYCLE_1) | instskip(NEXT) | instid1(SALU_CYCLE_1)
	s_mul_hi_u32 s1, s6, s1
	s_mul_i32 s7, s1, s18
	s_delay_alu instid0(SALU_CYCLE_1)
	s_sub_i32 s6, s6, s7
	s_add_i32 s7, s1, 1
	s_sub_i32 s10, s6, s18
	s_cmp_ge_u32 s6, s18
	s_cselect_b32 s1, s7, s1
	s_cselect_b32 s6, s10, s6
	s_add_i32 s10, s1, 1
	s_cmp_ge_u32 s6, s18
	s_mov_b32 s7, 0
	s_cselect_b32 s6, s10, s1
	s_delay_alu instid0(SALU_CYCLE_1)
	v_dual_mov_b32 v1, s6 :: v_dual_mov_b32 v2, s7
.LBB45_33:
	s_delay_alu instid0(VALU_DEP_1) | instskip(NEXT) | instid1(VALU_DEP_2)
	v_add_co_u32 v1, vcc_lo, v1, v23
	v_add_co_ci_u32_e32 v2, vcc_lo, 0, v2, vcc_lo
	s_branch .LBB45_36
.LBB45_34:
                                        ; implicit-def: $vgpr1_vgpr2
	s_cbranch_execz .LBB45_36
; %bb.35:
	v_mul_lo_u32 v1, v23, s12
	s_delay_alu instid0(VALU_DEP_1) | instskip(SKIP_1) | instid1(VALU_DEP_2)
	v_ashrrev_i32_e32 v2, 31, v1
	v_add_co_u32 v1, vcc_lo, v1, s2
	v_add_co_ci_u32_e32 v2, vcc_lo, 0, v2, vcc_lo
.LBB45_36:
	s_mov_b32 s1, exec_lo
.LBB45_37:
	s_or_b32 exec_lo, exec_lo, s16
	s_delay_alu instid0(SALU_CYCLE_1)
	s_and_b32 vcc_lo, exec_lo, s31
	s_cbranch_vccz .LBB45_41
.LBB45_38:
	v_mov_b32_dpp v1, v22 quad_perm:[1,0,3,2] row_mask:0xf bank_mask:0xf
	s_delay_alu instid0(VALU_DEP_1) | instskip(SKIP_1) | instid1(VALU_DEP_1)
	v_cmp_gt_f32_e32 vcc_lo, v22, v1
	v_cndmask_b32_e32 v1, v1, v22, vcc_lo
	v_mov_b32_dpp v2, v1 quad_perm:[2,3,0,1] row_mask:0xf bank_mask:0xf
	s_delay_alu instid0(VALU_DEP_1) | instskip(SKIP_1) | instid1(VALU_DEP_1)
	v_cmp_gt_f32_e32 vcc_lo, v1, v2
	v_cndmask_b32_e32 v1, v2, v1, vcc_lo
	v_mov_b32_dpp v2, v1 row_xmask:7 row_mask:0xf bank_mask:0xf
	s_delay_alu instid0(VALU_DEP_1) | instskip(SKIP_1) | instid1(VALU_DEP_1)
	v_cmp_gt_f32_e32 vcc_lo, v1, v2
	v_cndmask_b32_e32 v1, v2, v1, vcc_lo
	v_mov_b32_dpp v2, v1 row_xmask:15 row_mask:0xf bank_mask:0xf
	s_delay_alu instid0(VALU_DEP_1)
	v_cmp_gt_f32_e32 vcc_lo, v1, v2
	s_and_saveexec_b32 s1, s0
	s_cbranch_execz .LBB45_40
; %bb.39:
	v_cndmask_b32_e32 v1, v2, v1, vcc_lo
	v_lshrrev_b32_e32 v2, 3, v0
	s_mov_b32 s0, 0x76543210
	s_delay_alu instid0(VALU_DEP_1) | instskip(NEXT) | instid1(VALU_DEP_3)
	v_and_b32_e32 v2, 0x7c, v2
	v_permlanex16_b32 v21, v1, s0, 0xfedcba98 op_sel:[1,1]
	s_delay_alu instid0(VALU_DEP_1)
	v_cmp_gt_f32_e32 vcc_lo, v1, v21
	v_cndmask_b32_e32 v1, v21, v1, vcc_lo
	ds_store_b32 v2, v1
.LBB45_40:
	s_or_b32 exec_lo, exec_lo, s1
	s_waitcnt lgkmcnt(0)
	s_barrier
	buffer_gl0_inv
	ds_load_b32 v1, v10
	v_cmp_eq_u32_e64 s1, 0, v0
	s_waitcnt lgkmcnt(0)
	v_mov_b32_dpp v2, v1 quad_perm:[1,0,3,2] row_mask:0xf bank_mask:0xf
	s_delay_alu instid0(VALU_DEP_1) | instskip(SKIP_1) | instid1(VALU_DEP_1)
	v_cmp_gt_f32_e32 vcc_lo, v1, v2
	v_cndmask_b32_e32 v1, v2, v1, vcc_lo
	v_mov_b32_dpp v2, v1 quad_perm:[2,3,0,1] row_mask:0xf bank_mask:0xf
	s_delay_alu instid0(VALU_DEP_1) | instskip(SKIP_1) | instid1(VALU_DEP_1)
	v_cmp_gt_f32_e32 vcc_lo, v1, v2
	v_cndmask_b32_e32 v1, v2, v1, vcc_lo
	v_mov_b32_dpp v2, v1 row_xmask:7 row_mask:0xf bank_mask:0xf
	s_delay_alu instid0(VALU_DEP_1) | instskip(SKIP_1) | instid1(VALU_DEP_1)
	v_cmp_gt_f32_e32 vcc_lo, v1, v2
	v_cndmask_b32_e32 v1, v2, v1, vcc_lo
	v_mul_f32_e32 v21, 0x3c010204, v1
	v_dual_mov_b32 v1, s2 :: v_dual_mov_b32 v2, s3
.LBB45_41:
	s_and_saveexec_b32 s0, s1
	s_cbranch_execz .LBB45_43
; %bb.42:
	s_delay_alu instid0(VALU_DEP_1) | instskip(NEXT) | instid1(VALU_DEP_1)
	v_lshlrev_b64 v[0:1], 2, v[1:2]
	v_add_co_u32 v0, vcc_lo, s8, v0
	s_delay_alu instid0(VALU_DEP_2)
	v_add_co_ci_u32_e32 v1, vcc_lo, s9, v1, vcc_lo
	global_store_b32 v[0:1], v21, off
.LBB45_43:
	s_or_b32 exec_lo, exec_lo, s0
	;;#ASMSTART
	v_rcp_f32 v0, v21
	;;#ASMEND
	v_mul_f32_e32 v16, v16, v0
	v_mul_f32_e32 v15, v15, v0
	;; [unrolled: 1-line block ×5, first 2 shown]
	v_cvt_i32_f32_e32 v16, v16
	v_cvt_i32_f32_e32 v15, v15
	v_mul_f32_e32 v10, v18, v0
	v_cvt_i32_f32_e32 v11, v11
	v_mul_f32_e32 v6, v6, v0
	v_lshlrev_b16 v16, 8, v16
	v_and_b32_e32 v15, 0xff, v15
	v_cvt_i32_f32_e32 v10, v10
	v_and_b32_e32 v11, 0xff, v11
	v_cvt_i32_f32_e32 v6, v6
	v_cvt_i32_f32_e32 v5, v5
	v_or_b32_e32 v15, v15, v16
	v_mul_f32_e32 v17, v17, v0
	v_lshlrev_b16 v10, 8, v10
	s_delay_alu instid0(VALU_DEP_4) | instskip(SKIP_1) | instid1(VALU_DEP_4)
	v_dual_mul_f32 v8, v8, v0 :: v_dual_and_b32 v5, 0xff, v5
	v_lshlrev_b16 v6, 8, v6
	v_cvt_i32_f32_e32 v17, v17
	v_mul_f32_e32 v2, v19, v0
	v_mul_f32_e32 v13, v13, v0
	;; [unrolled: 1-line block ×3, first 2 shown]
	v_or_b32_e32 v5, v5, v6
	v_and_b32_e32 v17, 0xff, v17
	v_cvt_i32_f32_e32 v2, v2
	s_add_i32 s0, s13, 3
	s_ashr_i32 s1, s17, 31
	s_ashr_i32 s3, s0, 31
	v_or_b32_e32 v10, v17, v10
	v_mul_f32_e32 v1, v20, v0
	v_lshlrev_b16 v2, 8, v2
	s_lshr_b32 s3, s3, 30
	s_mul_hi_u32 s6, s17, s2
	s_add_i32 s0, s0, s3
	v_cvt_i32_f32_e32 v1, v1
	s_mul_i32 s1, s1, s2
	s_mul_i32 s7, s17, s2
	s_and_b32 s2, s0, -4
	s_add_i32 s6, s6, s1
	v_and_b32_e32 v1, 0xff, v1
	s_add_u32 s0, s4, s7
	s_addc_u32 s1, s5, s6
	s_mov_b32 s3, -1
	s_and_b32 s1, s1, 0xffff
	v_or_b32_e32 v1, v1, v2
	v_and_b32_e32 v2, 0xffff, v10
	v_mul_f32_e32 v14, v14, v0
	v_lshlrev_b32_e32 v10, 16, v15
	v_and_b32_e32 v5, 0xffff, v5
	v_and_b32_e32 v15, 0xffff, v1
	s_movk_i32 s4, 0x100
	v_cvt_i32_f32_e32 v14, v14
	v_mul_f32_e32 v12, v12, v0
	v_mul_f32_e32 v0, v3, v0
	v_cvt_i32_f32_e32 v3, v7
	v_cvt_i32_f32_e32 v7, v8
	s_delay_alu instid0(VALU_DEP_4) | instskip(NEXT) | instid1(VALU_DEP_4)
	v_cvt_i32_f32_e32 v12, v12
	v_cvt_i32_f32_e32 v0, v0
	s_delay_alu instid0(VALU_DEP_4) | instskip(SKIP_4) | instid1(VALU_DEP_4)
	v_and_b32_e32 v3, 0xff, v3
	v_cvt_i32_f32_e32 v4, v4
	v_lshlrev_b16 v7, 8, v7
	v_lshlrev_b16 v8, 8, v12
	v_and_b32_e32 v0, 0xff, v0
	v_lshlrev_b16 v4, 8, v4
	s_delay_alu instid0(VALU_DEP_4) | instskip(NEXT) | instid1(VALU_DEP_2)
	v_or_b32_e32 v3, v3, v7
	v_or_b32_e32 v0, v0, v4
	;; [unrolled: 1-line block ×3, first 2 shown]
	s_delay_alu instid0(VALU_DEP_3) | instskip(SKIP_1) | instid1(VALU_DEP_4)
	v_lshlrev_b32_e32 v8, 16, v3
	v_cvt_i32_f32_e32 v13, v13
	v_lshlrev_b32_e32 v7, 16, v0
	s_delay_alu instid0(VALU_DEP_4) | instskip(NEXT) | instid1(VALU_DEP_3)
	v_and_b32_e32 v4, 0xffff, v4
	v_lshlrev_b16 v1, 8, v13
	v_and_b32_e32 v13, 0xff, v14
	s_delay_alu instid0(VALU_DEP_4) | instskip(NEXT) | instid1(VALU_DEP_2)
	v_or_b32_e32 v3, v5, v7
	v_or_b32_e32 v1, v13, v1
	s_delay_alu instid0(VALU_DEP_1) | instskip(SKIP_2) | instid1(VALU_DEP_3)
	v_lshlrev_b32_e32 v6, 16, v1
	v_or_b32_e32 v1, v2, v10
	v_or_b32_e32 v2, v4, v8
	;; [unrolled: 1-line block ×3, first 2 shown]
	buffer_store_b64 v[0:1], v9, s[0:3], 0 offen
	;;#ASMSTART
	s_nop 0
	;;#ASMEND
	buffer_store_b64 v[2:3], v9, s[0:3], s4 offen
	;;#ASMSTART
	s_nop 0
	;;#ASMEND
.LBB45_44:
	s_nop 0
	s_sendmsg sendmsg(MSG_DEALLOC_VGPRS)
	s_endpgm
.LBB45_45:
                                        ; implicit-def: $vgpr1_vgpr2
	s_branch .LBB45_32
	.section	.rodata,"a",@progbits
	.p2align	6, 0x0
	.amdhsa_kernel _ZN5aiter24add_rmsnorm_quant_kernelIDF16_aLi256ELi16ELb1ELb1ELb1ELi1EEEvPT0_PT_PfS4_S4_S4_diiiiiiib
		.amdhsa_group_segment_fixed_size 64
		.amdhsa_private_segment_fixed_size 0
		.amdhsa_kernarg_size 88
		.amdhsa_user_sgpr_count 15
		.amdhsa_user_sgpr_dispatch_ptr 0
		.amdhsa_user_sgpr_queue_ptr 0
		.amdhsa_user_sgpr_kernarg_segment_ptr 1
		.amdhsa_user_sgpr_dispatch_id 0
		.amdhsa_user_sgpr_private_segment_size 0
		.amdhsa_wavefront_size32 1
		.amdhsa_uses_dynamic_stack 0
		.amdhsa_enable_private_segment 0
		.amdhsa_system_sgpr_workgroup_id_x 1
		.amdhsa_system_sgpr_workgroup_id_y 0
		.amdhsa_system_sgpr_workgroup_id_z 0
		.amdhsa_system_sgpr_workgroup_info 0
		.amdhsa_system_vgpr_workitem_id 0
		.amdhsa_next_free_vgpr 48
		.amdhsa_next_free_sgpr 40
		.amdhsa_reserve_vcc 1
		.amdhsa_float_round_mode_32 0
		.amdhsa_float_round_mode_16_64 0
		.amdhsa_float_denorm_mode_32 3
		.amdhsa_float_denorm_mode_16_64 3
		.amdhsa_dx10_clamp 1
		.amdhsa_ieee_mode 1
		.amdhsa_fp16_overflow 0
		.amdhsa_workgroup_processor_mode 1
		.amdhsa_memory_ordered 1
		.amdhsa_forward_progress 0
		.amdhsa_shared_vgpr_count 0
		.amdhsa_exception_fp_ieee_invalid_op 0
		.amdhsa_exception_fp_denorm_src 0
		.amdhsa_exception_fp_ieee_div_zero 0
		.amdhsa_exception_fp_ieee_overflow 0
		.amdhsa_exception_fp_ieee_underflow 0
		.amdhsa_exception_fp_ieee_inexact 0
		.amdhsa_exception_int_div_zero 0
	.end_amdhsa_kernel
	.section	.text._ZN5aiter24add_rmsnorm_quant_kernelIDF16_aLi256ELi16ELb1ELb1ELb1ELi1EEEvPT0_PT_PfS4_S4_S4_diiiiiiib,"axG",@progbits,_ZN5aiter24add_rmsnorm_quant_kernelIDF16_aLi256ELi16ELb1ELb1ELb1ELi1EEEvPT0_PT_PfS4_S4_S4_diiiiiiib,comdat
.Lfunc_end45:
	.size	_ZN5aiter24add_rmsnorm_quant_kernelIDF16_aLi256ELi16ELb1ELb1ELb1ELi1EEEvPT0_PT_PfS4_S4_S4_diiiiiiib, .Lfunc_end45-_ZN5aiter24add_rmsnorm_quant_kernelIDF16_aLi256ELi16ELb1ELb1ELb1ELi1EEEvPT0_PT_PfS4_S4_S4_diiiiiiib
                                        ; -- End function
	.section	.AMDGPU.csdata,"",@progbits
; Kernel info:
; codeLenInByte = 4280
; NumSgprs: 42
; NumVgprs: 48
; ScratchSize: 0
; MemoryBound: 0
; FloatMode: 240
; IeeeMode: 1
; LDSByteSize: 64 bytes/workgroup (compile time only)
; SGPRBlocks: 5
; VGPRBlocks: 5
; NumSGPRsForWavesPerEU: 42
; NumVGPRsForWavesPerEU: 48
; Occupancy: 16
; WaveLimiterHint : 0
; COMPUTE_PGM_RSRC2:SCRATCH_EN: 0
; COMPUTE_PGM_RSRC2:USER_SGPR: 15
; COMPUTE_PGM_RSRC2:TRAP_HANDLER: 0
; COMPUTE_PGM_RSRC2:TGID_X_EN: 1
; COMPUTE_PGM_RSRC2:TGID_Y_EN: 0
; COMPUTE_PGM_RSRC2:TGID_Z_EN: 0
; COMPUTE_PGM_RSRC2:TIDIG_COMP_CNT: 0
	.section	.text._ZN5aiter24add_rmsnorm_quant_kernelItaLi256ELi16ELb1ELb1ELb1ELi1EEEvPT0_PT_PfS4_S4_S4_diiiiiiib,"axG",@progbits,_ZN5aiter24add_rmsnorm_quant_kernelItaLi256ELi16ELb1ELb1ELb1ELi1EEEvPT0_PT_PfS4_S4_S4_diiiiiiib,comdat
	.protected	_ZN5aiter24add_rmsnorm_quant_kernelItaLi256ELi16ELb1ELb1ELb1ELi1EEEvPT0_PT_PfS4_S4_S4_diiiiiiib ; -- Begin function _ZN5aiter24add_rmsnorm_quant_kernelItaLi256ELi16ELb1ELb1ELb1ELi1EEEvPT0_PT_PfS4_S4_S4_diiiiiiib
	.globl	_ZN5aiter24add_rmsnorm_quant_kernelItaLi256ELi16ELb1ELb1ELb1ELi1EEEvPT0_PT_PfS4_S4_S4_diiiiiiib
	.p2align	8
	.type	_ZN5aiter24add_rmsnorm_quant_kernelItaLi256ELi16ELb1ELb1ELb1ELi1EEEvPT0_PT_PfS4_S4_S4_diiiiiiib,@function
_ZN5aiter24add_rmsnorm_quant_kernelItaLi256ELi16ELb1ELb1ELb1ELi1EEEvPT0_PT_PfS4_S4_S4_diiiiiiib: ; @_ZN5aiter24add_rmsnorm_quant_kernelItaLi256ELi16ELb1ELb1ELb1ELi1EEEvPT0_PT_PfS4_S4_S4_diiiiiiib
; %bb.0:
	s_mov_b32 s2, s15
	s_load_b256 s[12:19], s[0:1], 0x38
	s_mov_b32 s3, 0
	s_waitcnt lgkmcnt(0)
	s_ashr_i32 s5, s12, 31
	s_mov_b32 s4, s12
	s_delay_alu instid0(SALU_CYCLE_1) | instskip(NEXT) | instid1(VALU_DEP_1)
	v_cmp_ge_i64_e64 s4, s[2:3], s[4:5]
	s_and_b32 vcc_lo, exec_lo, s4
	s_cbranch_vccnz .LBB46_44
; %bb.1:
	s_load_b256 s[4:11], s[0:1], 0x0
	s_ashr_i32 s20, s14, 31
	s_mul_hi_u32 s21, s14, s2
	s_mul_i32 s20, s20, s2
	v_lshlrev_b32_e32 v19, 4, v0
	s_add_i32 s29, s21, s20
	s_load_b256 s[20:27], s[0:1], 0x20
	s_mul_i32 s28, s14, s2
	v_lshlrev_b32_e32 v1, 3, v0
	v_and_b32_e32 v2, 0x3e00, v19
	s_lshl_b64 s[0:1], s[28:29], 1
	s_mov_b32 s31, -1
	s_delay_alu instid0(SALU_CYCLE_1) | instskip(NEXT) | instid1(VALU_DEP_1)
	s_mov_b32 s39, s31
	v_and_or_b32 v9, 0xf8, v1, v2
	s_delay_alu instid0(VALU_DEP_1)
	v_lshlrev_b32_e32 v37, 1, v9
	s_waitcnt lgkmcnt(0)
	s_add_u32 s28, s10, s0
	s_addc_u32 s0, s11, s1
	s_add_i32 s10, s13, 1
	s_and_b32 s29, s0, 0xffff
	s_lshr_b32 s11, s10, 31
	s_ashr_i32 s0, s15, 31
	s_add_i32 s10, s10, s11
	s_mul_hi_u32 s11, s15, s2
	s_lshl_b32 s10, s10, 1
	s_mul_i32 s0, s0, s2
	s_and_b32 s30, s10, -4
	s_mul_i32 s10, s15, s2
	s_add_i32 s11, s11, s0
	s_movk_i32 s1, 0x200
	s_lshl_b64 s[10:11], s[10:11], 1
	s_and_b32 s37, s23, 0xffff
	s_clause 0x1
	buffer_load_b128 v[10:13], v37, s[28:31], 0 offen glc slc
	buffer_load_b128 v[14:17], v37, s[28:31], s1 offen glc slc
	s_add_u32 s28, s20, s10
	s_addc_u32 s0, s21, s11
	s_mov_b32 s36, s22
	s_and_b32 s29, s0, 0xffff
	s_clause 0x1
	buffer_load_b128 v[20:23], v37, s[28:31], 0 offen glc slc
	buffer_load_b128 v[24:27], v37, s[28:31], s1 offen glc slc
	s_mov_b32 s38, s30
	s_ashr_i32 s0, s16, 31
	s_mul_hi_u32 s11, s16, s2
	s_mul_i32 s0, s0, s2
	s_mul_i32 s10, s16, s2
	s_add_i32 s11, s11, s0
	s_delay_alu instid0(SALU_CYCLE_1) | instskip(NEXT) | instid1(SALU_CYCLE_1)
	s_lshl_b64 s[10:11], s[10:11], 1
	s_add_u32 s28, s6, s10
	s_addc_u32 s0, s7, s11
	s_delay_alu instid0(SALU_CYCLE_1)
	s_and_b32 s29, s0, 0xffff
	s_waitcnt vmcnt(3)
	v_lshrrev_b32_e32 v28, 16, v11
	s_waitcnt vmcnt(2)
	v_lshrrev_b32_e32 v39, 16, v16
	v_and_b32_e32 v40, 0xffff, v16
	v_lshrrev_b32_e32 v18, 16, v10
	v_lshrrev_b32_e32 v41, 16, v17
	v_and_b32_e32 v42, 0xffff, v17
	s_waitcnt vmcnt(1)
	v_lshrrev_b32_e32 v16, 16, v21
	v_cvt_f32_u32_e32 v17, v28
	v_lshrrev_b32_e32 v30, 16, v12
	v_and_b32_e32 v31, 0xffff, v12
	v_lshrrev_b32_e32 v32, 16, v13
	v_cvt_f32_u32_e32 v16, v16
	v_and_b32_e32 v29, 0xffff, v11
	v_lshrrev_b32_e32 v11, 16, v20
	v_and_b32_e32 v33, 0xffff, v13
	v_cvt_f32_u32_e32 v12, v18
	v_and_b32_e32 v13, 0xffff, v20
	v_lshrrev_b32_e32 v20, 16, v22
	v_cvt_f32_u32_e32 v11, v11
	v_and_b32_e32 v10, 0xffff, v10
	v_lshrrev_b32_e32 v34, 16, v14
	v_cvt_f32_u32_e32 v13, v13
	s_delay_alu instid0(VALU_DEP_4) | instskip(NEXT) | instid1(VALU_DEP_4)
	v_dual_add_f32 v11, v12, v11 :: v_dual_and_b32 v18, 0xffff, v22
	v_cvt_f32_u32_e32 v10, v10
	v_cvt_f32_u32_e32 v20, v20
	v_and_b32_e32 v35, 0xffff, v14
	v_and_b32_e32 v14, 0xffff, v21
	v_lshrrev_b32_e32 v36, 16, v15
	v_add_f32_e32 v12, v10, v13
	v_mul_f32_e32 v10, v11, v11
	v_cvt_f32_u32_e32 v18, v18
	v_and_b32_e32 v38, 0xffff, v15
	v_cvt_f32_u32_e32 v15, v29
	v_cvt_f32_u32_e32 v14, v14
	v_fmac_f32_e32 v10, v12, v12
	s_clause 0x1
	buffer_load_b128 v[5:8], v37, s[36:39], 0 offen
	buffer_load_b128 v[1:4], v37, s[36:39], s1 offen
	v_lshrrev_b32_e32 v21, 16, v23
	v_cvt_f32_u32_e32 v29, v39
	v_dual_add_f32 v13, v15, v14 :: v_dual_add_f32 v14, v17, v16
	v_cvt_f32_u32_e32 v16, v30
	s_waitcnt vmcnt(2)
	v_and_b32_e32 v22, 0xffff, v24
	v_cvt_f32_u32_e32 v21, v21
	v_fmac_f32_e32 v10, v13, v13
	v_cvt_f32_u32_e32 v15, v31
	v_add_f32_e32 v16, v16, v20
	v_cvt_f32_u32_e32 v20, v32
	v_lshrrev_b32_e32 v24, 16, v24
	v_fmac_f32_e32 v10, v14, v14
	v_add_f32_e32 v15, v15, v18
	v_cvt_f32_u32_e32 v18, v33
	v_cvt_f32_u32_e32 v22, v22
	v_and_b32_e32 v28, 0xffff, v25
	v_cvt_f32_u32_e32 v24, v24
	v_fmac_f32_e32 v10, v15, v15
	v_and_b32_e32 v17, 0xffff, v23
	v_cvt_f32_u32_e32 v23, v35
	v_and_b32_e32 v30, 0xffff, v27
	v_lshrrev_b32_e32 v27, 16, v27
	v_fmac_f32_e32 v10, v16, v16
	v_cvt_f32_u32_e32 v17, v17
	v_perm_b32 v31, v16, v15, 0x7060302
	v_cvt_f32_u32_e32 v30, v30
	v_cvt_f32_u32_e32 v27, v27
	s_delay_alu instid0(VALU_DEP_4)
	v_add_f32_e32 v17, v18, v17
	v_add_f32_e32 v18, v20, v21
	v_cvt_f32_u32_e32 v21, v34
	v_add_f32_e32 v20, v23, v22
	v_cvt_f32_u32_e32 v22, v38
	v_fmac_f32_e32 v10, v17, v17
	v_lshrrev_b32_e32 v23, 16, v25
	v_cvt_f32_u32_e32 v25, v28
	v_add_f32_e32 v21, v21, v24
	v_cvt_f32_u32_e32 v24, v36
	v_fmac_f32_e32 v10, v18, v18
	v_and_b32_e32 v28, 0xffff, v26
	v_cvt_f32_u32_e32 v23, v23
	v_add_f32_e32 v22, v22, v25
	v_cvt_f32_u32_e32 v25, v40
	v_fmac_f32_e32 v10, v20, v20
	v_lshrrev_b32_e32 v26, 16, v26
	v_cvt_f32_u32_e32 v28, v28
	v_dual_add_f32 v23, v24, v23 :: v_dual_and_b32 v38, 31, v0
	s_delay_alu instid0(VALU_DEP_4) | instskip(NEXT) | instid1(VALU_DEP_4)
	v_fmac_f32_e32 v10, v21, v21
	v_cvt_f32_u32_e32 v26, v26
	s_delay_alu instid0(VALU_DEP_4)
	v_add_f32_e32 v24, v25, v28
	v_cvt_f32_u32_e32 v28, v42
	v_perm_b32 v32, v18, v17, 0x7060302
	v_fmac_f32_e32 v10, v22, v22
	v_add_f32_e32 v25, v29, v26
	v_cvt_f32_u32_e32 v29, v41
	v_add_f32_e32 v26, v28, v30
	v_perm_b32 v30, v14, v13, 0x7060302
	v_fmac_f32_e32 v10, v23, v23
	v_perm_b32 v35, v25, v24, 0x7060302
	v_add_f32_e32 v27, v29, v27
	v_perm_b32 v29, v11, v12, 0x7060302
	v_perm_b32 v34, v23, v22, 0x7060302
	v_fmac_f32_e32 v10, v24, v24
	v_perm_b32 v33, v21, v20, 0x7060302
	v_perm_b32 v36, v27, v26, 0x7060302
	v_cmp_eq_u32_e64 s0, 31, v38
	buffer_store_b128 v[29:32], v37, s[28:31], 0 offen glc slc
	v_fmac_f32_e32 v10, v25, v25
	;;#ASMSTART
	s_nop 0
	;;#ASMEND
	buffer_store_b128 v[33:36], v37, s[28:31], s1 offen glc slc
	;;#ASMSTART
	s_nop 0
	;;#ASMEND
	v_fmac_f32_e32 v10, v26, v26
	s_delay_alu instid0(VALU_DEP_1) | instskip(NEXT) | instid1(VALU_DEP_1)
	v_fmac_f32_e32 v10, v27, v27
	v_mov_b32_dpp v28, v10 quad_perm:[1,0,3,2] row_mask:0xf bank_mask:0xf
	s_delay_alu instid0(VALU_DEP_1) | instskip(NEXT) | instid1(VALU_DEP_1)
	v_add_f32_e32 v10, v10, v28
	v_mov_b32_dpp v28, v10 quad_perm:[2,3,0,1] row_mask:0xf bank_mask:0xf
	s_delay_alu instid0(VALU_DEP_1) | instskip(NEXT) | instid1(VALU_DEP_1)
	v_add_f32_e32 v10, v10, v28
	v_mov_b32_dpp v28, v10 row_xmask:7 row_mask:0xf bank_mask:0xf
	s_delay_alu instid0(VALU_DEP_1) | instskip(NEXT) | instid1(VALU_DEP_1)
	v_add_f32_e32 v10, v10, v28
	v_mov_b32_dpp v28, v10 row_xmask:15 row_mask:0xf bank_mask:0xf
	s_and_saveexec_b32 s1, s0
	s_cbranch_execz .LBB46_3
; %bb.2:
	s_delay_alu instid0(VALU_DEP_1) | instskip(SKIP_2) | instid1(VALU_DEP_2)
	v_add_f32_e32 v10, v10, v28
	s_mov_b32 s6, 0x76543210
	v_lshrrev_b32_e32 v28, 3, v0
	v_permlanex16_b32 v29, v10, s6, 0xfedcba98 op_sel:[1,1]
	s_delay_alu instid0(VALU_DEP_2) | instskip(NEXT) | instid1(VALU_DEP_2)
	v_and_b32_e32 v28, 0x7c, v28
	v_add_f32_e32 v10, v10, v29
	ds_store_b32 v28, v10 offset:32
.LBB46_3:
	s_or_b32 exec_lo, exec_lo, s1
	v_and_b32_e32 v10, 7, v0
	s_waitcnt vmcnt(0) lgkmcnt(0)
	s_waitcnt_vscnt null, 0x0
	s_barrier
	buffer_gl0_inv
	v_cvt_f32_i32_e32 v30, s13
	v_dual_mov_b32 v37, 0x2edbe6ff :: v_dual_lshlrev_b32 v10, 2, v10
	s_cmp_lg_u32 s18, 0
	v_and_b32_e32 v35, 0xffff, v2
	v_lshrrev_b32_e32 v2, 16, v2
	ds_load_b32 v28, v10 offset:32
	v_cvt_f32_u32_e32 v35, v35
	v_cvt_f32_u32_e32 v2, v2
	s_waitcnt lgkmcnt(0)
	v_mov_b32_dpp v29, v28 quad_perm:[1,0,3,2] row_mask:0xf bank_mask:0xf
	s_delay_alu instid0(VALU_DEP_1) | instskip(NEXT) | instid1(VALU_DEP_1)
	v_add_f32_e32 v28, v28, v29
	v_mov_b32_dpp v29, v28 quad_perm:[2,3,0,1] row_mask:0xf bank_mask:0xf
	s_delay_alu instid0(VALU_DEP_1) | instskip(NEXT) | instid1(VALU_DEP_1)
	v_add_f32_e32 v28, v28, v29
	v_mov_b32_dpp v29, v28 row_xmask:7 row_mask:0xf bank_mask:0xf
	s_delay_alu instid0(VALU_DEP_1) | instskip(NEXT) | instid1(VALU_DEP_1)
	v_add_f32_e32 v28, v28, v29
	v_div_scale_f32 v29, null, v30, v30, v28
	v_div_scale_f32 v33, vcc_lo, v28, v30, v28
	s_delay_alu instid0(VALU_DEP_2) | instskip(SKIP_2) | instid1(VALU_DEP_1)
	v_rcp_f32_e32 v31, v29
	s_waitcnt_depctr 0xfff
	v_fma_f32 v32, -v29, v31, 1.0
	v_fmac_f32_e32 v31, v32, v31
	s_delay_alu instid0(VALU_DEP_1) | instskip(NEXT) | instid1(VALU_DEP_1)
	v_mul_f32_e32 v32, v33, v31
	v_fma_f32 v34, -v29, v32, v33
	s_delay_alu instid0(VALU_DEP_1) | instskip(NEXT) | instid1(VALU_DEP_1)
	v_fmac_f32_e32 v32, v34, v31
	v_fma_f32 v29, -v29, v32, v33
	v_and_b32_e32 v33, 0xffff, v1
	v_lshrrev_b32_e32 v1, 16, v1
	s_delay_alu instid0(VALU_DEP_3) | instskip(SKIP_1) | instid1(VALU_DEP_4)
	v_div_fmas_f32 v29, v29, v31, v32
	v_and_b32_e32 v31, 0xffff, v7
	v_cvt_f32_u32_e32 v33, v33
	v_lshrrev_b32_e32 v7, 16, v7
	v_cvt_f32_u32_e32 v1, v1
	v_div_fixup_f32 v28, v29, v30, v28
	v_cvt_f32_u32_e32 v31, v31
	s_delay_alu instid0(VALU_DEP_4) | instskip(NEXT) | instid1(VALU_DEP_3)
	v_cvt_f32_u32_e32 v7, v7
	v_cvt_f64_f32_e32 v[28:29], v28
	s_delay_alu instid0(VALU_DEP_1) | instskip(NEXT) | instid1(VALU_DEP_1)
	v_add_f64 v[28:29], v[28:29], s[24:25]
	v_cvt_f32_f64_e32 v28, v[28:29]
	v_and_b32_e32 v29, 0xffff, v5
	v_lshrrev_b32_e32 v5, 16, v5
	s_delay_alu instid0(VALU_DEP_2) | instskip(NEXT) | instid1(VALU_DEP_2)
	v_cvt_f32_u32_e32 v29, v29
	v_cvt_f32_u32_e32 v5, v5
	v_mul_f32_e32 v34, 0x4b800000, v28
	v_cmp_gt_f32_e32 vcc_lo, 0x800000, v28
	s_delay_alu instid0(VALU_DEP_2) | instskip(NEXT) | instid1(VALU_DEP_1)
	v_cndmask_b32_e32 v28, v28, v34, vcc_lo
	v_rsq_f32_e32 v28, v28
	s_waitcnt_depctr 0xfff
	v_mul_f32_e32 v38, 0x45800000, v28
	s_delay_alu instid0(VALU_DEP_1)
	v_cndmask_b32_e32 v28, v28, v38, vcc_lo
	v_and_b32_e32 v30, 0xffff, v6
	v_lshrrev_b32_e32 v6, 16, v6
	v_and_b32_e32 v34, 0xffff, v3
	v_lshrrev_b32_e32 v3, 16, v3
	v_mul_f32_e32 v13, v13, v28
	v_mul_f32_e32 v11, v11, v28
	;; [unrolled: 1-line block ×3, first 2 shown]
	v_cvt_f32_u32_e32 v30, v30
	v_cvt_f32_u32_e32 v6, v6
	;; [unrolled: 1-line block ×3, first 2 shown]
	v_mul_f32_e32 v20, v11, v5
	v_dual_mul_f32 v11, v41, v33 :: v_dual_and_b32 v36, 0xffff, v4
	v_cvt_f32_u32_e32 v3, v3
	v_mul_f32_e32 v38, v14, v28
	v_mul_f32_e32 v25, v25, v28
	s_delay_alu instid0(VALU_DEP_4) | instskip(SKIP_2) | instid1(VALU_DEP_4)
	v_cvt_f32_u32_e32 v36, v36
	v_mul_f32_e32 v26, v26, v28
	v_mul_f32_e32 v14, v13, v30
	v_dual_mul_f32 v13, v38, v6 :: v_dual_mul_f32 v6, v25, v3
	v_lshrrev_b32_e32 v4, 16, v4
	s_delay_alu instid0(VALU_DEP_4)
	v_mul_f32_e32 v3, v26, v36
	v_mul_f32_e32 v12, v12, v28
	v_and_b32_e32 v32, 0xffff, v8
	v_lshrrev_b32_e32 v8, 16, v8
	v_mul_f32_e32 v16, v16, v28
	v_mul_f32_e32 v15, v15, v28
	;; [unrolled: 1-line block ×3, first 2 shown]
	v_cvt_f32_u32_e32 v4, v4
	v_cvt_f32_u32_e32 v8, v8
	v_mul_f32_e32 v18, v16, v7
	v_dual_mul_f32 v42, v21, v28 :: v_dual_and_b32 v33, 0x7fffffff, v6
	v_mul_f32_e32 v39, v17, v28
	v_dual_mul_f32 v24, v24, v28 :: v_dual_mul_f32 v17, v15, v31
	v_mul_f32_e32 v27, v27, v28
	v_dual_mul_f32 v16, v40, v8 :: v_dual_and_b32 v25, 0x7fffffff, v18
	v_mul_f32_e32 v21, v12, v29
	v_cvt_f32_u32_e32 v32, v32
	v_dual_mul_f32 v22, v22, v28 :: v_dual_mul_f32 v5, v24, v34
	v_and_b32_e32 v24, 0x7fffffff, v17
	v_mul_f32_e32 v4, v27, v4
	v_and_b32_e32 v27, 0x7fffffff, v16
	v_dual_mul_f32 v23, v23, v28 :: v_dual_mul_f32 v12, v42, v1
	v_mul_f32_e32 v15, v39, v32
	v_and_b32_e32 v1, 0x7fffffff, v21
	v_dual_mul_f32 v7, v22, v35 :: v_dual_and_b32 v22, 0x7fffffff, v14
	s_delay_alu instid0(VALU_DEP_4)
	v_mul_f32_e32 v8, v23, v2
	v_and_b32_e32 v2, 0x7fffffff, v20
	;;#ASMSTART
	v_max3_f32 v1, v37, v1, v2

	;;#ASMEND
	v_and_b32_e32 v23, 0x7fffffff, v13
	;;#ASMSTART
	v_max3_f32 v1, v1, v22, v23

	;;#ASMEND
	;;#ASMSTART
	v_max3_f32 v1, v1, v24, v25

	;;#ASMEND
	v_and_b32_e32 v26, 0x7fffffff, v15
	;;#ASMSTART
	v_max3_f32 v1, v1, v26, v27

	;;#ASMEND
	v_and_b32_e32 v28, 0x7fffffff, v11
	v_and_b32_e32 v29, 0x7fffffff, v12
	;;#ASMSTART
	v_max3_f32 v1, v1, v28, v29

	;;#ASMEND
	v_and_b32_e32 v30, 0x7fffffff, v7
	;; [unrolled: 6-line block ×3, first 2 shown]
	v_and_b32_e32 v34, 0x7fffffff, v3
	v_and_b32_e32 v35, 0x7fffffff, v4
	;;#ASMSTART
	v_max3_f32 v1, v1, v32, v33

	;;#ASMEND
	;;#ASMSTART
	v_max3_f32 v22, v1, v34, v35

	;;#ASMEND
	s_cbranch_scc0 .LBB46_10
; %bb.4:
	s_ashr_i32 s11, s18, 31
	s_delay_alu instid0(SALU_CYCLE_1) | instskip(NEXT) | instid1(SALU_CYCLE_1)
	s_lshr_b32 s1, s11, 28
	s_add_i32 s1, s18, s1
	s_delay_alu instid0(SALU_CYCLE_1) | instskip(NEXT) | instid1(SALU_CYCLE_1)
	s_ashr_i32 s1, s1, 4
	s_cmp_lt_i32 s1, 8
	s_cbranch_scc1 .LBB46_11
; %bb.5:
	s_cmp_lt_i32 s1, 16
	s_cbranch_scc1 .LBB46_12
; %bb.6:
	;; [unrolled: 3-line block ×3, first 2 shown]
	v_mov_b32_e32 v1, v22
	s_cmp_eq_u32 s1, 32
	s_cbranch_scc0 .LBB46_9
; %bb.8:
	s_delay_alu instid0(VALU_DEP_1) | instskip(SKIP_1) | instid1(VALU_DEP_1)
	v_mov_b32_dpp v1, v22 quad_perm:[1,0,3,2] row_mask:0xf bank_mask:0xf
	s_mov_b32 s6, 0x76543210
	v_cmp_gt_f32_e32 vcc_lo, v22, v1
	v_cndmask_b32_e32 v1, v1, v22, vcc_lo
	s_delay_alu instid0(VALU_DEP_1) | instskip(NEXT) | instid1(VALU_DEP_1)
	v_mov_b32_dpp v2, v1 quad_perm:[2,3,0,1] row_mask:0xf bank_mask:0xf
	v_cmp_gt_f32_e32 vcc_lo, v1, v2
	v_cndmask_b32_e32 v1, v2, v1, vcc_lo
	s_delay_alu instid0(VALU_DEP_1) | instskip(NEXT) | instid1(VALU_DEP_1)
	v_mov_b32_dpp v2, v1 row_xmask:7 row_mask:0xf bank_mask:0xf
	v_cmp_gt_f32_e32 vcc_lo, v1, v2
	v_cndmask_b32_e32 v1, v2, v1, vcc_lo
	s_delay_alu instid0(VALU_DEP_1) | instskip(NEXT) | instid1(VALU_DEP_1)
	v_mov_b32_dpp v2, v1 row_xmask:15 row_mask:0xf bank_mask:0xf
	v_cmp_gt_f32_e32 vcc_lo, v1, v2
	v_cndmask_b32_e32 v1, v2, v1, vcc_lo
	s_delay_alu instid0(VALU_DEP_1) | instskip(NEXT) | instid1(VALU_DEP_1)
	v_permlanex16_b32 v2, v1, s6, 0xfedcba98 op_sel:[1,1]
	v_cmp_gt_f32_e32 vcc_lo, v1, v2
	v_cndmask_b32_e32 v1, v2, v1, vcc_lo
.LBB46_9:
	s_mov_b32 s6, 0
	s_branch .LBB46_14
.LBB46_10:
	s_mov_b32 s1, 0
                                        ; implicit-def: $vgpr19
                                        ; implicit-def: $vgpr1_vgpr2
	s_and_b32 vcc_lo, exec_lo, s31
	s_cbranch_vccnz .LBB46_38
	s_branch .LBB46_41
.LBB46_11:
                                        ; implicit-def: $vgpr1
	s_branch .LBB46_21
.LBB46_12:
                                        ; implicit-def: $vgpr1
	s_branch .LBB46_18
.LBB46_13:
	s_mov_b32 s6, -1
                                        ; implicit-def: $vgpr1
.LBB46_14:
	s_delay_alu instid0(SALU_CYCLE_1)
	s_and_not1_b32 vcc_lo, exec_lo, s6
	s_cbranch_vccnz .LBB46_17
; %bb.15:
	v_mov_b32_e32 v1, v22
	s_cmp_eq_u32 s1, 16
	s_cbranch_scc0 .LBB46_17
; %bb.16:
	s_delay_alu instid0(VALU_DEP_1) | instskip(NEXT) | instid1(VALU_DEP_1)
	v_mov_b32_dpp v1, v22 quad_perm:[1,0,3,2] row_mask:0xf bank_mask:0xf
	v_cmp_gt_f32_e32 vcc_lo, v22, v1
	v_cndmask_b32_e32 v1, v1, v22, vcc_lo
	s_delay_alu instid0(VALU_DEP_1) | instskip(NEXT) | instid1(VALU_DEP_1)
	v_mov_b32_dpp v2, v1 quad_perm:[2,3,0,1] row_mask:0xf bank_mask:0xf
	v_cmp_gt_f32_e32 vcc_lo, v1, v2
	v_cndmask_b32_e32 v1, v2, v1, vcc_lo
	s_delay_alu instid0(VALU_DEP_1) | instskip(NEXT) | instid1(VALU_DEP_1)
	v_mov_b32_dpp v2, v1 row_half_mirror row_mask:0xf bank_mask:0xf
	v_cmp_gt_f32_e32 vcc_lo, v1, v2
	v_cndmask_b32_e32 v1, v2, v1, vcc_lo
	s_delay_alu instid0(VALU_DEP_1) | instskip(NEXT) | instid1(VALU_DEP_1)
	v_mov_b32_dpp v2, v1 row_mirror row_mask:0xf bank_mask:0xf
	v_cmp_gt_f32_e32 vcc_lo, v1, v2
	v_cndmask_b32_e32 v1, v2, v1, vcc_lo
.LBB46_17:
	s_cbranch_execnz .LBB46_20
.LBB46_18:
	v_mov_b32_e32 v1, v22
	s_cmp_eq_u32 s1, 8
	s_cbranch_scc0 .LBB46_20
; %bb.19:
	s_delay_alu instid0(VALU_DEP_1) | instskip(NEXT) | instid1(VALU_DEP_1)
	v_mov_b32_dpp v1, v22 quad_perm:[1,0,3,2] row_mask:0xf bank_mask:0xf
	v_cmp_gt_f32_e32 vcc_lo, v22, v1
	v_cndmask_b32_e32 v1, v1, v22, vcc_lo
	s_delay_alu instid0(VALU_DEP_1) | instskip(NEXT) | instid1(VALU_DEP_1)
	v_mov_b32_dpp v2, v1 quad_perm:[2,3,0,1] row_mask:0xf bank_mask:0xf
	v_cmp_gt_f32_e32 vcc_lo, v1, v2
	v_cndmask_b32_e32 v1, v2, v1, vcc_lo
	s_delay_alu instid0(VALU_DEP_1) | instskip(NEXT) | instid1(VALU_DEP_1)
	v_mov_b32_dpp v2, v1 row_half_mirror row_mask:0xf bank_mask:0xf
	v_cmp_gt_f32_e32 vcc_lo, v1, v2
	v_cndmask_b32_e32 v1, v2, v1, vcc_lo
.LBB46_20:
	s_cbranch_execnz .LBB46_28
.LBB46_21:
	s_cmp_lt_i32 s1, 4
	s_cbranch_scc1 .LBB46_24
; %bb.22:
	v_mov_b32_e32 v1, v22
	s_cmp_eq_u32 s1, 4
	s_cbranch_scc0 .LBB46_25
; %bb.23:
	s_delay_alu instid0(VALU_DEP_1) | instskip(NEXT) | instid1(VALU_DEP_1)
	v_mov_b32_dpp v1, v22 quad_perm:[1,0,3,2] row_mask:0xf bank_mask:0xf
	v_cmp_gt_f32_e32 vcc_lo, v22, v1
	v_cndmask_b32_e32 v1, v1, v22, vcc_lo
	s_delay_alu instid0(VALU_DEP_1) | instskip(NEXT) | instid1(VALU_DEP_1)
	v_mov_b32_dpp v2, v1 quad_perm:[2,3,0,1] row_mask:0xf bank_mask:0xf
	v_cmp_gt_f32_e32 vcc_lo, v1, v2
	v_cndmask_b32_e32 v1, v2, v1, vcc_lo
	s_cbranch_execz .LBB46_26
	s_branch .LBB46_28
.LBB46_24:
                                        ; implicit-def: $vgpr1
	s_branch .LBB46_26
.LBB46_25:
	s_cbranch_execnz .LBB46_28
.LBB46_26:
	v_mov_b32_e32 v1, v22
	s_cmp_lg_u32 s1, 2
	s_cbranch_scc1 .LBB46_28
; %bb.27:
	s_delay_alu instid0(VALU_DEP_1) | instskip(NEXT) | instid1(VALU_DEP_1)
	v_mov_b32_dpp v1, v22 quad_perm:[1,0,3,2] row_mask:0xf bank_mask:0xf
	v_cmp_gt_f32_e32 vcc_lo, v22, v1
	v_cndmask_b32_e32 v1, v1, v22, vcc_lo
.LBB46_28:
	v_cvt_f32_u32_e32 v2, s1
	s_sub_i32 s6, 0, s1
	s_mov_b32 s31, 0
	s_delay_alu instid0(VALU_DEP_1) | instskip(SKIP_2) | instid1(VALU_DEP_1)
	v_rcp_iflag_f32_e32 v2, v2
	s_waitcnt_depctr 0xfff
	v_mul_f32_e32 v2, 0x4f7ffffe, v2
	v_cvt_u32_f32_e32 v2, v2
	s_delay_alu instid0(VALU_DEP_1) | instskip(NEXT) | instid1(VALU_DEP_1)
	v_mul_lo_u32 v23, s6, v2
	v_mul_hi_u32 v23, v2, v23
	s_delay_alu instid0(VALU_DEP_1) | instskip(NEXT) | instid1(VALU_DEP_1)
	v_add_nc_u32_e32 v2, v2, v23
	v_mul_hi_u32 v2, v0, v2
	s_delay_alu instid0(VALU_DEP_1) | instskip(SKIP_1) | instid1(VALU_DEP_2)
	v_mul_lo_u32 v23, v2, s1
	v_add_nc_u32_e32 v24, 1, v2
	v_sub_nc_u32_e32 v23, v0, v23
	s_delay_alu instid0(VALU_DEP_1) | instskip(SKIP_1) | instid1(VALU_DEP_2)
	v_subrev_nc_u32_e32 v25, s1, v23
	v_cmp_le_u32_e32 vcc_lo, s1, v23
	v_dual_cndmask_b32 v2, v2, v24 :: v_dual_cndmask_b32 v23, v23, v25
	s_delay_alu instid0(VALU_DEP_1) | instskip(NEXT) | instid1(VALU_DEP_2)
	v_add_nc_u32_e32 v24, 1, v2
	v_cmp_le_u32_e32 vcc_lo, s1, v23
	s_delay_alu instid0(VALU_DEP_2) | instskip(SKIP_2) | instid1(VALU_DEP_3)
	v_cndmask_b32_e32 v23, v2, v24, vcc_lo
	v_cmp_gt_u32_e32 vcc_lo, s13, v19
	v_mul_f32_e32 v19, 0x3c010204, v1
	v_mul_lo_u32 v2, v23, s1
	s_delay_alu instid0(VALU_DEP_1) | instskip(NEXT) | instid1(VALU_DEP_1)
	v_sub_nc_u32_e32 v2, v0, v2
	v_cmp_eq_u32_e64 s1, 0, v2
                                        ; implicit-def: $vgpr1_vgpr2
	s_delay_alu instid0(VALU_DEP_1) | instskip(SKIP_2) | instid1(SALU_CYCLE_1)
	s_and_b32 s6, s1, vcc_lo
	s_mov_b32 s1, 0
	s_and_saveexec_b32 s7, s6
	s_xor_b32 s16, exec_lo, s7
	s_cbranch_execz .LBB46_37
; %bb.29:
	s_bitcmp0_b32 s19, 0
	s_mov_b32 s10, 0
	s_cbranch_scc0 .LBB46_34
; %bb.30:
	s_ashr_i32 s1, s13, 31
	s_mul_hi_u32 s7, s13, s2
	s_mul_i32 s1, s1, s2
	s_mul_i32 s6, s13, s2
	s_add_i32 s7, s7, s1
	s_mov_b32 s19, s11
	s_delay_alu instid0(SALU_CYCLE_1) | instskip(NEXT) | instid1(SALU_CYCLE_1)
	s_or_b64 s[14:15], s[6:7], s[18:19]
	s_mov_b32 s11, s15
	s_delay_alu instid0(SALU_CYCLE_1)
	s_cmp_lg_u64 s[10:11], 0
	s_cbranch_scc0 .LBB46_45
; %bb.31:
	s_add_u32 s14, s18, s19
	s_mov_b32 s10, s19
	s_mov_b32 s11, s19
	s_addc_u32 s15, s19, s19
	s_delay_alu instid0(SALU_CYCLE_1) | instskip(NEXT) | instid1(SALU_CYCLE_1)
	s_xor_b64 s[14:15], s[14:15], s[10:11]
	v_cvt_f32_u32_e32 v1, s14
	v_cvt_f32_u32_e32 v2, s15
	s_sub_u32 s20, 0, s14
	s_subb_u32 s21, 0, s15
	s_delay_alu instid0(VALU_DEP_1) | instskip(NEXT) | instid1(VALU_DEP_1)
	v_fmamk_f32 v1, v2, 0x4f800000, v1
	v_rcp_f32_e32 v1, v1
	s_waitcnt_depctr 0xfff
	v_mul_f32_e32 v1, 0x5f7ffffc, v1
	s_delay_alu instid0(VALU_DEP_1) | instskip(NEXT) | instid1(VALU_DEP_1)
	v_mul_f32_e32 v2, 0x2f800000, v1
	v_trunc_f32_e32 v2, v2
	s_delay_alu instid0(VALU_DEP_1) | instskip(SKIP_1) | instid1(VALU_DEP_2)
	v_fmamk_f32 v1, v2, 0xcf800000, v1
	v_cvt_u32_f32_e32 v2, v2
	v_cvt_u32_f32_e32 v1, v1
	s_delay_alu instid0(VALU_DEP_2) | instskip(NEXT) | instid1(VALU_DEP_2)
	v_readfirstlane_b32 s1, v2
	v_readfirstlane_b32 s19, v1
	s_delay_alu instid0(VALU_DEP_2) | instskip(NEXT) | instid1(VALU_DEP_1)
	s_mul_i32 s22, s20, s1
	s_mul_hi_u32 s24, s20, s19
	s_mul_i32 s23, s21, s19
	s_add_i32 s22, s24, s22
	s_mul_i32 s25, s20, s19
	s_add_i32 s22, s22, s23
	s_mul_hi_u32 s24, s19, s25
	s_mul_hi_u32 s26, s1, s25
	s_mul_i32 s23, s1, s25
	s_mul_hi_u32 s25, s19, s22
	s_mul_i32 s19, s19, s22
	s_mul_hi_u32 s27, s1, s22
	s_add_u32 s19, s24, s19
	s_addc_u32 s24, 0, s25
	s_add_u32 s19, s19, s23
	s_mul_i32 s22, s1, s22
	s_addc_u32 s19, s24, s26
	s_addc_u32 s23, s27, 0
	s_add_u32 s19, s19, s22
	s_addc_u32 s22, 0, s23
	v_add_co_u32 v1, s19, v1, s19
	s_delay_alu instid0(VALU_DEP_1) | instskip(SKIP_1) | instid1(VALU_DEP_1)
	s_cmp_lg_u32 s19, 0
	s_addc_u32 s1, s1, s22
	v_readfirstlane_b32 s19, v1
	s_mul_i32 s22, s20, s1
	s_delay_alu instid0(VALU_DEP_1)
	s_mul_hi_u32 s23, s20, s19
	s_mul_i32 s21, s21, s19
	s_add_i32 s22, s23, s22
	s_mul_i32 s20, s20, s19
	s_add_i32 s22, s22, s21
	s_mul_hi_u32 s23, s1, s20
	s_mul_i32 s24, s1, s20
	s_mul_hi_u32 s20, s19, s20
	s_mul_hi_u32 s25, s19, s22
	s_mul_i32 s19, s19, s22
	s_mul_hi_u32 s21, s1, s22
	s_add_u32 s19, s20, s19
	s_addc_u32 s20, 0, s25
	s_add_u32 s19, s19, s24
	s_mul_i32 s22, s1, s22
	s_addc_u32 s19, s20, s23
	s_addc_u32 s20, s21, 0
	s_add_u32 s19, s19, s22
	s_addc_u32 s20, 0, s20
	v_add_co_u32 v1, s19, v1, s19
	s_delay_alu instid0(VALU_DEP_1) | instskip(SKIP_2) | instid1(SALU_CYCLE_1)
	s_cmp_lg_u32 s19, 0
	s_addc_u32 s1, s1, s20
	s_ashr_i32 s20, s7, 31
	s_add_u32 s22, s6, s20
	s_addc_u32 s23, s7, s20
	v_readfirstlane_b32 s7, v1
	s_mov_b32 s21, s20
	s_delay_alu instid0(SALU_CYCLE_1) | instskip(NEXT) | instid1(SALU_CYCLE_1)
	s_xor_b64 s[22:23], s[22:23], s[20:21]
	s_mul_i32 s24, s22, s1
	s_delay_alu instid0(VALU_DEP_1)
	s_mul_hi_u32 s25, s22, s7
	s_mul_hi_u32 s19, s22, s1
	;; [unrolled: 1-line block ×3, first 2 shown]
	s_mul_i32 s7, s23, s7
	s_add_u32 s24, s25, s24
	s_addc_u32 s19, 0, s19
	s_mul_hi_u32 s26, s23, s1
	s_add_u32 s7, s24, s7
	s_mul_i32 s1, s23, s1
	s_addc_u32 s7, s19, s27
	s_addc_u32 s19, s26, 0
	s_add_u32 s7, s7, s1
	s_addc_u32 s19, 0, s19
	s_mul_i32 s26, s14, s7
	s_mul_hi_u32 s1, s14, s7
	s_mul_i32 s25, s14, s19
	v_sub_co_u32 v1, s22, s22, s26
	s_mul_i32 s24, s15, s7
	s_add_i32 s1, s1, s25
	s_delay_alu instid0(SALU_CYCLE_1) | instskip(NEXT) | instid1(VALU_DEP_1)
	s_add_i32 s1, s1, s24
	v_sub_co_u32 v2, s25, v1, s14
	s_sub_i32 s24, s23, s1
	s_cmp_lg_u32 s22, 0
	s_subb_u32 s24, s24, s15
	s_cmp_lg_u32 s25, 0
	v_cmp_le_u32_e32 vcc_lo, s14, v2
	s_subb_u32 s24, s24, 0
	s_delay_alu instid0(SALU_CYCLE_1)
	s_cmp_ge_u32 s24, s15
	v_cndmask_b32_e64 v2, 0, -1, vcc_lo
	s_cselect_b32 s25, -1, 0
	s_cmp_eq_u32 s24, s15
	s_cselect_b32 vcc_lo, -1, 0
	s_add_u32 s24, s7, 1
	v_cndmask_b32_e32 v2, s25, v2, vcc_lo
	s_addc_u32 s25, s19, 0
	s_add_u32 s26, s7, 2
	s_addc_u32 s27, s19, 0
	s_cmp_lg_u32 s22, 0
	v_cmp_le_u32_e32 vcc_lo, s14, v1
	s_subb_u32 s1, s23, s1
	v_mov_b32_e32 v24, s26
	s_cmp_ge_u32 s1, s15
	v_cndmask_b32_e64 v1, 0, -1, vcc_lo
	s_cselect_b32 s14, -1, 0
	s_cmp_eq_u32 s1, s15
	v_cmp_ne_u32_e32 vcc_lo, 0, v2
	v_mov_b32_e32 v2, s27
	s_cselect_b32 s1, -1, 0
	s_xor_b64 s[10:11], s[20:21], s[10:11]
	v_cndmask_b32_e64 v1, s14, v1, s1
	v_cndmask_b32_e32 v24, s24, v24, vcc_lo
	v_cndmask_b32_e32 v2, s25, v2, vcc_lo
	s_delay_alu instid0(VALU_DEP_3) | instskip(NEXT) | instid1(VALU_DEP_2)
	v_cmp_ne_u32_e32 vcc_lo, 0, v1
	v_cndmask_b32_e32 v1, s19, v2, vcc_lo
	s_delay_alu instid0(VALU_DEP_4) | instskip(NEXT) | instid1(VALU_DEP_2)
	v_cndmask_b32_e32 v2, s7, v24, vcc_lo
	v_xor_b32_e32 v24, s11, v1
	s_delay_alu instid0(VALU_DEP_2) | instskip(NEXT) | instid1(VALU_DEP_1)
	v_xor_b32_e32 v2, s10, v2
	v_sub_co_u32 v1, vcc_lo, v2, s10
	s_delay_alu instid0(VALU_DEP_3)
	v_subrev_co_ci_u32_e32 v2, vcc_lo, s11, v24, vcc_lo
	s_cbranch_execnz .LBB46_33
.LBB46_32:
	v_cvt_f32_u32_e32 v1, s18
	s_sub_i32 s7, 0, s18
	s_delay_alu instid0(VALU_DEP_1) | instskip(SKIP_2) | instid1(VALU_DEP_1)
	v_rcp_iflag_f32_e32 v1, v1
	s_waitcnt_depctr 0xfff
	v_mul_f32_e32 v1, 0x4f7ffffe, v1
	v_cvt_u32_f32_e32 v1, v1
	s_delay_alu instid0(VALU_DEP_1) | instskip(NEXT) | instid1(VALU_DEP_1)
	v_readfirstlane_b32 s1, v1
	s_mul_i32 s7, s7, s1
	s_delay_alu instid0(SALU_CYCLE_1) | instskip(NEXT) | instid1(SALU_CYCLE_1)
	s_mul_hi_u32 s7, s1, s7
	s_add_i32 s1, s1, s7
	s_delay_alu instid0(SALU_CYCLE_1) | instskip(NEXT) | instid1(SALU_CYCLE_1)
	s_mul_hi_u32 s1, s6, s1
	s_mul_i32 s7, s1, s18
	s_delay_alu instid0(SALU_CYCLE_1)
	s_sub_i32 s6, s6, s7
	s_add_i32 s7, s1, 1
	s_sub_i32 s10, s6, s18
	s_cmp_ge_u32 s6, s18
	s_cselect_b32 s1, s7, s1
	s_cselect_b32 s6, s10, s6
	s_add_i32 s10, s1, 1
	s_cmp_ge_u32 s6, s18
	s_mov_b32 s7, 0
	s_cselect_b32 s6, s10, s1
	s_delay_alu instid0(SALU_CYCLE_1)
	v_dual_mov_b32 v1, s6 :: v_dual_mov_b32 v2, s7
.LBB46_33:
	s_delay_alu instid0(VALU_DEP_1) | instskip(NEXT) | instid1(VALU_DEP_2)
	v_add_co_u32 v1, vcc_lo, v1, v23
	v_add_co_ci_u32_e32 v2, vcc_lo, 0, v2, vcc_lo
	s_branch .LBB46_36
.LBB46_34:
                                        ; implicit-def: $vgpr1_vgpr2
	s_cbranch_execz .LBB46_36
; %bb.35:
	v_mul_lo_u32 v1, v23, s12
	s_delay_alu instid0(VALU_DEP_1) | instskip(SKIP_1) | instid1(VALU_DEP_2)
	v_ashrrev_i32_e32 v2, 31, v1
	v_add_co_u32 v1, vcc_lo, v1, s2
	v_add_co_ci_u32_e32 v2, vcc_lo, 0, v2, vcc_lo
.LBB46_36:
	s_mov_b32 s1, exec_lo
.LBB46_37:
	s_or_b32 exec_lo, exec_lo, s16
	s_delay_alu instid0(SALU_CYCLE_1)
	s_and_b32 vcc_lo, exec_lo, s31
	s_cbranch_vccz .LBB46_41
.LBB46_38:
	v_mov_b32_dpp v1, v22 quad_perm:[1,0,3,2] row_mask:0xf bank_mask:0xf
	s_delay_alu instid0(VALU_DEP_1) | instskip(SKIP_1) | instid1(VALU_DEP_1)
	v_cmp_gt_f32_e32 vcc_lo, v22, v1
	v_cndmask_b32_e32 v1, v1, v22, vcc_lo
	v_mov_b32_dpp v2, v1 quad_perm:[2,3,0,1] row_mask:0xf bank_mask:0xf
	s_delay_alu instid0(VALU_DEP_1) | instskip(SKIP_1) | instid1(VALU_DEP_1)
	v_cmp_gt_f32_e32 vcc_lo, v1, v2
	v_cndmask_b32_e32 v1, v2, v1, vcc_lo
	v_mov_b32_dpp v2, v1 row_xmask:7 row_mask:0xf bank_mask:0xf
	s_delay_alu instid0(VALU_DEP_1) | instskip(SKIP_1) | instid1(VALU_DEP_1)
	v_cmp_gt_f32_e32 vcc_lo, v1, v2
	v_cndmask_b32_e32 v1, v2, v1, vcc_lo
	v_mov_b32_dpp v2, v1 row_xmask:15 row_mask:0xf bank_mask:0xf
	s_delay_alu instid0(VALU_DEP_1)
	v_cmp_gt_f32_e32 vcc_lo, v1, v2
	s_and_saveexec_b32 s1, s0
	s_cbranch_execz .LBB46_40
; %bb.39:
	v_cndmask_b32_e32 v1, v2, v1, vcc_lo
	v_lshrrev_b32_e32 v2, 3, v0
	s_mov_b32 s0, 0x76543210
	s_delay_alu instid0(VALU_DEP_1) | instskip(NEXT) | instid1(VALU_DEP_3)
	v_and_b32_e32 v2, 0x7c, v2
	v_permlanex16_b32 v19, v1, s0, 0xfedcba98 op_sel:[1,1]
	s_delay_alu instid0(VALU_DEP_1)
	v_cmp_gt_f32_e32 vcc_lo, v1, v19
	v_cndmask_b32_e32 v1, v19, v1, vcc_lo
	ds_store_b32 v2, v1
.LBB46_40:
	s_or_b32 exec_lo, exec_lo, s1
	s_waitcnt lgkmcnt(0)
	s_barrier
	buffer_gl0_inv
	ds_load_b32 v1, v10
	v_cmp_eq_u32_e64 s1, 0, v0
	s_waitcnt lgkmcnt(0)
	v_mov_b32_dpp v2, v1 quad_perm:[1,0,3,2] row_mask:0xf bank_mask:0xf
	s_delay_alu instid0(VALU_DEP_1) | instskip(SKIP_1) | instid1(VALU_DEP_1)
	v_cmp_gt_f32_e32 vcc_lo, v1, v2
	v_cndmask_b32_e32 v1, v2, v1, vcc_lo
	v_mov_b32_dpp v2, v1 quad_perm:[2,3,0,1] row_mask:0xf bank_mask:0xf
	s_delay_alu instid0(VALU_DEP_1) | instskip(SKIP_1) | instid1(VALU_DEP_1)
	v_cmp_gt_f32_e32 vcc_lo, v1, v2
	v_cndmask_b32_e32 v1, v2, v1, vcc_lo
	v_mov_b32_dpp v2, v1 row_xmask:7 row_mask:0xf bank_mask:0xf
	s_delay_alu instid0(VALU_DEP_1) | instskip(SKIP_1) | instid1(VALU_DEP_1)
	v_cmp_gt_f32_e32 vcc_lo, v1, v2
	v_cndmask_b32_e32 v1, v2, v1, vcc_lo
	v_mul_f32_e32 v19, 0x3c010204, v1
	v_dual_mov_b32 v1, s2 :: v_dual_mov_b32 v2, s3
.LBB46_41:
	s_and_saveexec_b32 s0, s1
	s_cbranch_execz .LBB46_43
; %bb.42:
	s_delay_alu instid0(VALU_DEP_1) | instskip(NEXT) | instid1(VALU_DEP_1)
	v_lshlrev_b64 v[0:1], 2, v[1:2]
	v_add_co_u32 v0, vcc_lo, s8, v0
	s_delay_alu instid0(VALU_DEP_2)
	v_add_co_ci_u32_e32 v1, vcc_lo, s9, v1, vcc_lo
	global_store_b32 v[0:1], v19, off
.LBB46_43:
	s_or_b32 exec_lo, exec_lo, s0
	;;#ASMSTART
	v_rcp_f32 v0, v19
	;;#ASMEND
	v_mul_f32_e32 v16, v16, v0
	v_mul_f32_e32 v15, v15, v0
	;; [unrolled: 1-line block ×5, first 2 shown]
	v_cvt_i32_f32_e32 v16, v16
	v_cvt_i32_f32_e32 v15, v15
	v_mul_f32_e32 v10, v18, v0
	v_cvt_i32_f32_e32 v11, v11
	v_mul_f32_e32 v6, v6, v0
	v_lshlrev_b16 v16, 8, v16
	v_and_b32_e32 v15, 0xff, v15
	v_cvt_i32_f32_e32 v10, v10
	v_and_b32_e32 v11, 0xff, v11
	v_cvt_i32_f32_e32 v6, v6
	v_cvt_i32_f32_e32 v5, v5
	v_or_b32_e32 v15, v15, v16
	v_mul_f32_e32 v17, v17, v0
	v_lshlrev_b16 v10, 8, v10
	s_delay_alu instid0(VALU_DEP_4) | instskip(SKIP_1) | instid1(VALU_DEP_4)
	v_dual_mul_f32 v8, v8, v0 :: v_dual_and_b32 v5, 0xff, v5
	v_lshlrev_b16 v6, 8, v6
	v_cvt_i32_f32_e32 v17, v17
	v_mul_f32_e32 v2, v20, v0
	v_mul_f32_e32 v13, v13, v0
	;; [unrolled: 1-line block ×3, first 2 shown]
	v_or_b32_e32 v5, v5, v6
	v_and_b32_e32 v17, 0xff, v17
	v_cvt_i32_f32_e32 v2, v2
	s_add_i32 s0, s13, 3
	s_ashr_i32 s1, s17, 31
	s_ashr_i32 s3, s0, 31
	v_or_b32_e32 v10, v17, v10
	v_mul_f32_e32 v1, v21, v0
	v_lshlrev_b16 v2, 8, v2
	s_lshr_b32 s3, s3, 30
	s_mul_hi_u32 s6, s17, s2
	s_add_i32 s0, s0, s3
	v_cvt_i32_f32_e32 v1, v1
	s_mul_i32 s1, s1, s2
	s_mul_i32 s7, s17, s2
	s_and_b32 s2, s0, -4
	s_add_i32 s6, s6, s1
	v_and_b32_e32 v1, 0xff, v1
	s_add_u32 s0, s4, s7
	s_addc_u32 s1, s5, s6
	s_mov_b32 s3, -1
	s_and_b32 s1, s1, 0xffff
	v_or_b32_e32 v1, v1, v2
	v_and_b32_e32 v2, 0xffff, v10
	v_mul_f32_e32 v14, v14, v0
	v_lshlrev_b32_e32 v10, 16, v15
	v_and_b32_e32 v5, 0xffff, v5
	v_and_b32_e32 v15, 0xffff, v1
	s_movk_i32 s4, 0x100
	v_cvt_i32_f32_e32 v14, v14
	v_mul_f32_e32 v12, v12, v0
	v_mul_f32_e32 v0, v3, v0
	v_cvt_i32_f32_e32 v3, v7
	v_cvt_i32_f32_e32 v7, v8
	s_delay_alu instid0(VALU_DEP_4) | instskip(NEXT) | instid1(VALU_DEP_4)
	v_cvt_i32_f32_e32 v12, v12
	v_cvt_i32_f32_e32 v0, v0
	s_delay_alu instid0(VALU_DEP_4) | instskip(SKIP_4) | instid1(VALU_DEP_4)
	v_and_b32_e32 v3, 0xff, v3
	v_cvt_i32_f32_e32 v4, v4
	v_lshlrev_b16 v7, 8, v7
	v_lshlrev_b16 v8, 8, v12
	v_and_b32_e32 v0, 0xff, v0
	v_lshlrev_b16 v4, 8, v4
	s_delay_alu instid0(VALU_DEP_4) | instskip(NEXT) | instid1(VALU_DEP_2)
	v_or_b32_e32 v3, v3, v7
	v_or_b32_e32 v0, v0, v4
	;; [unrolled: 1-line block ×3, first 2 shown]
	s_delay_alu instid0(VALU_DEP_3) | instskip(SKIP_1) | instid1(VALU_DEP_4)
	v_lshlrev_b32_e32 v8, 16, v3
	v_cvt_i32_f32_e32 v13, v13
	v_lshlrev_b32_e32 v7, 16, v0
	s_delay_alu instid0(VALU_DEP_4) | instskip(NEXT) | instid1(VALU_DEP_3)
	v_and_b32_e32 v4, 0xffff, v4
	v_lshlrev_b16 v1, 8, v13
	v_and_b32_e32 v13, 0xff, v14
	s_delay_alu instid0(VALU_DEP_4) | instskip(NEXT) | instid1(VALU_DEP_2)
	v_or_b32_e32 v3, v5, v7
	v_or_b32_e32 v1, v13, v1
	s_delay_alu instid0(VALU_DEP_1) | instskip(SKIP_2) | instid1(VALU_DEP_3)
	v_lshlrev_b32_e32 v6, 16, v1
	v_or_b32_e32 v1, v2, v10
	v_or_b32_e32 v2, v4, v8
	;; [unrolled: 1-line block ×3, first 2 shown]
	buffer_store_b64 v[0:1], v9, s[0:3], 0 offen
	;;#ASMSTART
	s_nop 0
	;;#ASMEND
	buffer_store_b64 v[2:3], v9, s[0:3], s4 offen
	;;#ASMSTART
	s_nop 0
	;;#ASMEND
.LBB46_44:
	s_nop 0
	s_sendmsg sendmsg(MSG_DEALLOC_VGPRS)
	s_endpgm
.LBB46_45:
                                        ; implicit-def: $vgpr1_vgpr2
	s_branch .LBB46_32
	.section	.rodata,"a",@progbits
	.p2align	6, 0x0
	.amdhsa_kernel _ZN5aiter24add_rmsnorm_quant_kernelItaLi256ELi16ELb1ELb1ELb1ELi1EEEvPT0_PT_PfS4_S4_S4_diiiiiiib
		.amdhsa_group_segment_fixed_size 64
		.amdhsa_private_segment_fixed_size 0
		.amdhsa_kernarg_size 88
		.amdhsa_user_sgpr_count 15
		.amdhsa_user_sgpr_dispatch_ptr 0
		.amdhsa_user_sgpr_queue_ptr 0
		.amdhsa_user_sgpr_kernarg_segment_ptr 1
		.amdhsa_user_sgpr_dispatch_id 0
		.amdhsa_user_sgpr_private_segment_size 0
		.amdhsa_wavefront_size32 1
		.amdhsa_uses_dynamic_stack 0
		.amdhsa_enable_private_segment 0
		.amdhsa_system_sgpr_workgroup_id_x 1
		.amdhsa_system_sgpr_workgroup_id_y 0
		.amdhsa_system_sgpr_workgroup_id_z 0
		.amdhsa_system_sgpr_workgroup_info 0
		.amdhsa_system_vgpr_workitem_id 0
		.amdhsa_next_free_vgpr 43
		.amdhsa_next_free_sgpr 40
		.amdhsa_reserve_vcc 1
		.amdhsa_float_round_mode_32 0
		.amdhsa_float_round_mode_16_64 0
		.amdhsa_float_denorm_mode_32 3
		.amdhsa_float_denorm_mode_16_64 3
		.amdhsa_dx10_clamp 1
		.amdhsa_ieee_mode 1
		.amdhsa_fp16_overflow 0
		.amdhsa_workgroup_processor_mode 1
		.amdhsa_memory_ordered 1
		.amdhsa_forward_progress 0
		.amdhsa_shared_vgpr_count 0
		.amdhsa_exception_fp_ieee_invalid_op 0
		.amdhsa_exception_fp_denorm_src 0
		.amdhsa_exception_fp_ieee_div_zero 0
		.amdhsa_exception_fp_ieee_overflow 0
		.amdhsa_exception_fp_ieee_underflow 0
		.amdhsa_exception_fp_ieee_inexact 0
		.amdhsa_exception_int_div_zero 0
	.end_amdhsa_kernel
	.section	.text._ZN5aiter24add_rmsnorm_quant_kernelItaLi256ELi16ELb1ELb1ELb1ELi1EEEvPT0_PT_PfS4_S4_S4_diiiiiiib,"axG",@progbits,_ZN5aiter24add_rmsnorm_quant_kernelItaLi256ELi16ELb1ELb1ELb1ELi1EEEvPT0_PT_PfS4_S4_S4_diiiiiiib,comdat
.Lfunc_end46:
	.size	_ZN5aiter24add_rmsnorm_quant_kernelItaLi256ELi16ELb1ELb1ELb1ELi1EEEvPT0_PT_PfS4_S4_S4_diiiiiiib, .Lfunc_end46-_ZN5aiter24add_rmsnorm_quant_kernelItaLi256ELi16ELb1ELb1ELb1ELi1EEEvPT0_PT_PfS4_S4_S4_diiiiiiib
                                        ; -- End function
	.section	.AMDGPU.csdata,"",@progbits
; Kernel info:
; codeLenInByte = 4428
; NumSgprs: 42
; NumVgprs: 43
; ScratchSize: 0
; MemoryBound: 0
; FloatMode: 240
; IeeeMode: 1
; LDSByteSize: 64 bytes/workgroup (compile time only)
; SGPRBlocks: 5
; VGPRBlocks: 5
; NumSGPRsForWavesPerEU: 42
; NumVGPRsForWavesPerEU: 43
; Occupancy: 16
; WaveLimiterHint : 0
; COMPUTE_PGM_RSRC2:SCRATCH_EN: 0
; COMPUTE_PGM_RSRC2:USER_SGPR: 15
; COMPUTE_PGM_RSRC2:TRAP_HANDLER: 0
; COMPUTE_PGM_RSRC2:TGID_X_EN: 1
; COMPUTE_PGM_RSRC2:TGID_Y_EN: 0
; COMPUTE_PGM_RSRC2:TGID_Z_EN: 0
; COMPUTE_PGM_RSRC2:TIDIG_COMP_CNT: 0
	.section	.text._ZN5aiter24add_rmsnorm_quant_kernelIDF16_aLi256ELi16ELb1ELb1ELb0ELi1EEEvPT0_PT_PfS4_S4_S4_diiiiiiib,"axG",@progbits,_ZN5aiter24add_rmsnorm_quant_kernelIDF16_aLi256ELi16ELb1ELb1ELb0ELi1EEEvPT0_PT_PfS4_S4_S4_diiiiiiib,comdat
	.protected	_ZN5aiter24add_rmsnorm_quant_kernelIDF16_aLi256ELi16ELb1ELb1ELb0ELi1EEEvPT0_PT_PfS4_S4_S4_diiiiiiib ; -- Begin function _ZN5aiter24add_rmsnorm_quant_kernelIDF16_aLi256ELi16ELb1ELb1ELb0ELi1EEEvPT0_PT_PfS4_S4_S4_diiiiiiib
	.globl	_ZN5aiter24add_rmsnorm_quant_kernelIDF16_aLi256ELi16ELb1ELb1ELb0ELi1EEEvPT0_PT_PfS4_S4_S4_diiiiiiib
	.p2align	8
	.type	_ZN5aiter24add_rmsnorm_quant_kernelIDF16_aLi256ELi16ELb1ELb1ELb0ELi1EEEvPT0_PT_PfS4_S4_S4_diiiiiiib,@function
_ZN5aiter24add_rmsnorm_quant_kernelIDF16_aLi256ELi16ELb1ELb1ELb0ELi1EEEvPT0_PT_PfS4_S4_S4_diiiiiiib: ; @_ZN5aiter24add_rmsnorm_quant_kernelIDF16_aLi256ELi16ELb1ELb1ELb0ELi1EEEvPT0_PT_PfS4_S4_S4_diiiiiiib
; %bb.0:
	s_mov_b32 s34, s15
	s_load_b256 s[12:19], s[0:1], 0x38
	s_mov_b32 s35, 0
	s_waitcnt lgkmcnt(0)
	s_ashr_i32 s3, s12, 31
	s_mov_b32 s2, s12
	s_delay_alu instid0(SALU_CYCLE_1) | instskip(NEXT) | instid1(VALU_DEP_1)
	v_cmp_ge_i64_e64 s2, s[34:35], s[2:3]
	s_and_b32 vcc_lo, exec_lo, s2
	s_cbranch_vccnz .LBB47_44
; %bb.1:
	s_clause 0x1
	s_load_b256 s[4:11], s[0:1], 0x0
	s_load_b256 s[20:27], s[0:1], 0x20
	s_ashr_i32 s1, s14, 31
	s_mul_hi_u32 s2, s14, s34
	s_mul_i32 s1, s1, s34
	s_mul_i32 s0, s14, s34
	s_add_i32 s1, s2, s1
	s_mul_hi_u32 s3, s15, s34
	s_lshl_b64 s[0:1], s[0:1], 1
	v_lshlrev_b32_e32 v35, 5, v0
	s_mul_i32 s2, s15, s34
	s_mov_b32 s31, -1
	v_and_b32_e32 v36, 31, v0
	s_waitcnt lgkmcnt(0)
	s_add_u32 s28, s10, s0
	s_addc_u32 s0, s11, s1
	s_add_i32 s10, s13, 1
	s_ashr_i32 s11, s15, 31
	s_lshr_b32 s14, s10, 31
	s_mul_i32 s11, s11, s34
	s_add_i32 s10, s10, s14
	s_and_b32 s29, s0, 0xffff
	s_lshl_b32 s0, s10, 1
	s_add_i32 s3, s3, s11
	s_and_b32 s30, s0, -4
	s_lshl_b64 s[2:3], s[2:3], 1
	s_and_b32 s1, s23, 0xffff
	s_clause 0x1
	buffer_load_b128 v[13:16], v35, s[28:31], 0 offen
	buffer_load_b128 v[21:24], v35, s[28:31], 16 offen
	s_add_u32 s28, s20, s2
	s_addc_u32 s0, s21, s3
	s_mov_b32 s3, s31
	s_and_b32 s29, s0, 0xffff
	s_clause 0x1
	buffer_load_b128 v[17:20], v35, s[28:31], 0 offen
	buffer_load_b128 v[25:28], v35, s[28:31], 16 offen
	s_mov_b32 s0, s22
	s_mov_b32 s2, s30
	s_waitcnt vmcnt(3)
	v_cvt_f32_f16_e32 v12, v13
	v_lshrrev_b32_e32 v9, 16, v13
	v_cvt_f32_f16_e32 v13, v14
	s_waitcnt vmcnt(1)
	v_lshrrev_b32_e32 v10, 16, v17
	v_cvt_f32_f16_e32 v17, v17
	v_cvt_f32_f16_e32 v9, v9
	s_delay_alu instid0(VALU_DEP_3) | instskip(NEXT) | instid1(VALU_DEP_3)
	v_cvt_f32_f16_e32 v10, v10
	v_add_f32_e32 v12, v12, v17
	s_clause 0x1
	buffer_load_b128 v[5:8], v35, s[0:3], 0 offen
	buffer_load_b128 v[1:4], v35, s[0:3], 16 offen
	v_cvt_f32_f16_e32 v17, v15
	s_ashr_i32 s0, s16, 31
	v_add_f32_e32 v11, v9, v10
	v_lshrrev_b32_e32 v9, 16, v14
	v_cvt_f32_f16_e32 v10, v18
	v_lshrrev_b32_e32 v14, 16, v18
	v_lshrrev_b32_e32 v18, 16, v19
	s_mul_hi_u32 s1, s16, s34
	v_cvt_f32_f16_e32 v9, v9
	v_add_f32_e32 v13, v13, v10
	v_cvt_f32_f16_e32 v14, v14
	v_lshrrev_b32_e32 v10, 16, v15
	v_cvt_f32_f16_e32 v15, v19
	v_cvt_f32_f16_e32 v18, v18
	;; [unrolled: 1-line block ×3, first 2 shown]
	v_lshrrev_b32_e32 v20, 16, v20
	v_cvt_f32_f16_e32 v10, v10
	v_add_f32_e32 v15, v17, v15
	v_add_f32_e32 v14, v9, v14
	v_cvt_f32_f16_e32 v9, v16
	v_lshrrev_b32_e32 v17, 16, v16
	v_add_f32_e32 v16, v10, v18
	v_cvt_f32_f16_e32 v10, v21
	v_cvt_f32_f16_e32 v20, v20
	s_mul_i32 s2, s0, s34
	v_cvt_f32_f16_e32 v18, v17
	v_add_f32_e32 v17, v9, v19
	v_lshrrev_b32_e32 v9, 16, v21
	s_waitcnt vmcnt(2)
	v_cvt_f32_f16_e32 v19, v25
	v_lshrrev_b32_e32 v21, 16, v25
	v_add_f32_e32 v18, v18, v20
	v_cvt_f32_f16_e32 v25, v22
	v_cvt_f32_f16_e32 v9, v9
	v_add_f32_e32 v19, v10, v19
	v_cvt_f32_f16_e32 v20, v21
	v_mul_f32_e32 v29, v11, v11
	v_lshrrev_b32_e32 v10, 16, v22
	v_lshrrev_b32_e32 v22, 16, v26
	v_cvt_f32_f16_e32 v21, v26
	v_add_f32_e32 v20, v9, v20
	v_cvt_f32_f16_e32 v9, v23
	v_cvt_f32_f16_e32 v10, v10
	;; [unrolled: 1-line block ×3, first 2 shown]
	v_fmac_f32_e32 v29, v12, v12
	v_lshrrev_b32_e32 v23, 16, v23
	v_lshrrev_b32_e32 v26, 16, v27
	s_delay_alu instid0(VALU_DEP_4) | instskip(SKIP_1) | instid1(VALU_DEP_4)
	v_dual_add_f32 v21, v25, v21 :: v_dual_add_f32 v22, v10, v22
	v_cvt_f32_f16_e32 v25, v27
	v_cvt_f32_f16_e32 v27, v23
	s_delay_alu instid0(VALU_DEP_4)
	v_cvt_f32_f16_e32 v26, v26
	v_fmac_f32_e32 v29, v13, v13
	v_cvt_f32_f16_e32 v10, v24
	v_add_f32_e32 v23, v9, v25
	v_lshrrev_b32_e32 v9, 16, v24
	v_add_f32_e32 v24, v27, v26
	v_fmac_f32_e32 v29, v14, v14
	v_cvt_f32_f16_e32 v25, v28
	v_lshrrev_b32_e32 v28, 16, v28
	v_cvt_f32_f16_e32 v9, v9
	s_mul_i32 s0, s16, s34
	v_fmac_f32_e32 v29, v15, v15
	v_add_f32_e32 v25, v10, v25
	v_cvt_f32_f16_e32 v26, v28
	s_add_i32 s1, s1, s2
	v_cvt_f16_f32_e32 v10, v12
	v_fmac_f32_e32 v29, v16, v16
	s_lshl_b64 s[0:1], s[0:1], 1
	v_add_f32_e32 v26, v9, v26
	v_cvt_f16_f32_e32 v27, v13
	v_cvt_f16_f32_e32 v28, v15
	v_fmac_f32_e32 v29, v17, v17
	v_cvt_f16_f32_e32 v30, v17
	v_cvt_f16_f32_e32 v31, v19
	v_cvt_f16_f32_e32 v32, v21
	v_cvt_f16_f32_e32 v33, v23
	v_fmac_f32_e32 v29, v18, v18
	v_cvt_f16_f32_e32 v34, v25
	v_cvt_f16_f32_e32 v37, v11
	;; [unrolled: 5-line block ×3, first 2 shown]
	v_cvt_f16_f32_e32 v42, v22
	v_cvt_f16_f32_e32 v43, v24
	v_fmac_f32_e32 v29, v20, v20
	v_cvt_f16_f32_e32 v44, v26
	s_add_u32 s28, s6, s0
	s_addc_u32 s0, s7, s1
	v_pack_b32_f16 v30, v30, v40
	v_fmac_f32_e32 v29, v21, v21
	s_and_b32 s29, s0, 0xffff
	v_pack_b32_f16 v34, v34, v44
	v_pack_b32_f16 v33, v33, v43
	;; [unrolled: 1-line block ×3, first 2 shown]
	v_fmac_f32_e32 v29, v22, v22
	v_pack_b32_f16 v31, v31, v41
	v_cmp_eq_u32_e64 s0, 31, v36
	s_delay_alu instid0(VALU_DEP_3) | instskip(NEXT) | instid1(VALU_DEP_1)
	v_fmac_f32_e32 v29, v23, v23
	v_fmac_f32_e32 v29, v24, v24
	s_delay_alu instid0(VALU_DEP_1) | instskip(NEXT) | instid1(VALU_DEP_1)
	v_fmac_f32_e32 v29, v25, v25
	v_fmac_f32_e32 v29, v26, v26
	s_delay_alu instid0(VALU_DEP_1) | instskip(NEXT) | instid1(VALU_DEP_1)
	v_mov_b32_dpp v9, v29 quad_perm:[1,0,3,2] row_mask:0xf bank_mask:0xf
	v_add_f32_e32 v9, v29, v9
	s_delay_alu instid0(VALU_DEP_1) | instskip(NEXT) | instid1(VALU_DEP_1)
	v_mov_b32_dpp v29, v9 quad_perm:[2,3,0,1] row_mask:0xf bank_mask:0xf
	v_add_f32_e32 v9, v9, v29
	v_pack_b32_f16 v29, v28, v39
	v_pack_b32_f16 v28, v27, v38
	;; [unrolled: 1-line block ×3, first 2 shown]
	s_delay_alu instid0(VALU_DEP_4)
	v_mov_b32_dpp v45, v9 row_xmask:7 row_mask:0xf bank_mask:0xf
	buffer_store_b128 v[27:30], v35, s[28:31], 0 offen
	;;#ASMSTART
	s_nop 0
	;;#ASMEND
	v_add_f32_e32 v9, v9, v45
	buffer_store_b128 v[31:34], v35, s[28:31], 16 offen
	;;#ASMSTART
	s_nop 0
	;;#ASMEND
	v_mov_b32_dpp v10, v9 row_xmask:15 row_mask:0xf bank_mask:0xf
	s_and_saveexec_b32 s1, s0
	s_cbranch_execz .LBB47_3
; %bb.2:
	s_delay_alu instid0(VALU_DEP_1) | instskip(SKIP_2) | instid1(VALU_DEP_2)
	v_add_f32_e32 v9, v9, v10
	s_mov_b32 s2, 0x76543210
	v_lshrrev_b32_e32 v10, 3, v0
	v_permlanex16_b32 v27, v9, s2, 0xfedcba98 op_sel:[1,1]
	s_delay_alu instid0(VALU_DEP_1)
	v_dual_add_f32 v9, v9, v27 :: v_dual_and_b32 v10, 0x7c, v10
	ds_store_b32 v10, v9 offset:32
.LBB47_3:
	s_or_b32 exec_lo, exec_lo, s1
	v_and_b32_e32 v9, 7, v0
	s_waitcnt vmcnt(0) lgkmcnt(0)
	s_waitcnt_vscnt null, 0x0
	s_barrier
	buffer_gl0_inv
	v_cvt_f32_i32_e32 v28, s13
	v_lshlrev_b32_e32 v10, 2, v9
	v_cvt_f32_f16_e32 v34, v3
	v_lshrrev_b32_e32 v3, 16, v3
	v_cvt_f32_f16_e32 v35, v4
	v_lshrrev_b32_e32 v4, 16, v4
	ds_load_b32 v9, v10 offset:32
	v_cvt_f32_f16_e32 v33, v2
	v_lshrrev_b32_e32 v2, 16, v2
	s_cmp_lg_u32 s18, 0
	v_cvt_f32_f16_e32 v38, v4
	v_mov_b32_e32 v36, 0x2edbe6ff
	s_delay_alu instid0(VALU_DEP_3) | instskip(SKIP_2) | instid1(VALU_DEP_1)
	v_cvt_f32_f16_e32 v2, v2
	s_waitcnt lgkmcnt(0)
	v_mov_b32_dpp v27, v9 quad_perm:[1,0,3,2] row_mask:0xf bank_mask:0xf
	v_add_f32_e32 v9, v9, v27
	s_delay_alu instid0(VALU_DEP_1) | instskip(NEXT) | instid1(VALU_DEP_1)
	v_mov_b32_dpp v27, v9 quad_perm:[2,3,0,1] row_mask:0xf bank_mask:0xf
	v_add_f32_e32 v9, v9, v27
	s_delay_alu instid0(VALU_DEP_1) | instskip(NEXT) | instid1(VALU_DEP_1)
	v_mov_b32_dpp v27, v9 row_xmask:7 row_mask:0xf bank_mask:0xf
	v_add_f32_e32 v9, v9, v27
	s_delay_alu instid0(VALU_DEP_1) | instskip(SKIP_1) | instid1(VALU_DEP_2)
	v_div_scale_f32 v27, null, v28, v28, v9
	v_div_scale_f32 v31, vcc_lo, v9, v28, v9
	v_rcp_f32_e32 v29, v27
	s_waitcnt_depctr 0xfff
	v_fma_f32 v30, -v27, v29, 1.0
	s_delay_alu instid0(VALU_DEP_1) | instskip(NEXT) | instid1(VALU_DEP_1)
	v_fmac_f32_e32 v29, v30, v29
	v_mul_f32_e32 v30, v31, v29
	s_delay_alu instid0(VALU_DEP_1) | instskip(NEXT) | instid1(VALU_DEP_1)
	v_fma_f32 v32, -v27, v30, v31
	v_fmac_f32_e32 v30, v32, v29
	v_cvt_f32_f16_e32 v32, v1
	v_lshrrev_b32_e32 v1, 16, v1
	s_delay_alu instid0(VALU_DEP_3) | instskip(SKIP_2) | instid1(VALU_DEP_4)
	v_fma_f32 v27, -v27, v30, v31
	v_cvt_f32_f16_e32 v31, v8
	v_lshrrev_b32_e32 v8, 16, v8
	v_cvt_f32_f16_e32 v1, v1
	s_delay_alu instid0(VALU_DEP_4) | instskip(SKIP_3) | instid1(VALU_DEP_4)
	v_div_fmas_f32 v27, v27, v29, v30
	v_cvt_f32_f16_e32 v30, v6
	v_lshrrev_b32_e32 v6, 16, v6
	v_cvt_f32_f16_e32 v8, v8
	v_div_fixup_f32 v9, v27, v28, v9
	s_delay_alu instid0(VALU_DEP_3) | instskip(NEXT) | instid1(VALU_DEP_2)
	v_cvt_f32_f16_e32 v6, v6
	v_cvt_f64_f32_e32 v[27:28], v9
	s_delay_alu instid0(VALU_DEP_1) | instskip(NEXT) | instid1(VALU_DEP_1)
	v_add_f64 v[27:28], v[27:28], s[24:25]
	v_cvt_f32_f64_e32 v27, v[27:28]
	v_cvt_f32_f16_e32 v28, v5
	v_lshrrev_b32_e32 v5, 16, v5
	s_delay_alu instid0(VALU_DEP_1) | instskip(NEXT) | instid1(VALU_DEP_4)
	v_cvt_f32_f16_e32 v5, v5
	v_mul_f32_e32 v29, 0x4b800000, v27
	v_cmp_gt_f32_e32 vcc_lo, 0x800000, v27
	s_delay_alu instid0(VALU_DEP_2) | instskip(SKIP_2) | instid1(VALU_DEP_3)
	v_cndmask_b32_e32 v27, v27, v29, vcc_lo
	v_cvt_f32_f16_e32 v29, v7
	v_lshrrev_b32_e32 v7, 16, v7
	v_rsq_f32_e32 v27, v27
	s_delay_alu instid0(VALU_DEP_1) | instskip(SKIP_2) | instid1(VALU_DEP_1)
	v_cvt_f32_f16_e32 v7, v7
	s_waitcnt_depctr 0xfff
	v_mul_f32_e32 v37, 0x45800000, v27
	v_cndmask_b32_e32 v27, v27, v37, vcc_lo
	v_lshlrev_b32_e32 v9, 4, v0
	v_cvt_f32_f16_e32 v37, v3
	s_delay_alu instid0(VALU_DEP_3) | instskip(SKIP_3) | instid1(VALU_DEP_2)
	v_mul_f32_e32 v3, v12, v27
	v_mul_f32_e32 v12, v14, v27
	;; [unrolled: 1-line block ×5, first 2 shown]
	s_delay_alu instid0(VALU_DEP_2)
	v_dual_mul_f32 v14, v40, v8 :: v_dual_mul_f32 v23, v23, v27
	v_mul_f32_e32 v26, v26, v27
	v_mul_f32_e32 v39, v17, v27
	;; [unrolled: 1-line block ×8, first 2 shown]
	s_delay_alu instid0(VALU_DEP_4) | instskip(SKIP_2) | instid1(VALU_DEP_3)
	v_dual_mul_f32 v13, v15, v27 :: v_dual_mul_f32 v8, v24, v37
	v_mul_f32_e32 v42, v20, v27
	v_dual_mul_f32 v20, v4, v5 :: v_dual_mul_f32 v41, v19, v27
	v_mul_f32_e32 v15, v13, v29
	s_delay_alu instid0(VALU_DEP_3)
	v_dual_mul_f32 v25, v25, v27 :: v_dual_mul_f32 v12, v42, v1
	v_dual_mul_f32 v19, v3, v28 :: v_dual_mul_f32 v4, v22, v2
	v_mul_f32_e32 v18, v11, v30
	v_dual_mul_f32 v7, v23, v34 :: v_dual_and_b32 v24, 0x7fffffff, v16
	v_mul_f32_e32 v6, v26, v38
	v_dual_mul_f32 v13, v39, v31 :: v_dual_and_b32 v26, 0x7fffffff, v14
	v_and_b32_e32 v28, 0x7fffffff, v12
	v_and_b32_e32 v1, 0x7fffffff, v19
	;; [unrolled: 1-line block ×3, first 2 shown]
	v_dual_mul_f32 v11, v41, v32 :: v_dual_and_b32 v22, 0x7fffffff, v17
	v_mul_f32_e32 v3, v21, v33
	;;#ASMSTART
	v_max3_f32 v1, v36, v1, v2

	;;#ASMEND
	v_dual_mul_f32 v5, v25, v35 :: v_dual_and_b32 v30, 0x7fffffff, v4
	v_and_b32_e32 v21, 0x7fffffff, v18
	;;#ASMSTART
	v_max3_f32 v1, v1, v21, v22

	;;#ASMEND
	v_and_b32_e32 v23, 0x7fffffff, v15
	;;#ASMSTART
	v_max3_f32 v1, v1, v23, v24

	;;#ASMEND
	;; [unrolled: 5-line block ×5, first 2 shown]
	v_and_b32_e32 v31, 0x7fffffff, v7
	v_and_b32_e32 v32, 0x7fffffff, v8
	;; [unrolled: 1-line block ×4, first 2 shown]
	;;#ASMSTART
	v_max3_f32 v1, v1, v31, v32

	;;#ASMEND
	;;#ASMSTART
	v_max3_f32 v21, v1, v33, v34

	;;#ASMEND
	s_cbranch_scc0 .LBB47_10
; %bb.4:
	s_ashr_i32 s7, s18, 31
	s_delay_alu instid0(SALU_CYCLE_1) | instskip(NEXT) | instid1(SALU_CYCLE_1)
	s_lshr_b32 s1, s7, 28
	s_add_i32 s1, s18, s1
	s_delay_alu instid0(SALU_CYCLE_1) | instskip(NEXT) | instid1(SALU_CYCLE_1)
	s_ashr_i32 s1, s1, 4
	s_cmp_lt_i32 s1, 8
	s_cbranch_scc1 .LBB47_11
; %bb.5:
	s_cmp_lt_i32 s1, 16
	s_cbranch_scc1 .LBB47_12
; %bb.6:
	;; [unrolled: 3-line block ×3, first 2 shown]
	v_mov_b32_e32 v1, v21
	s_cmp_eq_u32 s1, 32
	s_cbranch_scc0 .LBB47_9
; %bb.8:
	s_delay_alu instid0(VALU_DEP_1) | instskip(SKIP_1) | instid1(VALU_DEP_1)
	v_mov_b32_dpp v1, v21 quad_perm:[1,0,3,2] row_mask:0xf bank_mask:0xf
	s_mov_b32 s2, 0x76543210
	v_cmp_gt_f32_e32 vcc_lo, v21, v1
	v_cndmask_b32_e32 v1, v1, v21, vcc_lo
	s_delay_alu instid0(VALU_DEP_1) | instskip(NEXT) | instid1(VALU_DEP_1)
	v_mov_b32_dpp v2, v1 quad_perm:[2,3,0,1] row_mask:0xf bank_mask:0xf
	v_cmp_gt_f32_e32 vcc_lo, v1, v2
	v_cndmask_b32_e32 v1, v2, v1, vcc_lo
	s_delay_alu instid0(VALU_DEP_1) | instskip(NEXT) | instid1(VALU_DEP_1)
	v_mov_b32_dpp v2, v1 row_xmask:7 row_mask:0xf bank_mask:0xf
	v_cmp_gt_f32_e32 vcc_lo, v1, v2
	v_cndmask_b32_e32 v1, v2, v1, vcc_lo
	s_delay_alu instid0(VALU_DEP_1) | instskip(NEXT) | instid1(VALU_DEP_1)
	v_mov_b32_dpp v2, v1 row_xmask:15 row_mask:0xf bank_mask:0xf
	v_cmp_gt_f32_e32 vcc_lo, v1, v2
	v_cndmask_b32_e32 v1, v2, v1, vcc_lo
	s_delay_alu instid0(VALU_DEP_1) | instskip(NEXT) | instid1(VALU_DEP_1)
	v_permlanex16_b32 v2, v1, s2, 0xfedcba98 op_sel:[1,1]
	v_cmp_gt_f32_e32 vcc_lo, v1, v2
	v_cndmask_b32_e32 v1, v2, v1, vcc_lo
.LBB47_9:
	s_mov_b32 s2, 0
	s_branch .LBB47_14
.LBB47_10:
	s_mov_b32 s1, 0
                                        ; implicit-def: $vgpr22
                                        ; implicit-def: $vgpr1_vgpr2
	s_and_b32 vcc_lo, exec_lo, s31
	s_cbranch_vccnz .LBB47_38
	s_branch .LBB47_41
.LBB47_11:
                                        ; implicit-def: $vgpr1
	s_branch .LBB47_21
.LBB47_12:
                                        ; implicit-def: $vgpr1
	s_branch .LBB47_18
.LBB47_13:
	s_mov_b32 s2, -1
                                        ; implicit-def: $vgpr1
.LBB47_14:
	s_delay_alu instid0(SALU_CYCLE_1)
	s_and_not1_b32 vcc_lo, exec_lo, s2
	s_cbranch_vccnz .LBB47_17
; %bb.15:
	v_mov_b32_e32 v1, v21
	s_cmp_eq_u32 s1, 16
	s_cbranch_scc0 .LBB47_17
; %bb.16:
	s_delay_alu instid0(VALU_DEP_1) | instskip(NEXT) | instid1(VALU_DEP_1)
	v_mov_b32_dpp v1, v21 quad_perm:[1,0,3,2] row_mask:0xf bank_mask:0xf
	v_cmp_gt_f32_e32 vcc_lo, v21, v1
	v_cndmask_b32_e32 v1, v1, v21, vcc_lo
	s_delay_alu instid0(VALU_DEP_1) | instskip(NEXT) | instid1(VALU_DEP_1)
	v_mov_b32_dpp v2, v1 quad_perm:[2,3,0,1] row_mask:0xf bank_mask:0xf
	v_cmp_gt_f32_e32 vcc_lo, v1, v2
	v_cndmask_b32_e32 v1, v2, v1, vcc_lo
	s_delay_alu instid0(VALU_DEP_1) | instskip(NEXT) | instid1(VALU_DEP_1)
	v_mov_b32_dpp v2, v1 row_half_mirror row_mask:0xf bank_mask:0xf
	v_cmp_gt_f32_e32 vcc_lo, v1, v2
	v_cndmask_b32_e32 v1, v2, v1, vcc_lo
	s_delay_alu instid0(VALU_DEP_1) | instskip(NEXT) | instid1(VALU_DEP_1)
	v_mov_b32_dpp v2, v1 row_mirror row_mask:0xf bank_mask:0xf
	v_cmp_gt_f32_e32 vcc_lo, v1, v2
	v_cndmask_b32_e32 v1, v2, v1, vcc_lo
.LBB47_17:
	s_cbranch_execnz .LBB47_20
.LBB47_18:
	v_mov_b32_e32 v1, v21
	s_cmp_eq_u32 s1, 8
	s_cbranch_scc0 .LBB47_20
; %bb.19:
	s_delay_alu instid0(VALU_DEP_1) | instskip(NEXT) | instid1(VALU_DEP_1)
	v_mov_b32_dpp v1, v21 quad_perm:[1,0,3,2] row_mask:0xf bank_mask:0xf
	v_cmp_gt_f32_e32 vcc_lo, v21, v1
	v_cndmask_b32_e32 v1, v1, v21, vcc_lo
	s_delay_alu instid0(VALU_DEP_1) | instskip(NEXT) | instid1(VALU_DEP_1)
	v_mov_b32_dpp v2, v1 quad_perm:[2,3,0,1] row_mask:0xf bank_mask:0xf
	v_cmp_gt_f32_e32 vcc_lo, v1, v2
	v_cndmask_b32_e32 v1, v2, v1, vcc_lo
	s_delay_alu instid0(VALU_DEP_1) | instskip(NEXT) | instid1(VALU_DEP_1)
	v_mov_b32_dpp v2, v1 row_half_mirror row_mask:0xf bank_mask:0xf
	v_cmp_gt_f32_e32 vcc_lo, v1, v2
	v_cndmask_b32_e32 v1, v2, v1, vcc_lo
.LBB47_20:
	s_cbranch_execnz .LBB47_28
.LBB47_21:
	s_cmp_lt_i32 s1, 4
	s_cbranch_scc1 .LBB47_24
; %bb.22:
	v_mov_b32_e32 v1, v21
	s_cmp_eq_u32 s1, 4
	s_cbranch_scc0 .LBB47_25
; %bb.23:
	s_delay_alu instid0(VALU_DEP_1) | instskip(NEXT) | instid1(VALU_DEP_1)
	v_mov_b32_dpp v1, v21 quad_perm:[1,0,3,2] row_mask:0xf bank_mask:0xf
	v_cmp_gt_f32_e32 vcc_lo, v21, v1
	v_cndmask_b32_e32 v1, v1, v21, vcc_lo
	s_delay_alu instid0(VALU_DEP_1) | instskip(NEXT) | instid1(VALU_DEP_1)
	v_mov_b32_dpp v2, v1 quad_perm:[2,3,0,1] row_mask:0xf bank_mask:0xf
	v_cmp_gt_f32_e32 vcc_lo, v1, v2
	v_cndmask_b32_e32 v1, v2, v1, vcc_lo
	s_cbranch_execz .LBB47_26
	s_branch .LBB47_28
.LBB47_24:
                                        ; implicit-def: $vgpr1
	s_branch .LBB47_26
.LBB47_25:
	s_cbranch_execnz .LBB47_28
.LBB47_26:
	v_mov_b32_e32 v1, v21
	s_cmp_lg_u32 s1, 2
	s_cbranch_scc1 .LBB47_28
; %bb.27:
	s_delay_alu instid0(VALU_DEP_1) | instskip(NEXT) | instid1(VALU_DEP_1)
	v_mov_b32_dpp v1, v21 quad_perm:[1,0,3,2] row_mask:0xf bank_mask:0xf
	v_cmp_gt_f32_e32 vcc_lo, v21, v1
	v_cndmask_b32_e32 v1, v1, v21, vcc_lo
.LBB47_28:
	v_cvt_f32_u32_e32 v2, s1
	s_sub_i32 s2, 0, s1
	s_mov_b32 s31, 0
	s_delay_alu instid0(VALU_DEP_1) | instskip(SKIP_2) | instid1(VALU_DEP_1)
	v_rcp_iflag_f32_e32 v2, v2
	s_waitcnt_depctr 0xfff
	v_mul_f32_e32 v2, 0x4f7ffffe, v2
	v_cvt_u32_f32_e32 v2, v2
	s_delay_alu instid0(VALU_DEP_1) | instskip(NEXT) | instid1(VALU_DEP_1)
	v_mul_lo_u32 v22, s2, v2
	v_mul_hi_u32 v22, v2, v22
	s_delay_alu instid0(VALU_DEP_1) | instskip(NEXT) | instid1(VALU_DEP_1)
	v_add_nc_u32_e32 v2, v2, v22
	v_mul_hi_u32 v2, v0, v2
	s_delay_alu instid0(VALU_DEP_1) | instskip(NEXT) | instid1(VALU_DEP_1)
	v_mul_lo_u32 v22, v2, s1
	v_sub_nc_u32_e32 v22, v0, v22
	s_delay_alu instid0(VALU_DEP_1) | instskip(SKIP_1) | instid1(VALU_DEP_2)
	v_subrev_nc_u32_e32 v24, s1, v22
	v_cmp_le_u32_e32 vcc_lo, s1, v22
	v_dual_cndmask_b32 v22, v22, v24 :: v_dual_add_nc_u32 v23, 1, v2
	s_delay_alu instid0(VALU_DEP_1) | instskip(NEXT) | instid1(VALU_DEP_2)
	v_cndmask_b32_e32 v2, v2, v23, vcc_lo
	v_cmp_le_u32_e32 vcc_lo, s1, v22
	s_delay_alu instid0(VALU_DEP_2) | instskip(NEXT) | instid1(VALU_DEP_1)
	v_dual_mul_f32 v22, 0x3c010204, v1 :: v_dual_add_nc_u32 v23, 1, v2
	v_cndmask_b32_e32 v23, v2, v23, vcc_lo
	v_cmp_gt_u32_e32 vcc_lo, s13, v9
	s_delay_alu instid0(VALU_DEP_2) | instskip(NEXT) | instid1(VALU_DEP_1)
	v_mul_lo_u32 v2, v23, s1
	v_sub_nc_u32_e32 v2, v0, v2
	s_delay_alu instid0(VALU_DEP_1) | instskip(NEXT) | instid1(VALU_DEP_1)
	v_cmp_eq_u32_e64 s1, 0, v2
                                        ; implicit-def: $vgpr1_vgpr2
	s_and_b32 s2, s1, vcc_lo
	s_mov_b32 s1, 0
	s_and_saveexec_b32 s3, s2
	s_delay_alu instid0(SALU_CYCLE_1)
	s_xor_b32 s14, exec_lo, s3
	s_cbranch_execz .LBB47_37
; %bb.29:
	s_bitcmp0_b32 s19, 0
	s_mov_b32 s6, 0
	s_cbranch_scc0 .LBB47_34
; %bb.30:
	s_ashr_i32 s1, s13, 31
	s_mul_hi_u32 s3, s13, s34
	s_mul_i32 s1, s1, s34
	s_mul_i32 s2, s13, s34
	s_add_i32 s3, s3, s1
	s_mov_b32 s19, s7
	s_delay_alu instid0(SALU_CYCLE_1) | instskip(NEXT) | instid1(SALU_CYCLE_1)
	s_or_b64 s[10:11], s[2:3], s[18:19]
	s_mov_b32 s7, s11
	s_delay_alu instid0(SALU_CYCLE_1)
	s_cmp_lg_u64 s[6:7], 0
	s_cbranch_scc0 .LBB47_45
; %bb.31:
	s_add_u32 s10, s18, s19
	s_mov_b32 s6, s19
	s_mov_b32 s7, s19
	s_addc_u32 s11, s19, s19
	s_delay_alu instid0(SALU_CYCLE_1) | instskip(NEXT) | instid1(SALU_CYCLE_1)
	s_xor_b64 s[10:11], s[10:11], s[6:7]
	v_cvt_f32_u32_e32 v1, s10
	v_cvt_f32_u32_e32 v2, s11
	s_sub_u32 s16, 0, s10
	s_subb_u32 s19, 0, s11
	s_delay_alu instid0(VALU_DEP_1) | instskip(NEXT) | instid1(VALU_DEP_1)
	v_fmamk_f32 v1, v2, 0x4f800000, v1
	v_rcp_f32_e32 v1, v1
	s_waitcnt_depctr 0xfff
	v_mul_f32_e32 v1, 0x5f7ffffc, v1
	s_delay_alu instid0(VALU_DEP_1) | instskip(NEXT) | instid1(VALU_DEP_1)
	v_mul_f32_e32 v2, 0x2f800000, v1
	v_trunc_f32_e32 v2, v2
	s_delay_alu instid0(VALU_DEP_1) | instskip(SKIP_1) | instid1(VALU_DEP_2)
	v_fmamk_f32 v1, v2, 0xcf800000, v1
	v_cvt_u32_f32_e32 v2, v2
	v_cvt_u32_f32_e32 v1, v1
	s_delay_alu instid0(VALU_DEP_2) | instskip(NEXT) | instid1(VALU_DEP_2)
	v_readfirstlane_b32 s1, v2
	v_readfirstlane_b32 s15, v1
	s_delay_alu instid0(VALU_DEP_2) | instskip(NEXT) | instid1(VALU_DEP_1)
	s_mul_i32 s20, s16, s1
	s_mul_hi_u32 s22, s16, s15
	s_mul_i32 s21, s19, s15
	s_add_i32 s20, s22, s20
	s_mul_i32 s23, s16, s15
	s_add_i32 s20, s20, s21
	s_mul_hi_u32 s22, s15, s23
	s_mul_hi_u32 s24, s1, s23
	s_mul_i32 s21, s1, s23
	s_mul_hi_u32 s23, s15, s20
	s_mul_i32 s15, s15, s20
	s_mul_hi_u32 s25, s1, s20
	s_add_u32 s15, s22, s15
	s_addc_u32 s22, 0, s23
	s_add_u32 s15, s15, s21
	s_mul_i32 s20, s1, s20
	s_addc_u32 s15, s22, s24
	s_addc_u32 s21, s25, 0
	s_add_u32 s15, s15, s20
	s_addc_u32 s20, 0, s21
	v_add_co_u32 v1, s15, v1, s15
	s_delay_alu instid0(VALU_DEP_1) | instskip(SKIP_1) | instid1(VALU_DEP_1)
	s_cmp_lg_u32 s15, 0
	s_addc_u32 s1, s1, s20
	v_readfirstlane_b32 s15, v1
	s_mul_i32 s20, s16, s1
	s_delay_alu instid0(VALU_DEP_1)
	s_mul_hi_u32 s21, s16, s15
	s_mul_i32 s19, s19, s15
	s_add_i32 s20, s21, s20
	s_mul_i32 s16, s16, s15
	s_add_i32 s20, s20, s19
	s_mul_hi_u32 s21, s1, s16
	s_mul_i32 s22, s1, s16
	s_mul_hi_u32 s16, s15, s16
	s_mul_hi_u32 s23, s15, s20
	s_mul_i32 s15, s15, s20
	s_mul_hi_u32 s19, s1, s20
	s_add_u32 s15, s16, s15
	s_addc_u32 s16, 0, s23
	s_add_u32 s15, s15, s22
	s_mul_i32 s20, s1, s20
	s_addc_u32 s15, s16, s21
	s_addc_u32 s16, s19, 0
	s_add_u32 s15, s15, s20
	s_addc_u32 s16, 0, s16
	v_add_co_u32 v1, s15, v1, s15
	s_delay_alu instid0(VALU_DEP_1) | instskip(SKIP_2) | instid1(SALU_CYCLE_1)
	s_cmp_lg_u32 s15, 0
	s_addc_u32 s1, s1, s16
	s_ashr_i32 s20, s3, 31
	s_add_u32 s22, s2, s20
	s_addc_u32 s23, s3, s20
	v_readfirstlane_b32 s3, v1
	s_mov_b32 s21, s20
	s_delay_alu instid0(SALU_CYCLE_1) | instskip(NEXT) | instid1(SALU_CYCLE_1)
	s_xor_b64 s[22:23], s[22:23], s[20:21]
	s_mul_i32 s16, s22, s1
	s_delay_alu instid0(VALU_DEP_1)
	s_mul_hi_u32 s19, s22, s3
	s_mul_hi_u32 s15, s22, s1
	;; [unrolled: 1-line block ×3, first 2 shown]
	s_mul_i32 s3, s23, s3
	s_add_u32 s16, s19, s16
	s_addc_u32 s15, 0, s15
	s_mul_hi_u32 s24, s23, s1
	s_add_u32 s3, s16, s3
	s_mul_i32 s1, s23, s1
	s_addc_u32 s3, s15, s25
	s_addc_u32 s15, s24, 0
	s_add_u32 s3, s3, s1
	s_addc_u32 s15, 0, s15
	s_mul_hi_u32 s1, s10, s3
	s_mul_i32 s19, s10, s15
	s_mul_i32 s24, s10, s3
	s_add_i32 s1, s1, s19
	v_sub_co_u32 v1, s19, s22, s24
	s_mul_i32 s16, s11, s3
	s_delay_alu instid0(SALU_CYCLE_1) | instskip(NEXT) | instid1(VALU_DEP_1)
	s_add_i32 s1, s1, s16
	v_sub_co_u32 v2, s22, v1, s10
	s_sub_i32 s16, s23, s1
	s_cmp_lg_u32 s19, 0
	s_subb_u32 s16, s16, s11
	s_cmp_lg_u32 s22, 0
	v_cmp_le_u32_e32 vcc_lo, s10, v2
	s_subb_u32 s16, s16, 0
	s_delay_alu instid0(SALU_CYCLE_1)
	s_cmp_ge_u32 s16, s11
	v_cndmask_b32_e64 v2, 0, -1, vcc_lo
	s_cselect_b32 s22, -1, 0
	s_cmp_eq_u32 s16, s11
	s_cselect_b32 vcc_lo, -1, 0
	s_add_u32 s16, s3, 1
	v_cndmask_b32_e32 v2, s22, v2, vcc_lo
	s_addc_u32 s22, s15, 0
	s_add_u32 s24, s3, 2
	s_addc_u32 s25, s15, 0
	s_cmp_lg_u32 s19, 0
	v_cmp_le_u32_e32 vcc_lo, s10, v1
	s_subb_u32 s1, s23, s1
	v_mov_b32_e32 v24, s24
	s_cmp_ge_u32 s1, s11
	v_cndmask_b32_e64 v1, 0, -1, vcc_lo
	s_cselect_b32 s10, -1, 0
	s_cmp_eq_u32 s1, s11
	v_cmp_ne_u32_e32 vcc_lo, 0, v2
	v_mov_b32_e32 v2, s25
	s_cselect_b32 s1, -1, 0
	s_xor_b64 s[6:7], s[20:21], s[6:7]
	v_cndmask_b32_e64 v1, s10, v1, s1
	v_cndmask_b32_e32 v24, s16, v24, vcc_lo
	v_cndmask_b32_e32 v2, s22, v2, vcc_lo
	s_delay_alu instid0(VALU_DEP_3) | instskip(NEXT) | instid1(VALU_DEP_2)
	v_cmp_ne_u32_e32 vcc_lo, 0, v1
	v_cndmask_b32_e32 v1, s15, v2, vcc_lo
	s_delay_alu instid0(VALU_DEP_4) | instskip(NEXT) | instid1(VALU_DEP_2)
	v_cndmask_b32_e32 v2, s3, v24, vcc_lo
	v_xor_b32_e32 v24, s7, v1
	s_delay_alu instid0(VALU_DEP_2) | instskip(NEXT) | instid1(VALU_DEP_1)
	v_xor_b32_e32 v2, s6, v2
	v_sub_co_u32 v1, vcc_lo, v2, s6
	s_delay_alu instid0(VALU_DEP_3)
	v_subrev_co_ci_u32_e32 v2, vcc_lo, s7, v24, vcc_lo
	s_cbranch_execnz .LBB47_33
.LBB47_32:
	v_cvt_f32_u32_e32 v1, s18
	s_sub_i32 s3, 0, s18
	s_delay_alu instid0(VALU_DEP_1) | instskip(SKIP_2) | instid1(VALU_DEP_1)
	v_rcp_iflag_f32_e32 v1, v1
	s_waitcnt_depctr 0xfff
	v_mul_f32_e32 v1, 0x4f7ffffe, v1
	v_cvt_u32_f32_e32 v1, v1
	s_delay_alu instid0(VALU_DEP_1) | instskip(NEXT) | instid1(VALU_DEP_1)
	v_readfirstlane_b32 s1, v1
	s_mul_i32 s3, s3, s1
	s_delay_alu instid0(SALU_CYCLE_1) | instskip(NEXT) | instid1(SALU_CYCLE_1)
	s_mul_hi_u32 s3, s1, s3
	s_add_i32 s1, s1, s3
	s_delay_alu instid0(SALU_CYCLE_1) | instskip(NEXT) | instid1(SALU_CYCLE_1)
	s_mul_hi_u32 s1, s2, s1
	s_mul_i32 s3, s1, s18
	s_delay_alu instid0(SALU_CYCLE_1)
	s_sub_i32 s2, s2, s3
	s_add_i32 s3, s1, 1
	s_sub_i32 s6, s2, s18
	s_cmp_ge_u32 s2, s18
	s_cselect_b32 s1, s3, s1
	s_cselect_b32 s2, s6, s2
	s_add_i32 s6, s1, 1
	s_cmp_ge_u32 s2, s18
	s_mov_b32 s3, 0
	s_cselect_b32 s2, s6, s1
	s_delay_alu instid0(SALU_CYCLE_1)
	v_dual_mov_b32 v1, s2 :: v_dual_mov_b32 v2, s3
.LBB47_33:
	s_delay_alu instid0(VALU_DEP_1) | instskip(NEXT) | instid1(VALU_DEP_2)
	v_add_co_u32 v1, vcc_lo, v1, v23
	v_add_co_ci_u32_e32 v2, vcc_lo, 0, v2, vcc_lo
	s_branch .LBB47_36
.LBB47_34:
                                        ; implicit-def: $vgpr1_vgpr2
	s_cbranch_execz .LBB47_36
; %bb.35:
	v_mul_lo_u32 v1, v23, s12
	s_delay_alu instid0(VALU_DEP_1) | instskip(SKIP_1) | instid1(VALU_DEP_2)
	v_ashrrev_i32_e32 v2, 31, v1
	v_add_co_u32 v1, vcc_lo, v1, s34
	v_add_co_ci_u32_e32 v2, vcc_lo, 0, v2, vcc_lo
.LBB47_36:
	s_mov_b32 s1, exec_lo
.LBB47_37:
	s_or_b32 exec_lo, exec_lo, s14
	s_delay_alu instid0(SALU_CYCLE_1)
	s_and_b32 vcc_lo, exec_lo, s31
	s_cbranch_vccz .LBB47_41
.LBB47_38:
	v_mov_b32_dpp v1, v21 quad_perm:[1,0,3,2] row_mask:0xf bank_mask:0xf
	s_delay_alu instid0(VALU_DEP_1) | instskip(SKIP_1) | instid1(VALU_DEP_1)
	v_cmp_gt_f32_e32 vcc_lo, v21, v1
	v_cndmask_b32_e32 v1, v1, v21, vcc_lo
	v_mov_b32_dpp v2, v1 quad_perm:[2,3,0,1] row_mask:0xf bank_mask:0xf
	s_delay_alu instid0(VALU_DEP_1) | instskip(SKIP_1) | instid1(VALU_DEP_1)
	v_cmp_gt_f32_e32 vcc_lo, v1, v2
	v_cndmask_b32_e32 v1, v2, v1, vcc_lo
	v_mov_b32_dpp v2, v1 row_xmask:7 row_mask:0xf bank_mask:0xf
	s_delay_alu instid0(VALU_DEP_1) | instskip(SKIP_1) | instid1(VALU_DEP_1)
	v_cmp_gt_f32_e32 vcc_lo, v1, v2
	v_cndmask_b32_e32 v1, v2, v1, vcc_lo
	v_mov_b32_dpp v2, v1 row_xmask:15 row_mask:0xf bank_mask:0xf
	s_delay_alu instid0(VALU_DEP_1)
	v_cmp_gt_f32_e32 vcc_lo, v1, v2
	s_and_saveexec_b32 s1, s0
	s_cbranch_execz .LBB47_40
; %bb.39:
	v_cndmask_b32_e32 v1, v2, v1, vcc_lo
	v_lshrrev_b32_e32 v2, 3, v0
	s_mov_b32 s0, 0x76543210
	s_delay_alu instid0(VALU_DEP_1) | instskip(NEXT) | instid1(VALU_DEP_3)
	v_and_b32_e32 v2, 0x7c, v2
	v_permlanex16_b32 v21, v1, s0, 0xfedcba98 op_sel:[1,1]
	s_delay_alu instid0(VALU_DEP_1)
	v_cmp_gt_f32_e32 vcc_lo, v1, v21
	v_cndmask_b32_e32 v1, v21, v1, vcc_lo
	ds_store_b32 v2, v1
.LBB47_40:
	s_or_b32 exec_lo, exec_lo, s1
	s_waitcnt lgkmcnt(0)
	s_barrier
	buffer_gl0_inv
	ds_load_b32 v1, v10
	v_cmp_eq_u32_e64 s1, 0, v0
	s_waitcnt lgkmcnt(0)
	v_mov_b32_dpp v2, v1 quad_perm:[1,0,3,2] row_mask:0xf bank_mask:0xf
	s_delay_alu instid0(VALU_DEP_1) | instskip(SKIP_1) | instid1(VALU_DEP_1)
	v_cmp_gt_f32_e32 vcc_lo, v1, v2
	v_cndmask_b32_e32 v1, v2, v1, vcc_lo
	v_mov_b32_dpp v2, v1 quad_perm:[2,3,0,1] row_mask:0xf bank_mask:0xf
	s_delay_alu instid0(VALU_DEP_1) | instskip(SKIP_1) | instid1(VALU_DEP_1)
	v_cmp_gt_f32_e32 vcc_lo, v1, v2
	v_cndmask_b32_e32 v1, v2, v1, vcc_lo
	v_mov_b32_dpp v2, v1 row_xmask:7 row_mask:0xf bank_mask:0xf
	s_delay_alu instid0(VALU_DEP_1) | instskip(SKIP_1) | instid1(VALU_DEP_1)
	v_cmp_gt_f32_e32 vcc_lo, v1, v2
	v_cndmask_b32_e32 v1, v2, v1, vcc_lo
	v_dual_mul_f32 v22, 0x3c010204, v1 :: v_dual_mov_b32 v1, s34
	v_mov_b32_e32 v2, s35
.LBB47_41:
	s_and_saveexec_b32 s0, s1
	s_cbranch_execz .LBB47_43
; %bb.42:
	s_delay_alu instid0(VALU_DEP_1) | instskip(NEXT) | instid1(VALU_DEP_1)
	v_lshlrev_b64 v[0:1], 2, v[1:2]
	v_add_co_u32 v0, vcc_lo, s8, v0
	s_delay_alu instid0(VALU_DEP_2)
	v_add_co_ci_u32_e32 v1, vcc_lo, s9, v1, vcc_lo
	global_store_b32 v[0:1], v22, off
.LBB47_43:
	s_or_b32 exec_lo, exec_lo, s0
	;;#ASMSTART
	v_rcp_f32 v0, v22
	;;#ASMEND
	v_mul_f32_e32 v6, v6, v0
	v_mul_f32_e32 v5, v5, v0
	;; [unrolled: 1-line block ×5, first 2 shown]
	v_cvt_i32_f32_e32 v6, v6
	v_cvt_i32_f32_e32 v5, v5
	v_mul_f32_e32 v10, v18, v0
	v_cvt_i32_f32_e32 v11, v11
	v_mul_f32_e32 v16, v16, v0
	v_lshlrev_b16 v6, 8, v6
	v_and_b32_e32 v5, 0xff, v5
	v_cvt_i32_f32_e32 v10, v10
	v_and_b32_e32 v11, 0xff, v11
	v_mul_f32_e32 v13, v13, v0
	v_cvt_i32_f32_e32 v7, v7
	v_or_b32_e32 v5, v5, v6
	v_and_b32_e32 v10, 0xff, v10
	v_mul_f32_e32 v12, v12, v0
	s_delay_alu instid0(VALU_DEP_4) | instskip(NEXT) | instid1(VALU_DEP_4)
	v_dual_mul_f32 v2, v20, v0 :: v_dual_and_b32 v7, 0xff, v7
	v_lshlrev_b32_e32 v5, 16, v5
	v_cvt_i32_f32_e32 v13, v13
	s_delay_alu instid0(VALU_DEP_4)
	v_cvt_i32_f32_e32 v12, v12
	v_mul_f32_e32 v15, v15, v0
	v_mul_f32_e32 v4, v4, v0
	v_cvt_i32_f32_e32 v2, v2
	v_cvt_i32_f32_e32 v16, v16
	v_lshlrev_b16 v12, 8, v12
	s_add_i32 s0, s13, 3
	v_cvt_i32_f32_e32 v4, v4
	v_lshlrev_b16 v2, 8, v2
	s_ashr_i32 s2, s0, 31
	v_or_b32_e32 v6, v11, v12
	v_dual_mul_f32 v1, v19, v0 :: v_dual_and_b32 v12, 0xff, v13
	v_cvt_i32_f32_e32 v15, v15
	s_delay_alu instid0(VALU_DEP_3) | instskip(SKIP_1) | instid1(VALU_DEP_4)
	v_dual_mul_f32 v17, v17, v0 :: v_dual_and_b32 v6, 0xffff, v6
	v_lshlrev_b16 v4, 8, v4
	v_cvt_i32_f32_e32 v1, v1
	v_mul_f32_e32 v8, v8, v0
	v_mul_f32_e32 v0, v3, v0
	s_lshr_b32 s2, s2, 30
	s_ashr_i32 s1, s17, 31
	v_and_b32_e32 v1, 0xff, v1
	v_cvt_i32_f32_e32 v8, v8
	v_cvt_i32_f32_e32 v0, v0
	s_add_i32 s0, s0, s2
	s_mul_hi_u32 s3, s17, s34
	v_or_b32_e32 v1, v1, v2
	v_lshlrev_b16 v8, 8, v8
	v_and_b32_e32 v0, 0xff, v0
	s_mul_i32 s1, s1, s34
	s_and_b32 s2, s0, -4
	s_mul_i32 s0, s17, s34
	v_or_b32_e32 v3, v7, v8
	v_and_b32_e32 v8, 0xff, v15
	v_cvt_i32_f32_e32 v17, v17
	v_lshlrev_b16 v7, 8, v16
	v_or_b32_e32 v0, v0, v4
	v_and_b32_e32 v3, 0xffff, v3
	v_cvt_i32_f32_e32 v14, v14
	v_lshlrev_b16 v13, 8, v17
	v_or_b32_e32 v4, v8, v7
	v_lshlrev_b32_e32 v0, 16, v0
	v_and_b32_e32 v8, 0xffff, v1
	v_lshlrev_b16 v11, 8, v14
	v_or_b32_e32 v2, v10, v13
	v_and_b32_e32 v4, 0xffff, v4
	s_add_i32 s3, s3, s1
	s_add_u32 s0, s4, s0
	v_or_b32_e32 v7, v12, v11
	v_lshlrev_b32_e32 v10, 16, v2
	v_or_b32_e32 v3, v3, v5
	v_or_b32_e32 v2, v6, v0
	s_addc_u32 s1, s5, s3
	v_lshlrev_b32_e32 v7, 16, v7
	v_or_b32_e32 v0, v8, v10
	s_and_b32 s1, s1, 0xffff
	s_mov_b32 s3, -1
	s_delay_alu instid0(VALU_DEP_2)
	v_or_b32_e32 v1, v4, v7
	buffer_store_b128 v[0:3], v9, s[0:3], 0 offen
	;;#ASMSTART
	s_nop 0
	;;#ASMEND
.LBB47_44:
	s_nop 0
	s_sendmsg sendmsg(MSG_DEALLOC_VGPRS)
	s_endpgm
.LBB47_45:
                                        ; implicit-def: $vgpr1_vgpr2
	s_branch .LBB47_32
	.section	.rodata,"a",@progbits
	.p2align	6, 0x0
	.amdhsa_kernel _ZN5aiter24add_rmsnorm_quant_kernelIDF16_aLi256ELi16ELb1ELb1ELb0ELi1EEEvPT0_PT_PfS4_S4_S4_diiiiiiib
		.amdhsa_group_segment_fixed_size 64
		.amdhsa_private_segment_fixed_size 0
		.amdhsa_kernarg_size 88
		.amdhsa_user_sgpr_count 15
		.amdhsa_user_sgpr_dispatch_ptr 0
		.amdhsa_user_sgpr_queue_ptr 0
		.amdhsa_user_sgpr_kernarg_segment_ptr 1
		.amdhsa_user_sgpr_dispatch_id 0
		.amdhsa_user_sgpr_private_segment_size 0
		.amdhsa_wavefront_size32 1
		.amdhsa_uses_dynamic_stack 0
		.amdhsa_enable_private_segment 0
		.amdhsa_system_sgpr_workgroup_id_x 1
		.amdhsa_system_sgpr_workgroup_id_y 0
		.amdhsa_system_sgpr_workgroup_id_z 0
		.amdhsa_system_sgpr_workgroup_info 0
		.amdhsa_system_vgpr_workitem_id 0
		.amdhsa_next_free_vgpr 46
		.amdhsa_next_free_sgpr 36
		.amdhsa_reserve_vcc 1
		.amdhsa_float_round_mode_32 0
		.amdhsa_float_round_mode_16_64 0
		.amdhsa_float_denorm_mode_32 3
		.amdhsa_float_denorm_mode_16_64 3
		.amdhsa_dx10_clamp 1
		.amdhsa_ieee_mode 1
		.amdhsa_fp16_overflow 0
		.amdhsa_workgroup_processor_mode 1
		.amdhsa_memory_ordered 1
		.amdhsa_forward_progress 0
		.amdhsa_shared_vgpr_count 0
		.amdhsa_exception_fp_ieee_invalid_op 0
		.amdhsa_exception_fp_denorm_src 0
		.amdhsa_exception_fp_ieee_div_zero 0
		.amdhsa_exception_fp_ieee_overflow 0
		.amdhsa_exception_fp_ieee_underflow 0
		.amdhsa_exception_fp_ieee_inexact 0
		.amdhsa_exception_int_div_zero 0
	.end_amdhsa_kernel
	.section	.text._ZN5aiter24add_rmsnorm_quant_kernelIDF16_aLi256ELi16ELb1ELb1ELb0ELi1EEEvPT0_PT_PfS4_S4_S4_diiiiiiib,"axG",@progbits,_ZN5aiter24add_rmsnorm_quant_kernelIDF16_aLi256ELi16ELb1ELb1ELb0ELi1EEEvPT0_PT_PfS4_S4_S4_diiiiiiib,comdat
.Lfunc_end47:
	.size	_ZN5aiter24add_rmsnorm_quant_kernelIDF16_aLi256ELi16ELb1ELb1ELb0ELi1EEEvPT0_PT_PfS4_S4_S4_diiiiiiib, .Lfunc_end47-_ZN5aiter24add_rmsnorm_quant_kernelIDF16_aLi256ELi16ELb1ELb1ELb0ELi1EEEvPT0_PT_PfS4_S4_S4_diiiiiiib
                                        ; -- End function
	.section	.AMDGPU.csdata,"",@progbits
; Kernel info:
; codeLenInByte = 4188
; NumSgprs: 38
; NumVgprs: 46
; ScratchSize: 0
; MemoryBound: 0
; FloatMode: 240
; IeeeMode: 1
; LDSByteSize: 64 bytes/workgroup (compile time only)
; SGPRBlocks: 4
; VGPRBlocks: 5
; NumSGPRsForWavesPerEU: 38
; NumVGPRsForWavesPerEU: 46
; Occupancy: 16
; WaveLimiterHint : 0
; COMPUTE_PGM_RSRC2:SCRATCH_EN: 0
; COMPUTE_PGM_RSRC2:USER_SGPR: 15
; COMPUTE_PGM_RSRC2:TRAP_HANDLER: 0
; COMPUTE_PGM_RSRC2:TGID_X_EN: 1
; COMPUTE_PGM_RSRC2:TGID_Y_EN: 0
; COMPUTE_PGM_RSRC2:TGID_Z_EN: 0
; COMPUTE_PGM_RSRC2:TIDIG_COMP_CNT: 0
	.section	.text._ZN5aiter24add_rmsnorm_quant_kernelItaLi256ELi16ELb1ELb1ELb0ELi1EEEvPT0_PT_PfS4_S4_S4_diiiiiiib,"axG",@progbits,_ZN5aiter24add_rmsnorm_quant_kernelItaLi256ELi16ELb1ELb1ELb0ELi1EEEvPT0_PT_PfS4_S4_S4_diiiiiiib,comdat
	.protected	_ZN5aiter24add_rmsnorm_quant_kernelItaLi256ELi16ELb1ELb1ELb0ELi1EEEvPT0_PT_PfS4_S4_S4_diiiiiiib ; -- Begin function _ZN5aiter24add_rmsnorm_quant_kernelItaLi256ELi16ELb1ELb1ELb0ELi1EEEvPT0_PT_PfS4_S4_S4_diiiiiiib
	.globl	_ZN5aiter24add_rmsnorm_quant_kernelItaLi256ELi16ELb1ELb1ELb0ELi1EEEvPT0_PT_PfS4_S4_S4_diiiiiiib
	.p2align	8
	.type	_ZN5aiter24add_rmsnorm_quant_kernelItaLi256ELi16ELb1ELb1ELb0ELi1EEEvPT0_PT_PfS4_S4_S4_diiiiiiib,@function
_ZN5aiter24add_rmsnorm_quant_kernelItaLi256ELi16ELb1ELb1ELb0ELi1EEEvPT0_PT_PfS4_S4_S4_diiiiiiib: ; @_ZN5aiter24add_rmsnorm_quant_kernelItaLi256ELi16ELb1ELb1ELb0ELi1EEEvPT0_PT_PfS4_S4_S4_diiiiiiib
; %bb.0:
	s_mov_b32 s34, s15
	s_load_b256 s[12:19], s[0:1], 0x38
	s_mov_b32 s35, 0
	s_waitcnt lgkmcnt(0)
	s_ashr_i32 s3, s12, 31
	s_mov_b32 s2, s12
	s_delay_alu instid0(SALU_CYCLE_1) | instskip(NEXT) | instid1(VALU_DEP_1)
	v_cmp_ge_i64_e64 s2, s[34:35], s[2:3]
	s_and_b32 vcc_lo, exec_lo, s2
	s_cbranch_vccnz .LBB48_44
; %bb.1:
	s_load_b256 s[4:11], s[0:1], 0x0
	s_ashr_i32 s2, s14, 31
	s_mul_hi_u32 s3, s14, s34
	s_mul_i32 s20, s2, s34
	s_mul_i32 s2, s14, s34
	s_add_i32 s3, s3, s20
	s_load_b256 s[20:27], s[0:1], 0x20
	s_lshl_b64 s[0:1], s[2:3], 1
	v_lshlrev_b32_e32 v35, 5, v0
	s_mov_b32 s31, -1
	s_waitcnt lgkmcnt(0)
	s_add_u32 s28, s10, s0
	s_addc_u32 s0, s11, s1
	s_add_i32 s1, s13, 1
	s_and_b32 s29, s0, 0xffff
	s_lshr_b32 s2, s1, 31
	s_ashr_i32 s0, s15, 31
	s_add_i32 s1, s1, s2
	s_mul_i32 s0, s0, s34
	s_lshl_b32 s1, s1, 1
	s_mul_i32 s2, s15, s34
	s_and_b32 s30, s1, -4
	s_mul_hi_u32 s1, s15, s34
	s_clause 0x1
	buffer_load_b128 v[9:12], v35, s[28:31], 0 offen
	buffer_load_b128 v[13:16], v35, s[28:31], 16 offen
	s_add_i32 s3, s1, s0
	s_and_b32 s1, s23, 0xffff
	s_lshl_b64 s[2:3], s[2:3], 1
	s_delay_alu instid0(SALU_CYCLE_1)
	s_add_u32 s28, s20, s2
	s_addc_u32 s0, s21, s3
	s_mov_b32 s3, s31
	s_and_b32 s29, s0, 0xffff
	s_clause 0x1
	buffer_load_b128 v[17:20], v35, s[28:31], 0 offen
	buffer_load_b128 v[21:24], v35, s[28:31], 16 offen
	s_mov_b32 s0, s22
	s_mov_b32 s2, s30
	s_waitcnt vmcnt(3)
	v_lshrrev_b32_e32 v25, 16, v9
	v_lshrrev_b32_e32 v26, 16, v10
	s_waitcnt vmcnt(2)
	v_lshrrev_b32_e32 v33, 16, v14
	v_and_b32_e32 v34, 0xffff, v14
	v_lshrrev_b32_e32 v36, 16, v15
	v_and_b32_e32 v37, 0xffff, v15
	v_lshrrev_b32_e32 v27, 16, v11
	v_lshrrev_b32_e32 v29, 16, v12
	v_and_b32_e32 v30, 0xffff, v12
	v_lshrrev_b32_e32 v31, 16, v13
	s_waitcnt vmcnt(1)
	v_and_b32_e32 v14, 0xffff, v18
	v_lshrrev_b32_e32 v15, 16, v18
	v_and_b32_e32 v32, 0xffff, v13
	v_lshrrev_b32_e32 v38, 16, v16
	v_cvt_f32_u32_e32 v12, v25
	v_and_b32_e32 v13, 0xffff, v17
	v_and_b32_e32 v25, 0xffff, v16
	v_cvt_f32_u32_e32 v14, v14
	v_and_b32_e32 v28, 0xffff, v11
	v_lshrrev_b32_e32 v11, 16, v17
	v_cvt_f32_u32_e32 v16, v26
	v_cvt_f32_u32_e32 v15, v15
	v_and_b32_e32 v9, 0xffff, v9
	v_cvt_f32_u32_e32 v13, v13
	v_cvt_f32_u32_e32 v11, v11
	v_and_b32_e32 v10, 0xffff, v10
	v_and_b32_e32 v17, 0xffff, v19
	v_cvt_f32_u32_e32 v9, v9
	v_lshrrev_b32_e32 v18, 16, v19
	v_add_f32_e32 v11, v12, v11
	v_cvt_f32_u32_e32 v10, v10
	v_cvt_f32_u32_e32 v17, v17
	v_add_f32_e32 v12, v9, v13
	s_clause 0x1
	buffer_load_b128 v[5:8], v35, s[0:3], 0 offen
	buffer_load_b128 v[1:4], v35, s[0:3], 16 offen
	v_mul_f32_e32 v9, v11, v11
	v_add_f32_e32 v13, v10, v14
	v_cvt_f32_u32_e32 v10, v28
	v_add_f32_e32 v14, v16, v15
	v_cvt_f32_u32_e32 v16, v27
	v_fmac_f32_e32 v9, v12, v12
	v_cvt_f32_u32_e32 v18, v18
	s_waitcnt vmcnt(2)
	v_and_b32_e32 v28, 0xffff, v23
	v_lshrrev_b32_e32 v23, 16, v23
	v_add_f32_e32 v15, v10, v17
	v_fmac_f32_e32 v9, v13, v13
	v_lshrrev_b32_e32 v17, 16, v20
	v_add_f32_e32 v16, v16, v18
	v_cvt_f32_u32_e32 v18, v29
	v_cvt_f32_u32_e32 v29, v23
	v_and_b32_e32 v19, 0xffff, v20
	v_dual_fmac_f32 v9, v14, v14 :: v_dual_and_b32 v20, 0xffff, v21
	v_cvt_f32_u32_e32 v10, v30
	v_cvt_f32_u32_e32 v26, v17
	s_delay_alu instid0(VALU_DEP_4) | instskip(NEXT) | instid1(VALU_DEP_4)
	v_cvt_f32_u32_e32 v19, v19
	v_fmac_f32_e32 v9, v15, v15
	v_cvt_f32_u32_e32 v20, v20
	s_ashr_i32 s0, s16, 31
	v_add_f32_e32 v18, v18, v26
	v_dual_add_f32 v17, v10, v19 :: v_dual_and_b32 v26, 0xffff, v22
	v_cvt_f32_u32_e32 v10, v32
	v_lshrrev_b32_e32 v19, 16, v21
	v_cvt_f32_u32_e32 v21, v31
	v_lshrrev_b32_e32 v22, 16, v22
	v_cvt_f32_u32_e32 v26, v26
	v_fmac_f32_e32 v9, v16, v16
	v_cvt_f32_u32_e32 v27, v19
	v_add_f32_e32 v19, v10, v20
	v_cvt_f32_u32_e32 v10, v34
	v_cvt_f32_u32_e32 v22, v22
	s_mul_hi_u32 s1, s16, s34
	v_add_f32_e32 v20, v21, v27
	v_cvt_f32_u32_e32 v27, v33
	v_add_f32_e32 v21, v10, v26
	v_cvt_f32_u32_e32 v10, v37
	v_cvt_f32_u32_e32 v26, v28
	v_and_b32_e32 v28, 0xffff, v24
	v_add_f32_e32 v22, v27, v22
	v_cvt_f32_u32_e32 v27, v36
	s_delay_alu instid0(VALU_DEP_4)
	v_dual_add_f32 v23, v10, v26 :: v_dual_and_b32 v36, 31, v0
	v_cvt_f32_u32_e32 v10, v25
	v_lshrrev_b32_e32 v25, 16, v24
	v_cvt_f32_u32_e32 v26, v28
	v_add_f32_e32 v24, v27, v29
	v_cvt_f32_u32_e32 v27, v38
	s_mul_i32 s2, s0, s34
	v_cvt_f32_u32_e32 v28, v25
	v_fmac_f32_e32 v9, v17, v17
	v_add_f32_e32 v25, v10, v26
	s_mul_i32 s0, s16, s34
	s_add_i32 s1, s1, s2
	s_delay_alu instid0(VALU_DEP_2)
	v_dual_add_f32 v26, v27, v28 :: v_dual_fmac_f32 v9, v18, v18
	s_lshl_b64 s[0:1], s[0:1], 1
	v_perm_b32 v30, v18, v17, 0x7060302
	s_add_u32 s28, s6, s0
	s_addc_u32 s0, s7, s1
	v_fmac_f32_e32 v9, v19, v19
	s_and_b32 s29, s0, 0xffff
	v_perm_b32 v29, v16, v15, 0x7060302
	v_perm_b32 v28, v14, v13, 0x7060302
	;; [unrolled: 1-line block ×3, first 2 shown]
	v_fmac_f32_e32 v9, v20, v20
	v_perm_b32 v34, v26, v25, 0x7060302
	v_perm_b32 v33, v24, v23, 0x7060302
	;; [unrolled: 1-line block ×4, first 2 shown]
	v_fmac_f32_e32 v9, v21, v21
	v_cmp_eq_u32_e64 s0, 31, v36
	buffer_store_b128 v[27:30], v35, s[28:31], 0 offen
	;;#ASMSTART
	s_nop 0
	;;#ASMEND
	buffer_store_b128 v[31:34], v35, s[28:31], 16 offen
	v_fmac_f32_e32 v9, v22, v22
	;;#ASMSTART
	s_nop 0
	;;#ASMEND
	s_delay_alu instid0(VALU_DEP_1) | instskip(NEXT) | instid1(VALU_DEP_1)
	v_fmac_f32_e32 v9, v23, v23
	v_fmac_f32_e32 v9, v24, v24
	s_delay_alu instid0(VALU_DEP_1) | instskip(NEXT) | instid1(VALU_DEP_1)
	v_fmac_f32_e32 v9, v25, v25
	v_fmac_f32_e32 v9, v26, v26
	s_delay_alu instid0(VALU_DEP_1) | instskip(NEXT) | instid1(VALU_DEP_1)
	v_mov_b32_dpp v10, v9 quad_perm:[1,0,3,2] row_mask:0xf bank_mask:0xf
	v_add_f32_e32 v9, v9, v10
	s_delay_alu instid0(VALU_DEP_1) | instskip(NEXT) | instid1(VALU_DEP_1)
	v_mov_b32_dpp v10, v9 quad_perm:[2,3,0,1] row_mask:0xf bank_mask:0xf
	v_add_f32_e32 v9, v9, v10
	s_delay_alu instid0(VALU_DEP_1) | instskip(NEXT) | instid1(VALU_DEP_1)
	v_mov_b32_dpp v10, v9 row_xmask:7 row_mask:0xf bank_mask:0xf
	v_add_f32_e32 v9, v9, v10
	s_delay_alu instid0(VALU_DEP_1)
	v_mov_b32_dpp v10, v9 row_xmask:15 row_mask:0xf bank_mask:0xf
	s_and_saveexec_b32 s1, s0
	s_cbranch_execz .LBB48_3
; %bb.2:
	s_delay_alu instid0(VALU_DEP_1) | instskip(SKIP_2) | instid1(VALU_DEP_2)
	v_add_f32_e32 v9, v9, v10
	s_mov_b32 s2, 0x76543210
	v_lshrrev_b32_e32 v10, 3, v0
	v_permlanex16_b32 v27, v9, s2, 0xfedcba98 op_sel:[1,1]
	s_delay_alu instid0(VALU_DEP_1)
	v_dual_add_f32 v9, v9, v27 :: v_dual_and_b32 v10, 0x7c, v10
	ds_store_b32 v10, v9 offset:32
.LBB48_3:
	s_or_b32 exec_lo, exec_lo, s1
	v_and_b32_e32 v9, 7, v0
	s_waitcnt vmcnt(0) lgkmcnt(0)
	s_waitcnt_vscnt null, 0x0
	s_barrier
	buffer_gl0_inv
	v_cvt_f32_i32_e32 v28, s13
	v_lshlrev_b32_e32 v10, 2, v9
	s_cmp_lg_u32 s18, 0
	v_mov_b32_e32 v36, 0x2edbe6ff
	ds_load_b32 v9, v10 offset:32
	s_waitcnt lgkmcnt(0)
	v_mov_b32_dpp v27, v9 quad_perm:[1,0,3,2] row_mask:0xf bank_mask:0xf
	s_delay_alu instid0(VALU_DEP_1) | instskip(NEXT) | instid1(VALU_DEP_1)
	v_add_f32_e32 v9, v9, v27
	v_mov_b32_dpp v27, v9 quad_perm:[2,3,0,1] row_mask:0xf bank_mask:0xf
	s_delay_alu instid0(VALU_DEP_1) | instskip(NEXT) | instid1(VALU_DEP_1)
	v_add_f32_e32 v9, v9, v27
	v_mov_b32_dpp v27, v9 row_xmask:7 row_mask:0xf bank_mask:0xf
	s_delay_alu instid0(VALU_DEP_1) | instskip(NEXT) | instid1(VALU_DEP_1)
	v_add_f32_e32 v9, v9, v27
	v_div_scale_f32 v27, null, v28, v28, v9
	v_div_scale_f32 v31, vcc_lo, v9, v28, v9
	s_delay_alu instid0(VALU_DEP_2) | instskip(SKIP_2) | instid1(VALU_DEP_1)
	v_rcp_f32_e32 v29, v27
	s_waitcnt_depctr 0xfff
	v_fma_f32 v30, -v27, v29, 1.0
	v_fmac_f32_e32 v29, v30, v29
	s_delay_alu instid0(VALU_DEP_1) | instskip(NEXT) | instid1(VALU_DEP_1)
	v_mul_f32_e32 v30, v31, v29
	v_fma_f32 v32, -v27, v30, v31
	s_delay_alu instid0(VALU_DEP_1) | instskip(NEXT) | instid1(VALU_DEP_1)
	v_fmac_f32_e32 v30, v32, v29
	v_fma_f32 v27, -v27, v30, v31
	s_delay_alu instid0(VALU_DEP_1) | instskip(SKIP_2) | instid1(VALU_DEP_3)
	v_div_fmas_f32 v27, v27, v29, v30
	v_and_b32_e32 v30, 0xffff, v7
	v_lshrrev_b32_e32 v7, 16, v7
	v_div_fixup_f32 v9, v27, v28, v9
	s_delay_alu instid0(VALU_DEP_3) | instskip(NEXT) | instid1(VALU_DEP_3)
	v_cvt_f32_u32_e32 v30, v30
	v_cvt_f32_u32_e32 v7, v7
	s_delay_alu instid0(VALU_DEP_3) | instskip(SKIP_1) | instid1(VALU_DEP_2)
	v_cvt_f64_f32_e32 v[27:28], v9
	v_lshlrev_b32_e32 v9, 4, v0
	v_add_f64 v[27:28], v[27:28], s[24:25]
	s_delay_alu instid0(VALU_DEP_1) | instskip(SKIP_2) | instid1(VALU_DEP_2)
	v_cvt_f32_f64_e32 v27, v[27:28]
	v_and_b32_e32 v28, 0xffff, v5
	v_lshrrev_b32_e32 v5, 16, v5
	v_cvt_f32_u32_e32 v28, v28
	s_delay_alu instid0(VALU_DEP_2) | instskip(SKIP_4) | instid1(VALU_DEP_4)
	v_cvt_f32_u32_e32 v5, v5
	v_mul_f32_e32 v33, 0x4b800000, v27
	v_cmp_gt_f32_e32 vcc_lo, 0x800000, v27
	v_and_b32_e32 v34, 0xffff, v2
	v_lshrrev_b32_e32 v2, 16, v2
	v_cndmask_b32_e32 v27, v27, v33, vcc_lo
	s_delay_alu instid0(VALU_DEP_3) | instskip(NEXT) | instid1(VALU_DEP_3)
	v_cvt_f32_u32_e32 v34, v34
	v_cvt_f32_u32_e32 v2, v2
	s_delay_alu instid0(VALU_DEP_3) | instskip(SKIP_2) | instid1(VALU_DEP_1)
	v_rsq_f32_e32 v27, v27
	s_waitcnt_depctr 0xfff
	v_mul_f32_e32 v37, 0x45800000, v27
	v_cndmask_b32_e32 v27, v27, v37, vcc_lo
	v_and_b32_e32 v29, 0xffff, v6
	v_and_b32_e32 v32, 0xffff, v1
	v_lshrrev_b32_e32 v1, 16, v1
	v_and_b32_e32 v35, 0xffff, v4
	v_lshrrev_b32_e32 v4, 16, v4
	v_lshrrev_b32_e32 v6, 16, v6
	v_and_b32_e32 v31, 0xffff, v8
	v_cvt_f32_u32_e32 v1, v1
	v_lshrrev_b32_e32 v8, 16, v8
	v_cvt_f32_u32_e32 v38, v4
	v_mul_f32_e32 v4, v11, v27
	v_cvt_f32_u32_e32 v29, v29
	v_mul_f32_e32 v11, v13, v27
	v_and_b32_e32 v33, 0xffff, v3
	v_lshrrev_b32_e32 v3, 16, v3
	v_cvt_f32_u32_e32 v6, v6
	v_cvt_f32_u32_e32 v8, v8
	s_delay_alu instid0(VALU_DEP_3)
	v_cvt_f32_u32_e32 v37, v3
	v_mul_f32_e32 v3, v12, v27
	v_mul_f32_e32 v12, v14, v27
	;; [unrolled: 1-line block ×3, first 2 shown]
	v_cvt_f32_u32_e32 v32, v32
	v_cvt_f32_u32_e32 v31, v31
	;; [unrolled: 1-line block ×3, first 2 shown]
	s_delay_alu instid0(VALU_DEP_4)
	v_mul_f32_e32 v16, v14, v7
	v_mul_f32_e32 v22, v22, v27
	;; [unrolled: 1-line block ×9, first 2 shown]
	v_dual_mul_f32 v40, v18, v27 :: v_dual_mul_f32 v19, v3, v28
	v_dual_mul_f32 v20, v4, v5 :: v_dual_mul_f32 v21, v21, v27
	v_mul_f32_e32 v23, v23, v27
	v_dual_mul_f32 v25, v25, v27 :: v_dual_mul_f32 v4, v22, v2
	v_dual_mul_f32 v15, v13, v30 :: v_dual_mul_f32 v12, v42, v1
	v_mul_f32_e32 v18, v11, v29
	v_cvt_f32_u32_e32 v33, v33
	v_mul_f32_e32 v14, v40, v8
	v_dual_mul_f32 v3, v21, v34 :: v_dual_and_b32 v2, 0x7fffffff, v20
	v_dual_mul_f32 v6, v26, v38 :: v_dual_mul_f32 v11, v41, v32
	v_mul_f32_e32 v8, v24, v37
	v_dual_mul_f32 v13, v39, v31 :: v_dual_and_b32 v24, 0x7fffffff, v16
	v_and_b32_e32 v26, 0x7fffffff, v14
	v_and_b32_e32 v1, 0x7fffffff, v19
	;;#ASMSTART
	v_max3_f32 v1, v36, v1, v2

	;;#ASMEND
	v_dual_mul_f32 v5, v25, v35 :: v_dual_and_b32 v30, 0x7fffffff, v4
	v_and_b32_e32 v21, 0x7fffffff, v18
	v_and_b32_e32 v22, 0x7fffffff, v17
	v_dual_mul_f32 v7, v23, v33 :: v_dual_and_b32 v28, 0x7fffffff, v12
	;;#ASMSTART
	v_max3_f32 v1, v1, v21, v22

	;;#ASMEND
	v_and_b32_e32 v23, 0x7fffffff, v15
	;;#ASMSTART
	v_max3_f32 v1, v1, v23, v24

	;;#ASMEND
	v_and_b32_e32 v25, 0x7fffffff, v13
	;; [unrolled: 5-line block ×5, first 2 shown]
	v_and_b32_e32 v32, 0x7fffffff, v8
	v_and_b32_e32 v33, 0x7fffffff, v5
	;; [unrolled: 1-line block ×3, first 2 shown]
	;;#ASMSTART
	v_max3_f32 v1, v1, v31, v32

	;;#ASMEND
	;;#ASMSTART
	v_max3_f32 v21, v1, v33, v34

	;;#ASMEND
	s_cbranch_scc0 .LBB48_10
; %bb.4:
	s_ashr_i32 s7, s18, 31
	s_delay_alu instid0(SALU_CYCLE_1) | instskip(NEXT) | instid1(SALU_CYCLE_1)
	s_lshr_b32 s1, s7, 28
	s_add_i32 s1, s18, s1
	s_delay_alu instid0(SALU_CYCLE_1) | instskip(NEXT) | instid1(SALU_CYCLE_1)
	s_ashr_i32 s1, s1, 4
	s_cmp_lt_i32 s1, 8
	s_cbranch_scc1 .LBB48_11
; %bb.5:
	s_cmp_lt_i32 s1, 16
	s_cbranch_scc1 .LBB48_12
; %bb.6:
	;; [unrolled: 3-line block ×3, first 2 shown]
	v_mov_b32_e32 v1, v21
	s_cmp_eq_u32 s1, 32
	s_cbranch_scc0 .LBB48_9
; %bb.8:
	s_delay_alu instid0(VALU_DEP_1) | instskip(SKIP_1) | instid1(VALU_DEP_1)
	v_mov_b32_dpp v1, v21 quad_perm:[1,0,3,2] row_mask:0xf bank_mask:0xf
	s_mov_b32 s2, 0x76543210
	v_cmp_gt_f32_e32 vcc_lo, v21, v1
	v_cndmask_b32_e32 v1, v1, v21, vcc_lo
	s_delay_alu instid0(VALU_DEP_1) | instskip(NEXT) | instid1(VALU_DEP_1)
	v_mov_b32_dpp v2, v1 quad_perm:[2,3,0,1] row_mask:0xf bank_mask:0xf
	v_cmp_gt_f32_e32 vcc_lo, v1, v2
	v_cndmask_b32_e32 v1, v2, v1, vcc_lo
	s_delay_alu instid0(VALU_DEP_1) | instskip(NEXT) | instid1(VALU_DEP_1)
	v_mov_b32_dpp v2, v1 row_xmask:7 row_mask:0xf bank_mask:0xf
	v_cmp_gt_f32_e32 vcc_lo, v1, v2
	v_cndmask_b32_e32 v1, v2, v1, vcc_lo
	s_delay_alu instid0(VALU_DEP_1) | instskip(NEXT) | instid1(VALU_DEP_1)
	v_mov_b32_dpp v2, v1 row_xmask:15 row_mask:0xf bank_mask:0xf
	v_cmp_gt_f32_e32 vcc_lo, v1, v2
	v_cndmask_b32_e32 v1, v2, v1, vcc_lo
	s_delay_alu instid0(VALU_DEP_1) | instskip(NEXT) | instid1(VALU_DEP_1)
	v_permlanex16_b32 v2, v1, s2, 0xfedcba98 op_sel:[1,1]
	v_cmp_gt_f32_e32 vcc_lo, v1, v2
	v_cndmask_b32_e32 v1, v2, v1, vcc_lo
.LBB48_9:
	s_mov_b32 s2, 0
	s_branch .LBB48_14
.LBB48_10:
	s_mov_b32 s1, 0
                                        ; implicit-def: $vgpr22
                                        ; implicit-def: $vgpr1_vgpr2
	s_and_b32 vcc_lo, exec_lo, s31
	s_cbranch_vccnz .LBB48_38
	s_branch .LBB48_41
.LBB48_11:
                                        ; implicit-def: $vgpr1
	s_branch .LBB48_21
.LBB48_12:
                                        ; implicit-def: $vgpr1
	s_branch .LBB48_18
.LBB48_13:
	s_mov_b32 s2, -1
                                        ; implicit-def: $vgpr1
.LBB48_14:
	s_delay_alu instid0(SALU_CYCLE_1)
	s_and_not1_b32 vcc_lo, exec_lo, s2
	s_cbranch_vccnz .LBB48_17
; %bb.15:
	v_mov_b32_e32 v1, v21
	s_cmp_eq_u32 s1, 16
	s_cbranch_scc0 .LBB48_17
; %bb.16:
	s_delay_alu instid0(VALU_DEP_1) | instskip(NEXT) | instid1(VALU_DEP_1)
	v_mov_b32_dpp v1, v21 quad_perm:[1,0,3,2] row_mask:0xf bank_mask:0xf
	v_cmp_gt_f32_e32 vcc_lo, v21, v1
	v_cndmask_b32_e32 v1, v1, v21, vcc_lo
	s_delay_alu instid0(VALU_DEP_1) | instskip(NEXT) | instid1(VALU_DEP_1)
	v_mov_b32_dpp v2, v1 quad_perm:[2,3,0,1] row_mask:0xf bank_mask:0xf
	v_cmp_gt_f32_e32 vcc_lo, v1, v2
	v_cndmask_b32_e32 v1, v2, v1, vcc_lo
	s_delay_alu instid0(VALU_DEP_1) | instskip(NEXT) | instid1(VALU_DEP_1)
	v_mov_b32_dpp v2, v1 row_half_mirror row_mask:0xf bank_mask:0xf
	v_cmp_gt_f32_e32 vcc_lo, v1, v2
	v_cndmask_b32_e32 v1, v2, v1, vcc_lo
	s_delay_alu instid0(VALU_DEP_1) | instskip(NEXT) | instid1(VALU_DEP_1)
	v_mov_b32_dpp v2, v1 row_mirror row_mask:0xf bank_mask:0xf
	v_cmp_gt_f32_e32 vcc_lo, v1, v2
	v_cndmask_b32_e32 v1, v2, v1, vcc_lo
.LBB48_17:
	s_cbranch_execnz .LBB48_20
.LBB48_18:
	v_mov_b32_e32 v1, v21
	s_cmp_eq_u32 s1, 8
	s_cbranch_scc0 .LBB48_20
; %bb.19:
	s_delay_alu instid0(VALU_DEP_1) | instskip(NEXT) | instid1(VALU_DEP_1)
	v_mov_b32_dpp v1, v21 quad_perm:[1,0,3,2] row_mask:0xf bank_mask:0xf
	v_cmp_gt_f32_e32 vcc_lo, v21, v1
	v_cndmask_b32_e32 v1, v1, v21, vcc_lo
	s_delay_alu instid0(VALU_DEP_1) | instskip(NEXT) | instid1(VALU_DEP_1)
	v_mov_b32_dpp v2, v1 quad_perm:[2,3,0,1] row_mask:0xf bank_mask:0xf
	v_cmp_gt_f32_e32 vcc_lo, v1, v2
	v_cndmask_b32_e32 v1, v2, v1, vcc_lo
	s_delay_alu instid0(VALU_DEP_1) | instskip(NEXT) | instid1(VALU_DEP_1)
	v_mov_b32_dpp v2, v1 row_half_mirror row_mask:0xf bank_mask:0xf
	v_cmp_gt_f32_e32 vcc_lo, v1, v2
	v_cndmask_b32_e32 v1, v2, v1, vcc_lo
.LBB48_20:
	s_cbranch_execnz .LBB48_28
.LBB48_21:
	s_cmp_lt_i32 s1, 4
	s_cbranch_scc1 .LBB48_24
; %bb.22:
	v_mov_b32_e32 v1, v21
	s_cmp_eq_u32 s1, 4
	s_cbranch_scc0 .LBB48_25
; %bb.23:
	s_delay_alu instid0(VALU_DEP_1) | instskip(NEXT) | instid1(VALU_DEP_1)
	v_mov_b32_dpp v1, v21 quad_perm:[1,0,3,2] row_mask:0xf bank_mask:0xf
	v_cmp_gt_f32_e32 vcc_lo, v21, v1
	v_cndmask_b32_e32 v1, v1, v21, vcc_lo
	s_delay_alu instid0(VALU_DEP_1) | instskip(NEXT) | instid1(VALU_DEP_1)
	v_mov_b32_dpp v2, v1 quad_perm:[2,3,0,1] row_mask:0xf bank_mask:0xf
	v_cmp_gt_f32_e32 vcc_lo, v1, v2
	v_cndmask_b32_e32 v1, v2, v1, vcc_lo
	s_cbranch_execz .LBB48_26
	s_branch .LBB48_28
.LBB48_24:
                                        ; implicit-def: $vgpr1
	s_branch .LBB48_26
.LBB48_25:
	s_cbranch_execnz .LBB48_28
.LBB48_26:
	v_mov_b32_e32 v1, v21
	s_cmp_lg_u32 s1, 2
	s_cbranch_scc1 .LBB48_28
; %bb.27:
	s_delay_alu instid0(VALU_DEP_1) | instskip(NEXT) | instid1(VALU_DEP_1)
	v_mov_b32_dpp v1, v21 quad_perm:[1,0,3,2] row_mask:0xf bank_mask:0xf
	v_cmp_gt_f32_e32 vcc_lo, v21, v1
	v_cndmask_b32_e32 v1, v1, v21, vcc_lo
.LBB48_28:
	v_cvt_f32_u32_e32 v2, s1
	s_sub_i32 s2, 0, s1
	s_mov_b32 s31, 0
	s_delay_alu instid0(VALU_DEP_1) | instskip(SKIP_2) | instid1(VALU_DEP_1)
	v_rcp_iflag_f32_e32 v2, v2
	s_waitcnt_depctr 0xfff
	v_mul_f32_e32 v2, 0x4f7ffffe, v2
	v_cvt_u32_f32_e32 v2, v2
	s_delay_alu instid0(VALU_DEP_1) | instskip(NEXT) | instid1(VALU_DEP_1)
	v_mul_lo_u32 v22, s2, v2
	v_mul_hi_u32 v22, v2, v22
	s_delay_alu instid0(VALU_DEP_1) | instskip(NEXT) | instid1(VALU_DEP_1)
	v_add_nc_u32_e32 v2, v2, v22
	v_mul_hi_u32 v2, v0, v2
	s_delay_alu instid0(VALU_DEP_1) | instskip(NEXT) | instid1(VALU_DEP_1)
	v_mul_lo_u32 v22, v2, s1
	v_sub_nc_u32_e32 v22, v0, v22
	s_delay_alu instid0(VALU_DEP_1) | instskip(SKIP_1) | instid1(VALU_DEP_2)
	v_subrev_nc_u32_e32 v24, s1, v22
	v_cmp_le_u32_e32 vcc_lo, s1, v22
	v_dual_cndmask_b32 v22, v22, v24 :: v_dual_add_nc_u32 v23, 1, v2
	s_delay_alu instid0(VALU_DEP_1) | instskip(NEXT) | instid1(VALU_DEP_2)
	v_cndmask_b32_e32 v2, v2, v23, vcc_lo
	v_cmp_le_u32_e32 vcc_lo, s1, v22
	s_delay_alu instid0(VALU_DEP_2) | instskip(NEXT) | instid1(VALU_DEP_1)
	v_dual_mul_f32 v22, 0x3c010204, v1 :: v_dual_add_nc_u32 v23, 1, v2
	v_cndmask_b32_e32 v23, v2, v23, vcc_lo
	v_cmp_gt_u32_e32 vcc_lo, s13, v9
	s_delay_alu instid0(VALU_DEP_2) | instskip(NEXT) | instid1(VALU_DEP_1)
	v_mul_lo_u32 v2, v23, s1
	v_sub_nc_u32_e32 v2, v0, v2
	s_delay_alu instid0(VALU_DEP_1) | instskip(NEXT) | instid1(VALU_DEP_1)
	v_cmp_eq_u32_e64 s1, 0, v2
                                        ; implicit-def: $vgpr1_vgpr2
	s_and_b32 s2, s1, vcc_lo
	s_mov_b32 s1, 0
	s_and_saveexec_b32 s3, s2
	s_delay_alu instid0(SALU_CYCLE_1)
	s_xor_b32 s14, exec_lo, s3
	s_cbranch_execz .LBB48_37
; %bb.29:
	s_bitcmp0_b32 s19, 0
	s_mov_b32 s6, 0
	s_cbranch_scc0 .LBB48_34
; %bb.30:
	s_ashr_i32 s1, s13, 31
	s_mul_hi_u32 s3, s13, s34
	s_mul_i32 s1, s1, s34
	s_mul_i32 s2, s13, s34
	s_add_i32 s3, s3, s1
	s_mov_b32 s19, s7
	s_delay_alu instid0(SALU_CYCLE_1) | instskip(NEXT) | instid1(SALU_CYCLE_1)
	s_or_b64 s[10:11], s[2:3], s[18:19]
	s_mov_b32 s7, s11
	s_delay_alu instid0(SALU_CYCLE_1)
	s_cmp_lg_u64 s[6:7], 0
	s_cbranch_scc0 .LBB48_45
; %bb.31:
	s_add_u32 s10, s18, s19
	s_mov_b32 s6, s19
	s_mov_b32 s7, s19
	s_addc_u32 s11, s19, s19
	s_delay_alu instid0(SALU_CYCLE_1) | instskip(NEXT) | instid1(SALU_CYCLE_1)
	s_xor_b64 s[10:11], s[10:11], s[6:7]
	v_cvt_f32_u32_e32 v1, s10
	v_cvt_f32_u32_e32 v2, s11
	s_sub_u32 s16, 0, s10
	s_subb_u32 s19, 0, s11
	s_delay_alu instid0(VALU_DEP_1) | instskip(NEXT) | instid1(VALU_DEP_1)
	v_fmamk_f32 v1, v2, 0x4f800000, v1
	v_rcp_f32_e32 v1, v1
	s_waitcnt_depctr 0xfff
	v_mul_f32_e32 v1, 0x5f7ffffc, v1
	s_delay_alu instid0(VALU_DEP_1) | instskip(NEXT) | instid1(VALU_DEP_1)
	v_mul_f32_e32 v2, 0x2f800000, v1
	v_trunc_f32_e32 v2, v2
	s_delay_alu instid0(VALU_DEP_1) | instskip(SKIP_1) | instid1(VALU_DEP_2)
	v_fmamk_f32 v1, v2, 0xcf800000, v1
	v_cvt_u32_f32_e32 v2, v2
	v_cvt_u32_f32_e32 v1, v1
	s_delay_alu instid0(VALU_DEP_2) | instskip(NEXT) | instid1(VALU_DEP_2)
	v_readfirstlane_b32 s1, v2
	v_readfirstlane_b32 s15, v1
	s_delay_alu instid0(VALU_DEP_2) | instskip(NEXT) | instid1(VALU_DEP_1)
	s_mul_i32 s20, s16, s1
	s_mul_hi_u32 s22, s16, s15
	s_mul_i32 s21, s19, s15
	s_add_i32 s20, s22, s20
	s_mul_i32 s23, s16, s15
	s_add_i32 s20, s20, s21
	s_mul_hi_u32 s22, s15, s23
	s_mul_hi_u32 s24, s1, s23
	s_mul_i32 s21, s1, s23
	s_mul_hi_u32 s23, s15, s20
	s_mul_i32 s15, s15, s20
	s_mul_hi_u32 s25, s1, s20
	s_add_u32 s15, s22, s15
	s_addc_u32 s22, 0, s23
	s_add_u32 s15, s15, s21
	s_mul_i32 s20, s1, s20
	s_addc_u32 s15, s22, s24
	s_addc_u32 s21, s25, 0
	s_add_u32 s15, s15, s20
	s_addc_u32 s20, 0, s21
	v_add_co_u32 v1, s15, v1, s15
	s_delay_alu instid0(VALU_DEP_1) | instskip(SKIP_1) | instid1(VALU_DEP_1)
	s_cmp_lg_u32 s15, 0
	s_addc_u32 s1, s1, s20
	v_readfirstlane_b32 s15, v1
	s_mul_i32 s20, s16, s1
	s_delay_alu instid0(VALU_DEP_1)
	s_mul_hi_u32 s21, s16, s15
	s_mul_i32 s19, s19, s15
	s_add_i32 s20, s21, s20
	s_mul_i32 s16, s16, s15
	s_add_i32 s20, s20, s19
	s_mul_hi_u32 s21, s1, s16
	s_mul_i32 s22, s1, s16
	s_mul_hi_u32 s16, s15, s16
	s_mul_hi_u32 s23, s15, s20
	s_mul_i32 s15, s15, s20
	s_mul_hi_u32 s19, s1, s20
	s_add_u32 s15, s16, s15
	s_addc_u32 s16, 0, s23
	s_add_u32 s15, s15, s22
	s_mul_i32 s20, s1, s20
	s_addc_u32 s15, s16, s21
	s_addc_u32 s16, s19, 0
	s_add_u32 s15, s15, s20
	s_addc_u32 s16, 0, s16
	v_add_co_u32 v1, s15, v1, s15
	s_delay_alu instid0(VALU_DEP_1) | instskip(SKIP_2) | instid1(SALU_CYCLE_1)
	s_cmp_lg_u32 s15, 0
	s_addc_u32 s1, s1, s16
	s_ashr_i32 s20, s3, 31
	s_add_u32 s22, s2, s20
	s_addc_u32 s23, s3, s20
	v_readfirstlane_b32 s3, v1
	s_mov_b32 s21, s20
	s_delay_alu instid0(SALU_CYCLE_1) | instskip(NEXT) | instid1(SALU_CYCLE_1)
	s_xor_b64 s[22:23], s[22:23], s[20:21]
	s_mul_i32 s16, s22, s1
	s_delay_alu instid0(VALU_DEP_1)
	s_mul_hi_u32 s19, s22, s3
	s_mul_hi_u32 s15, s22, s1
	;; [unrolled: 1-line block ×3, first 2 shown]
	s_mul_i32 s3, s23, s3
	s_add_u32 s16, s19, s16
	s_addc_u32 s15, 0, s15
	s_mul_hi_u32 s24, s23, s1
	s_add_u32 s3, s16, s3
	s_mul_i32 s1, s23, s1
	s_addc_u32 s3, s15, s25
	s_addc_u32 s15, s24, 0
	s_add_u32 s3, s3, s1
	s_addc_u32 s15, 0, s15
	s_mul_hi_u32 s1, s10, s3
	s_mul_i32 s19, s10, s15
	s_mul_i32 s24, s10, s3
	s_add_i32 s1, s1, s19
	v_sub_co_u32 v1, s19, s22, s24
	s_mul_i32 s16, s11, s3
	s_delay_alu instid0(SALU_CYCLE_1) | instskip(NEXT) | instid1(VALU_DEP_1)
	s_add_i32 s1, s1, s16
	v_sub_co_u32 v2, s22, v1, s10
	s_sub_i32 s16, s23, s1
	s_cmp_lg_u32 s19, 0
	s_subb_u32 s16, s16, s11
	s_cmp_lg_u32 s22, 0
	v_cmp_le_u32_e32 vcc_lo, s10, v2
	s_subb_u32 s16, s16, 0
	s_delay_alu instid0(SALU_CYCLE_1)
	s_cmp_ge_u32 s16, s11
	v_cndmask_b32_e64 v2, 0, -1, vcc_lo
	s_cselect_b32 s22, -1, 0
	s_cmp_eq_u32 s16, s11
	s_cselect_b32 vcc_lo, -1, 0
	s_add_u32 s16, s3, 1
	v_cndmask_b32_e32 v2, s22, v2, vcc_lo
	s_addc_u32 s22, s15, 0
	s_add_u32 s24, s3, 2
	s_addc_u32 s25, s15, 0
	s_cmp_lg_u32 s19, 0
	v_cmp_le_u32_e32 vcc_lo, s10, v1
	s_subb_u32 s1, s23, s1
	v_mov_b32_e32 v24, s24
	s_cmp_ge_u32 s1, s11
	v_cndmask_b32_e64 v1, 0, -1, vcc_lo
	s_cselect_b32 s10, -1, 0
	s_cmp_eq_u32 s1, s11
	v_cmp_ne_u32_e32 vcc_lo, 0, v2
	v_mov_b32_e32 v2, s25
	s_cselect_b32 s1, -1, 0
	s_xor_b64 s[6:7], s[20:21], s[6:7]
	v_cndmask_b32_e64 v1, s10, v1, s1
	v_cndmask_b32_e32 v24, s16, v24, vcc_lo
	v_cndmask_b32_e32 v2, s22, v2, vcc_lo
	s_delay_alu instid0(VALU_DEP_3) | instskip(NEXT) | instid1(VALU_DEP_2)
	v_cmp_ne_u32_e32 vcc_lo, 0, v1
	v_cndmask_b32_e32 v1, s15, v2, vcc_lo
	s_delay_alu instid0(VALU_DEP_4) | instskip(NEXT) | instid1(VALU_DEP_2)
	v_cndmask_b32_e32 v2, s3, v24, vcc_lo
	v_xor_b32_e32 v24, s7, v1
	s_delay_alu instid0(VALU_DEP_2) | instskip(NEXT) | instid1(VALU_DEP_1)
	v_xor_b32_e32 v2, s6, v2
	v_sub_co_u32 v1, vcc_lo, v2, s6
	s_delay_alu instid0(VALU_DEP_3)
	v_subrev_co_ci_u32_e32 v2, vcc_lo, s7, v24, vcc_lo
	s_cbranch_execnz .LBB48_33
.LBB48_32:
	v_cvt_f32_u32_e32 v1, s18
	s_sub_i32 s3, 0, s18
	s_delay_alu instid0(VALU_DEP_1) | instskip(SKIP_2) | instid1(VALU_DEP_1)
	v_rcp_iflag_f32_e32 v1, v1
	s_waitcnt_depctr 0xfff
	v_mul_f32_e32 v1, 0x4f7ffffe, v1
	v_cvt_u32_f32_e32 v1, v1
	s_delay_alu instid0(VALU_DEP_1) | instskip(NEXT) | instid1(VALU_DEP_1)
	v_readfirstlane_b32 s1, v1
	s_mul_i32 s3, s3, s1
	s_delay_alu instid0(SALU_CYCLE_1) | instskip(NEXT) | instid1(SALU_CYCLE_1)
	s_mul_hi_u32 s3, s1, s3
	s_add_i32 s1, s1, s3
	s_delay_alu instid0(SALU_CYCLE_1) | instskip(NEXT) | instid1(SALU_CYCLE_1)
	s_mul_hi_u32 s1, s2, s1
	s_mul_i32 s3, s1, s18
	s_delay_alu instid0(SALU_CYCLE_1)
	s_sub_i32 s2, s2, s3
	s_add_i32 s3, s1, 1
	s_sub_i32 s6, s2, s18
	s_cmp_ge_u32 s2, s18
	s_cselect_b32 s1, s3, s1
	s_cselect_b32 s2, s6, s2
	s_add_i32 s6, s1, 1
	s_cmp_ge_u32 s2, s18
	s_mov_b32 s3, 0
	s_cselect_b32 s2, s6, s1
	s_delay_alu instid0(SALU_CYCLE_1)
	v_dual_mov_b32 v1, s2 :: v_dual_mov_b32 v2, s3
.LBB48_33:
	s_delay_alu instid0(VALU_DEP_1) | instskip(NEXT) | instid1(VALU_DEP_2)
	v_add_co_u32 v1, vcc_lo, v1, v23
	v_add_co_ci_u32_e32 v2, vcc_lo, 0, v2, vcc_lo
	s_branch .LBB48_36
.LBB48_34:
                                        ; implicit-def: $vgpr1_vgpr2
	s_cbranch_execz .LBB48_36
; %bb.35:
	v_mul_lo_u32 v1, v23, s12
	s_delay_alu instid0(VALU_DEP_1) | instskip(SKIP_1) | instid1(VALU_DEP_2)
	v_ashrrev_i32_e32 v2, 31, v1
	v_add_co_u32 v1, vcc_lo, v1, s34
	v_add_co_ci_u32_e32 v2, vcc_lo, 0, v2, vcc_lo
.LBB48_36:
	s_mov_b32 s1, exec_lo
.LBB48_37:
	s_or_b32 exec_lo, exec_lo, s14
	s_delay_alu instid0(SALU_CYCLE_1)
	s_and_b32 vcc_lo, exec_lo, s31
	s_cbranch_vccz .LBB48_41
.LBB48_38:
	v_mov_b32_dpp v1, v21 quad_perm:[1,0,3,2] row_mask:0xf bank_mask:0xf
	s_delay_alu instid0(VALU_DEP_1) | instskip(SKIP_1) | instid1(VALU_DEP_1)
	v_cmp_gt_f32_e32 vcc_lo, v21, v1
	v_cndmask_b32_e32 v1, v1, v21, vcc_lo
	v_mov_b32_dpp v2, v1 quad_perm:[2,3,0,1] row_mask:0xf bank_mask:0xf
	s_delay_alu instid0(VALU_DEP_1) | instskip(SKIP_1) | instid1(VALU_DEP_1)
	v_cmp_gt_f32_e32 vcc_lo, v1, v2
	v_cndmask_b32_e32 v1, v2, v1, vcc_lo
	v_mov_b32_dpp v2, v1 row_xmask:7 row_mask:0xf bank_mask:0xf
	s_delay_alu instid0(VALU_DEP_1) | instskip(SKIP_1) | instid1(VALU_DEP_1)
	v_cmp_gt_f32_e32 vcc_lo, v1, v2
	v_cndmask_b32_e32 v1, v2, v1, vcc_lo
	v_mov_b32_dpp v2, v1 row_xmask:15 row_mask:0xf bank_mask:0xf
	s_delay_alu instid0(VALU_DEP_1)
	v_cmp_gt_f32_e32 vcc_lo, v1, v2
	s_and_saveexec_b32 s1, s0
	s_cbranch_execz .LBB48_40
; %bb.39:
	v_cndmask_b32_e32 v1, v2, v1, vcc_lo
	v_lshrrev_b32_e32 v2, 3, v0
	s_mov_b32 s0, 0x76543210
	s_delay_alu instid0(VALU_DEP_1) | instskip(NEXT) | instid1(VALU_DEP_3)
	v_and_b32_e32 v2, 0x7c, v2
	v_permlanex16_b32 v21, v1, s0, 0xfedcba98 op_sel:[1,1]
	s_delay_alu instid0(VALU_DEP_1)
	v_cmp_gt_f32_e32 vcc_lo, v1, v21
	v_cndmask_b32_e32 v1, v21, v1, vcc_lo
	ds_store_b32 v2, v1
.LBB48_40:
	s_or_b32 exec_lo, exec_lo, s1
	s_waitcnt lgkmcnt(0)
	s_barrier
	buffer_gl0_inv
	ds_load_b32 v1, v10
	v_cmp_eq_u32_e64 s1, 0, v0
	s_waitcnt lgkmcnt(0)
	v_mov_b32_dpp v2, v1 quad_perm:[1,0,3,2] row_mask:0xf bank_mask:0xf
	s_delay_alu instid0(VALU_DEP_1) | instskip(SKIP_1) | instid1(VALU_DEP_1)
	v_cmp_gt_f32_e32 vcc_lo, v1, v2
	v_cndmask_b32_e32 v1, v2, v1, vcc_lo
	v_mov_b32_dpp v2, v1 quad_perm:[2,3,0,1] row_mask:0xf bank_mask:0xf
	s_delay_alu instid0(VALU_DEP_1) | instskip(SKIP_1) | instid1(VALU_DEP_1)
	v_cmp_gt_f32_e32 vcc_lo, v1, v2
	v_cndmask_b32_e32 v1, v2, v1, vcc_lo
	v_mov_b32_dpp v2, v1 row_xmask:7 row_mask:0xf bank_mask:0xf
	s_delay_alu instid0(VALU_DEP_1) | instskip(SKIP_1) | instid1(VALU_DEP_1)
	v_cmp_gt_f32_e32 vcc_lo, v1, v2
	v_cndmask_b32_e32 v1, v2, v1, vcc_lo
	v_dual_mul_f32 v22, 0x3c010204, v1 :: v_dual_mov_b32 v1, s34
	v_mov_b32_e32 v2, s35
.LBB48_41:
	s_and_saveexec_b32 s0, s1
	s_cbranch_execz .LBB48_43
; %bb.42:
	s_delay_alu instid0(VALU_DEP_1) | instskip(NEXT) | instid1(VALU_DEP_1)
	v_lshlrev_b64 v[0:1], 2, v[1:2]
	v_add_co_u32 v0, vcc_lo, s8, v0
	s_delay_alu instid0(VALU_DEP_2)
	v_add_co_ci_u32_e32 v1, vcc_lo, s9, v1, vcc_lo
	global_store_b32 v[0:1], v22, off
.LBB48_43:
	s_or_b32 exec_lo, exec_lo, s0
	;;#ASMSTART
	v_rcp_f32 v0, v22
	;;#ASMEND
	v_mul_f32_e32 v6, v6, v0
	v_mul_f32_e32 v5, v5, v0
	;; [unrolled: 1-line block ×5, first 2 shown]
	v_cvt_i32_f32_e32 v6, v6
	v_cvt_i32_f32_e32 v5, v5
	v_mul_f32_e32 v10, v18, v0
	v_cvt_i32_f32_e32 v11, v11
	v_mul_f32_e32 v16, v16, v0
	v_lshlrev_b16 v6, 8, v6
	v_and_b32_e32 v5, 0xff, v5
	v_cvt_i32_f32_e32 v10, v10
	v_and_b32_e32 v11, 0xff, v11
	v_mul_f32_e32 v13, v13, v0
	v_cvt_i32_f32_e32 v7, v7
	v_or_b32_e32 v5, v5, v6
	v_and_b32_e32 v10, 0xff, v10
	v_mul_f32_e32 v12, v12, v0
	s_delay_alu instid0(VALU_DEP_4) | instskip(NEXT) | instid1(VALU_DEP_4)
	v_dual_mul_f32 v2, v20, v0 :: v_dual_and_b32 v7, 0xff, v7
	v_lshlrev_b32_e32 v5, 16, v5
	v_cvt_i32_f32_e32 v13, v13
	s_delay_alu instid0(VALU_DEP_4)
	v_cvt_i32_f32_e32 v12, v12
	v_mul_f32_e32 v15, v15, v0
	v_mul_f32_e32 v4, v4, v0
	v_cvt_i32_f32_e32 v2, v2
	v_cvt_i32_f32_e32 v16, v16
	v_lshlrev_b16 v12, 8, v12
	s_add_i32 s0, s13, 3
	v_cvt_i32_f32_e32 v4, v4
	v_lshlrev_b16 v2, 8, v2
	s_ashr_i32 s2, s0, 31
	v_or_b32_e32 v6, v11, v12
	v_dual_mul_f32 v1, v19, v0 :: v_dual_and_b32 v12, 0xff, v13
	v_cvt_i32_f32_e32 v15, v15
	s_delay_alu instid0(VALU_DEP_3) | instskip(SKIP_1) | instid1(VALU_DEP_4)
	v_dual_mul_f32 v17, v17, v0 :: v_dual_and_b32 v6, 0xffff, v6
	v_lshlrev_b16 v4, 8, v4
	v_cvt_i32_f32_e32 v1, v1
	v_mul_f32_e32 v8, v8, v0
	v_mul_f32_e32 v0, v3, v0
	s_lshr_b32 s2, s2, 30
	s_ashr_i32 s1, s17, 31
	v_and_b32_e32 v1, 0xff, v1
	v_cvt_i32_f32_e32 v8, v8
	v_cvt_i32_f32_e32 v0, v0
	s_add_i32 s0, s0, s2
	s_mul_hi_u32 s3, s17, s34
	v_or_b32_e32 v1, v1, v2
	v_lshlrev_b16 v8, 8, v8
	v_and_b32_e32 v0, 0xff, v0
	s_mul_i32 s1, s1, s34
	s_and_b32 s2, s0, -4
	s_mul_i32 s0, s17, s34
	v_or_b32_e32 v3, v7, v8
	v_and_b32_e32 v8, 0xff, v15
	v_cvt_i32_f32_e32 v17, v17
	v_lshlrev_b16 v7, 8, v16
	v_or_b32_e32 v0, v0, v4
	v_and_b32_e32 v3, 0xffff, v3
	v_cvt_i32_f32_e32 v14, v14
	v_lshlrev_b16 v13, 8, v17
	v_or_b32_e32 v4, v8, v7
	v_lshlrev_b32_e32 v0, 16, v0
	v_and_b32_e32 v8, 0xffff, v1
	v_lshlrev_b16 v11, 8, v14
	v_or_b32_e32 v2, v10, v13
	v_and_b32_e32 v4, 0xffff, v4
	s_add_i32 s3, s3, s1
	s_add_u32 s0, s4, s0
	v_or_b32_e32 v7, v12, v11
	v_lshlrev_b32_e32 v10, 16, v2
	v_or_b32_e32 v3, v3, v5
	v_or_b32_e32 v2, v6, v0
	s_addc_u32 s1, s5, s3
	v_lshlrev_b32_e32 v7, 16, v7
	v_or_b32_e32 v0, v8, v10
	s_and_b32 s1, s1, 0xffff
	s_mov_b32 s3, -1
	s_delay_alu instid0(VALU_DEP_2)
	v_or_b32_e32 v1, v4, v7
	buffer_store_b128 v[0:3], v9, s[0:3], 0 offen
	;;#ASMSTART
	s_nop 0
	;;#ASMEND
.LBB48_44:
	s_nop 0
	s_sendmsg sendmsg(MSG_DEALLOC_VGPRS)
	s_endpgm
.LBB48_45:
                                        ; implicit-def: $vgpr1_vgpr2
	s_branch .LBB48_32
	.section	.rodata,"a",@progbits
	.p2align	6, 0x0
	.amdhsa_kernel _ZN5aiter24add_rmsnorm_quant_kernelItaLi256ELi16ELb1ELb1ELb0ELi1EEEvPT0_PT_PfS4_S4_S4_diiiiiiib
		.amdhsa_group_segment_fixed_size 64
		.amdhsa_private_segment_fixed_size 0
		.amdhsa_kernarg_size 88
		.amdhsa_user_sgpr_count 15
		.amdhsa_user_sgpr_dispatch_ptr 0
		.amdhsa_user_sgpr_queue_ptr 0
		.amdhsa_user_sgpr_kernarg_segment_ptr 1
		.amdhsa_user_sgpr_dispatch_id 0
		.amdhsa_user_sgpr_private_segment_size 0
		.amdhsa_wavefront_size32 1
		.amdhsa_uses_dynamic_stack 0
		.amdhsa_enable_private_segment 0
		.amdhsa_system_sgpr_workgroup_id_x 1
		.amdhsa_system_sgpr_workgroup_id_y 0
		.amdhsa_system_sgpr_workgroup_id_z 0
		.amdhsa_system_sgpr_workgroup_info 0
		.amdhsa_system_vgpr_workitem_id 0
		.amdhsa_next_free_vgpr 43
		.amdhsa_next_free_sgpr 36
		.amdhsa_reserve_vcc 1
		.amdhsa_float_round_mode_32 0
		.amdhsa_float_round_mode_16_64 0
		.amdhsa_float_denorm_mode_32 3
		.amdhsa_float_denorm_mode_16_64 3
		.amdhsa_dx10_clamp 1
		.amdhsa_ieee_mode 1
		.amdhsa_fp16_overflow 0
		.amdhsa_workgroup_processor_mode 1
		.amdhsa_memory_ordered 1
		.amdhsa_forward_progress 0
		.amdhsa_shared_vgpr_count 0
		.amdhsa_exception_fp_ieee_invalid_op 0
		.amdhsa_exception_fp_denorm_src 0
		.amdhsa_exception_fp_ieee_div_zero 0
		.amdhsa_exception_fp_ieee_overflow 0
		.amdhsa_exception_fp_ieee_underflow 0
		.amdhsa_exception_fp_ieee_inexact 0
		.amdhsa_exception_int_div_zero 0
	.end_amdhsa_kernel
	.section	.text._ZN5aiter24add_rmsnorm_quant_kernelItaLi256ELi16ELb1ELb1ELb0ELi1EEEvPT0_PT_PfS4_S4_S4_diiiiiiib,"axG",@progbits,_ZN5aiter24add_rmsnorm_quant_kernelItaLi256ELi16ELb1ELb1ELb0ELi1EEEvPT0_PT_PfS4_S4_S4_diiiiiiib,comdat
.Lfunc_end48:
	.size	_ZN5aiter24add_rmsnorm_quant_kernelItaLi256ELi16ELb1ELb1ELb0ELi1EEEvPT0_PT_PfS4_S4_S4_diiiiiiib, .Lfunc_end48-_ZN5aiter24add_rmsnorm_quant_kernelItaLi256ELi16ELb1ELb1ELb0ELi1EEEvPT0_PT_PfS4_S4_S4_diiiiiiib
                                        ; -- End function
	.section	.AMDGPU.csdata,"",@progbits
; Kernel info:
; codeLenInByte = 4348
; NumSgprs: 38
; NumVgprs: 43
; ScratchSize: 0
; MemoryBound: 0
; FloatMode: 240
; IeeeMode: 1
; LDSByteSize: 64 bytes/workgroup (compile time only)
; SGPRBlocks: 4
; VGPRBlocks: 5
; NumSGPRsForWavesPerEU: 38
; NumVGPRsForWavesPerEU: 43
; Occupancy: 16
; WaveLimiterHint : 0
; COMPUTE_PGM_RSRC2:SCRATCH_EN: 0
; COMPUTE_PGM_RSRC2:USER_SGPR: 15
; COMPUTE_PGM_RSRC2:TRAP_HANDLER: 0
; COMPUTE_PGM_RSRC2:TGID_X_EN: 1
; COMPUTE_PGM_RSRC2:TGID_Y_EN: 0
; COMPUTE_PGM_RSRC2:TGID_Z_EN: 0
; COMPUTE_PGM_RSRC2:TIDIG_COMP_CNT: 0
	.section	.text._ZN5aiter24add_rmsnorm_quant_kernelIDF16_aLi256ELi24ELb1ELb1ELb1ELi1EEEvPT0_PT_PfS4_S4_S4_diiiiiiib,"axG",@progbits,_ZN5aiter24add_rmsnorm_quant_kernelIDF16_aLi256ELi24ELb1ELb1ELb1ELi1EEEvPT0_PT_PfS4_S4_S4_diiiiiiib,comdat
	.protected	_ZN5aiter24add_rmsnorm_quant_kernelIDF16_aLi256ELi24ELb1ELb1ELb1ELi1EEEvPT0_PT_PfS4_S4_S4_diiiiiiib ; -- Begin function _ZN5aiter24add_rmsnorm_quant_kernelIDF16_aLi256ELi24ELb1ELb1ELb1ELi1EEEvPT0_PT_PfS4_S4_S4_diiiiiiib
	.globl	_ZN5aiter24add_rmsnorm_quant_kernelIDF16_aLi256ELi24ELb1ELb1ELb1ELi1EEEvPT0_PT_PfS4_S4_S4_diiiiiiib
	.p2align	8
	.type	_ZN5aiter24add_rmsnorm_quant_kernelIDF16_aLi256ELi24ELb1ELb1ELb1ELi1EEEvPT0_PT_PfS4_S4_S4_diiiiiiib,@function
_ZN5aiter24add_rmsnorm_quant_kernelIDF16_aLi256ELi24ELb1ELb1ELb1ELi1EEEvPT0_PT_PfS4_S4_S4_diiiiiiib: ; @_ZN5aiter24add_rmsnorm_quant_kernelIDF16_aLi256ELi24ELb1ELb1ELb1ELi1EEEvPT0_PT_PfS4_S4_S4_diiiiiiib
; %bb.0:
	s_load_b256 s[4:11], s[0:1], 0x38
	s_mov_b32 s34, s15
	s_mov_b32 s35, 0
	s_waitcnt lgkmcnt(0)
	s_ashr_i32 s3, s4, 31
	s_mov_b32 s2, s4
	s_delay_alu instid0(SALU_CYCLE_1) | instskip(NEXT) | instid1(VALU_DEP_1)
	v_cmp_ge_i64_e64 s2, s[34:35], s[2:3]
	s_and_b32 vcc_lo, exec_lo, s2
	s_cbranch_vccnz .LBB49_44
; %bb.1:
	s_clause 0x1
	s_load_b256 s[12:19], s[0:1], 0x0
	s_load_b256 s[20:27], s[0:1], 0x20
	v_and_b32_e32 v1, 0x3e0, v0
	s_ashr_i32 s0, s6, 31
	s_mul_hi_u32 s3, s6, s34
	s_mul_i32 s0, s0, s34
	s_waitcnt lgkmcnt(0)
	s_mul_i32 s26, s6, s34
	v_lshlrev_b32_e32 v2, 3, v0
	v_mul_u32_u24_e32 v1, 24, v1
	s_add_i32 s27, s3, s0
	s_mul_hi_u32 s33, s7, s34
	s_lshl_b64 s[26:27], s[26:27], 1
	s_mul_i32 s6, s7, s34
	v_and_or_b32 v13, 0xf8, v2, v1
	s_mov_b32 s31, -1
	s_movk_i32 s2, 0x400
	s_movk_i32 s1, 0x200
	s_mov_b32 s39, s31
	v_lshlrev_b32_e32 v14, 1, v13
	s_add_u32 s28, s18, s26
	s_addc_u32 s0, s19, s27
	s_add_i32 s3, s5, 1
	s_ashr_i32 s7, s7, 31
	s_lshr_b32 s18, s3, 31
	s_mul_i32 s7, s7, s34
	s_add_i32 s3, s3, s18
	s_and_b32 s29, s0, 0xffff
	s_lshl_b32 s0, s3, 1
	s_add_i32 s7, s33, s7
	s_and_b32 s30, s0, -4
	s_lshl_b64 s[6:7], s[6:7], 1
	s_and_b32 s37, s23, 0xffff
	s_clause 0x2
	buffer_load_b128 v[15:18], v14, s[28:31], 0 offen glc slc
	buffer_load_b128 v[23:26], v14, s[28:31], s1 offen glc slc
	;; [unrolled: 1-line block ×3, first 2 shown]
	s_add_u32 s28, s20, s6
	s_addc_u32 s0, s21, s7
	s_mov_b32 s36, s22
	s_and_b32 s29, s0, 0xffff
	s_clause 0x2
	buffer_load_b128 v[19:22], v14, s[28:31], 0 offen glc slc
	buffer_load_b128 v[27:30], v14, s[28:31], s1 offen glc slc
	;; [unrolled: 1-line block ×3, first 2 shown]
	s_mov_b32 s38, s30
	s_ashr_i32 s0, s8, 31
	s_mul_hi_u32 s3, s8, s34
	s_mul_i32 s0, s0, s34
	s_mul_i32 s6, s8, s34
	s_add_i32 s7, s3, s0
	s_delay_alu instid0(SALU_CYCLE_1) | instskip(NEXT) | instid1(SALU_CYCLE_1)
	s_lshl_b64 s[6:7], s[6:7], 1
	s_add_u32 s28, s14, s6
	s_addc_u32 s0, s15, s7
	s_delay_alu instid0(SALU_CYCLE_1)
	s_and_b32 s29, s0, 0xffff
	s_waitcnt vmcnt(5)
	v_lshrrev_b32_e32 v39, 16, v15
	v_cvt_f32_f16_e32 v41, v15
	v_lshrrev_b32_e32 v42, 16, v16
	v_cvt_f32_f16_e32 v43, v17
	s_waitcnt vmcnt(3)
	v_cvt_f32_f16_e32 v45, v31
	v_cvt_f32_f16_e32 v15, v39
	s_waitcnt vmcnt(2)
	v_lshrrev_b32_e32 v40, 16, v19
	v_cvt_f32_f16_e32 v42, v42
	v_cvt_f32_f16_e32 v44, v21
	v_lshrrev_b32_e32 v21, 16, v21
	v_lshrrev_b32_e32 v31, 16, v31
	v_cvt_f32_f16_e32 v39, v40
	v_cvt_f32_f16_e32 v40, v16
	;; [unrolled: 1-line block ×3, first 2 shown]
	v_lshrrev_b32_e32 v19, 16, v17
	v_cvt_f32_f16_e32 v17, v20
	v_add_f32_e32 v15, v15, v39
	v_lshrrev_b32_e32 v20, 16, v20
	v_and_b32_e32 v52, 31, v0
	s_delay_alu instid0(VALU_DEP_4) | instskip(NEXT) | instid1(VALU_DEP_4)
	v_dual_add_f32 v16, v41, v16 :: v_dual_add_f32 v17, v40, v17
	v_mul_f32_e32 v39, v15, v15
	s_clause 0x2
	buffer_load_b128 v[9:12], v14, s[36:39], 0 offen
	buffer_load_b128 v[5:8], v14, s[36:39], s1 offen
	;; [unrolled: 1-line block ×3, first 2 shown]
	v_cvt_f32_f16_e32 v20, v20
	v_lshrrev_b32_e32 v40, 16, v18
	v_cvt_f32_f16_e32 v41, v18
	v_cvt_f32_f16_e32 v21, v21
	v_cmp_eq_u32_e64 s0, 31, v52
	v_add_f32_e32 v18, v42, v20
	v_cvt_f32_f16_e32 v20, v19
	v_cvt_f32_f16_e32 v40, v40
	v_add_f32_e32 v19, v43, v44
	v_cvt_f32_f16_e32 v43, v22
	v_lshrrev_b32_e32 v22, 16, v22
	v_cvt_f32_f16_e32 v42, v23
	v_lshrrev_b32_e32 v23, 16, v23
	v_add_f32_e32 v20, v20, v21
	v_cvt_f32_f16_e32 v44, v24
	v_cvt_f32_f16_e32 v22, v22
	v_add_f32_e32 v21, v41, v43
	v_lshrrev_b32_e32 v41, 16, v24
	s_waitcnt vmcnt(4)
	v_cvt_f32_f16_e32 v24, v27
	v_lshrrev_b32_e32 v27, 16, v27
	v_add_f32_e32 v22, v40, v22
	v_cvt_f32_f16_e32 v40, v25
	v_cvt_f32_f16_e32 v43, v23
	v_add_f32_e32 v23, v42, v24
	v_cvt_f32_f16_e32 v27, v27
	v_fmac_f32_e32 v39, v16, v16
	v_lshrrev_b32_e32 v42, 16, v25
	v_cvt_f32_f16_e32 v25, v28
	v_lshrrev_b32_e32 v28, 16, v28
	s_delay_alu instid0(VALU_DEP_4) | instskip(SKIP_1) | instid1(VALU_DEP_4)
	v_dual_add_f32 v24, v43, v27 :: v_dual_fmac_f32 v39, v17, v17
	v_cvt_f32_f16_e32 v27, v41
	v_add_f32_e32 v25, v44, v25
	s_delay_alu instid0(VALU_DEP_4)
	v_cvt_f32_f16_e32 v28, v28
	v_cvt_f32_f16_e32 v44, v29
	v_lshrrev_b32_e32 v29, 16, v29
	v_fmac_f32_e32 v39, v18, v18
	v_cvt_f32_f16_e32 v43, v26
	v_lshrrev_b32_e32 v41, 16, v26
	v_add_f32_e32 v26, v27, v28
	v_cvt_f32_f16_e32 v28, v42
	v_cvt_f32_f16_e32 v29, v29
	v_add_f32_e32 v27, v40, v44
	v_cvt_f32_f16_e32 v40, v30
	v_lshrrev_b32_e32 v30, 16, v30
	s_delay_alu instid0(VALU_DEP_4) | instskip(SKIP_2) | instid1(VALU_DEP_4)
	v_dual_fmac_f32 v39, v19, v19 :: v_dual_add_f32 v28, v28, v29
	v_cvt_f32_f16_e32 v42, v32
	v_cvt_f32_f16_e32 v41, v41
	;; [unrolled: 1-line block ×3, first 2 shown]
	v_add_f32_e32 v29, v43, v40
	v_lshrrev_b32_e32 v40, 16, v32
	s_waitcnt vmcnt(3)
	v_cvt_f32_f16_e32 v32, v35
	v_lshrrev_b32_e32 v35, 16, v35
	v_dual_fmac_f32 v39, v20, v20 :: v_dual_add_f32 v30, v41, v30
	v_cvt_f32_f16_e32 v41, v33
	v_cvt_f32_f16_e32 v43, v31
	s_delay_alu instid0(VALU_DEP_4)
	v_cvt_f32_f16_e32 v35, v35
	v_lshrrev_b32_e32 v44, 16, v33
	v_cvt_f32_f16_e32 v33, v36
	v_lshrrev_b32_e32 v36, 16, v36
	v_fmac_f32_e32 v39, v21, v21
	v_dual_add_f32 v31, v45, v32 :: v_dual_add_f32 v32, v43, v35
	v_cvt_f32_f16_e32 v35, v40
	s_delay_alu instid0(VALU_DEP_4)
	v_cvt_f32_f16_e32 v36, v36
	v_add_f32_e32 v33, v42, v33
	v_cvt_f32_f16_e32 v42, v37
	v_lshrrev_b32_e32 v37, 16, v37
	v_fmac_f32_e32 v39, v22, v22
	v_cvt_f32_f16_e32 v43, v34
	v_lshrrev_b32_e32 v40, 16, v34
	v_add_f32_e32 v34, v35, v36
	v_cvt_f32_f16_e32 v36, v44
	v_lshrrev_b32_e32 v44, 16, v38
	v_cvt_f32_f16_e32 v37, v37
	v_add_f32_e32 v35, v41, v42
	v_cvt_f32_f16_e32 v38, v38
	v_cvt_f32_f16_e32 v40, v40
	;; [unrolled: 1-line block ×3, first 2 shown]
	v_dual_add_f32 v36, v36, v37 :: v_dual_fmac_f32 v39, v23, v23
	s_delay_alu instid0(VALU_DEP_4) | instskip(SKIP_1) | instid1(VALU_DEP_4)
	v_add_f32_e32 v37, v43, v38
	v_cvt_f16_f32_e32 v46, v27
	v_add_f32_e32 v38, v40, v41
	v_cvt_f16_f32_e32 v44, v16
	v_fmac_f32_e32 v39, v24, v24
	v_cvt_f16_f32_e32 v45, v17
	v_cvt_f16_f32_e32 v42, v19
	v_cvt_f16_f32_e32 v43, v21
	v_cvt_f16_f32_e32 v40, v15
	v_fmac_f32_e32 v39, v25, v25
	v_cvt_f16_f32_e32 v41, v18
	v_cvt_f16_f32_e32 v56, v20
	v_cvt_f16_f32_e32 v57, v22
	;; [unrolled: 5-line block ×5, first 2 shown]
	v_cvt_f16_f32_e32 v64, v36
	v_fmac_f32_e32 v39, v29, v29
	v_cvt_f16_f32_e32 v65, v38
	v_pack_b32_f16 v43, v43, v57
	v_pack_b32_f16 v42, v42, v56
	;; [unrolled: 1-line block ×3, first 2 shown]
	v_fmac_f32_e32 v39, v30, v30
	v_pack_b32_f16 v40, v44, v40
	v_pack_b32_f16 v47, v47, v60
	;; [unrolled: 1-line block ×4, first 2 shown]
	v_fmac_f32_e32 v39, v31, v31
	v_pack_b32_f16 v51, v51, v65
	v_pack_b32_f16 v50, v50, v64
	;; [unrolled: 1-line block ×4, first 2 shown]
	v_fmac_f32_e32 v39, v32, v32
	buffer_store_b128 v[40:43], v14, s[28:31], 0 offen glc slc
	;;#ASMSTART
	s_nop 0
	;;#ASMEND
	v_fmac_f32_e32 v39, v33, v33
	s_delay_alu instid0(VALU_DEP_1) | instskip(NEXT) | instid1(VALU_DEP_1)
	v_fmac_f32_e32 v39, v34, v34
	v_fmac_f32_e32 v39, v35, v35
	s_delay_alu instid0(VALU_DEP_1) | instskip(NEXT) | instid1(VALU_DEP_1)
	v_fmac_f32_e32 v39, v36, v36
	;; [unrolled: 3-line block ×3, first 2 shown]
	v_mov_b32_dpp v55, v39 quad_perm:[1,0,3,2] row_mask:0xf bank_mask:0xf
	s_delay_alu instid0(VALU_DEP_1) | instskip(SKIP_1) | instid1(VALU_DEP_2)
	v_add_f32_e32 v39, v39, v55
	v_cvt_f16_f32_e32 v55, v28
	v_mov_b32_dpp v63, v39 quad_perm:[2,3,0,1] row_mask:0xf bank_mask:0xf
	s_delay_alu instid0(VALU_DEP_2) | instskip(NEXT) | instid1(VALU_DEP_2)
	v_pack_b32_f16 v46, v46, v55
	v_add_f32_e32 v39, v39, v63
	buffer_store_b128 v[44:47], v14, s[28:31], s1 offen glc slc
	;;#ASMSTART
	s_nop 0
	;;#ASMEND
	buffer_store_b128 v[48:51], v14, s[28:31], s2 offen glc slc
	;;#ASMSTART
	s_nop 0
	;;#ASMEND
	v_mov_b32_dpp v55, v39 row_xmask:7 row_mask:0xf bank_mask:0xf
	s_delay_alu instid0(VALU_DEP_1) | instskip(NEXT) | instid1(VALU_DEP_1)
	v_add_f32_e32 v39, v39, v55
	v_mov_b32_dpp v40, v39 row_xmask:15 row_mask:0xf bank_mask:0xf
	s_and_saveexec_b32 s1, s0
	s_cbranch_execz .LBB49_3
; %bb.2:
	s_delay_alu instid0(VALU_DEP_1) | instskip(SKIP_2) | instid1(VALU_DEP_1)
	v_add_f32_e32 v14, v39, v40
	v_lshrrev_b32_e32 v39, 3, v0
	s_mov_b32 s2, 0x76543210
	v_and_b32_e32 v39, 0x7c, v39
	s_delay_alu instid0(VALU_DEP_3) | instskip(NEXT) | instid1(VALU_DEP_1)
	v_permlanex16_b32 v40, v14, s2, 0xfedcba98 op_sel:[1,1]
	v_add_f32_e32 v14, v14, v40
	ds_store_b32 v39, v14 offset:32
.LBB49_3:
	s_or_b32 exec_lo, exec_lo, s1
	v_and_b32_e32 v14, 7, v0
	s_waitcnt vmcnt(0) lgkmcnt(0)
	s_waitcnt_vscnt null, 0x0
	s_barrier
	buffer_gl0_inv
	v_cvt_f32_i32_e32 v41, s5
	v_lshlrev_b32_e32 v14, 2, v14
	v_cvt_f32_f16_e32 v48, v8
	v_lshrrev_b32_e32 v8, 16, v8
	v_cvt_f32_f16_e32 v46, v7
	v_cvt_f32_f16_e32 v49, v2
	ds_load_b32 v39, v14 offset:32
	v_lshrrev_b32_e32 v2, 16, v2
	v_cvt_f32_f16_e32 v8, v8
	v_cvt_f32_f16_e32 v50, v3
	;; [unrolled: 1-line block ×3, first 2 shown]
	v_lshrrev_b32_e32 v4, 16, v4
	v_cvt_f32_f16_e32 v2, v2
	v_lshrrev_b32_e32 v7, 16, v7
	v_lshrrev_b32_e32 v3, 16, v3
	s_cmp_lg_u32 s10, 0
	v_cvt_f32_f16_e32 v4, v4
	v_mov_b32_e32 v52, 0x2edbe6ff
	v_cvt_f32_f16_e32 v7, v7
	v_cvt_f32_f16_e32 v3, v3
	s_waitcnt lgkmcnt(0)
	v_mov_b32_dpp v40, v39 quad_perm:[1,0,3,2] row_mask:0xf bank_mask:0xf
	s_delay_alu instid0(VALU_DEP_1) | instskip(NEXT) | instid1(VALU_DEP_1)
	v_add_f32_e32 v39, v39, v40
	v_mov_b32_dpp v40, v39 quad_perm:[2,3,0,1] row_mask:0xf bank_mask:0xf
	s_delay_alu instid0(VALU_DEP_1) | instskip(NEXT) | instid1(VALU_DEP_1)
	v_add_f32_e32 v39, v39, v40
	v_mov_b32_dpp v40, v39 row_xmask:7 row_mask:0xf bank_mask:0xf
	s_delay_alu instid0(VALU_DEP_1) | instskip(NEXT) | instid1(VALU_DEP_1)
	v_add_f32_e32 v39, v39, v40
	v_div_scale_f32 v40, null, v41, v41, v39
	v_div_scale_f32 v44, vcc_lo, v39, v41, v39
	s_delay_alu instid0(VALU_DEP_2) | instskip(SKIP_2) | instid1(VALU_DEP_1)
	v_rcp_f32_e32 v42, v40
	s_waitcnt_depctr 0xfff
	v_fma_f32 v43, -v40, v42, 1.0
	v_fmac_f32_e32 v42, v43, v42
	s_delay_alu instid0(VALU_DEP_1) | instskip(NEXT) | instid1(VALU_DEP_1)
	v_mul_f32_e32 v43, v44, v42
	v_fma_f32 v45, -v40, v43, v44
	s_delay_alu instid0(VALU_DEP_1) | instskip(SKIP_2) | instid1(VALU_DEP_3)
	v_fmac_f32_e32 v43, v45, v42
	v_cvt_f32_f16_e32 v45, v6
	v_lshrrev_b32_e32 v6, 16, v6
	v_fma_f32 v40, -v40, v43, v44
	v_cvt_f32_f16_e32 v44, v5
	v_lshrrev_b32_e32 v5, 16, v5
	s_delay_alu instid0(VALU_DEP_4) | instskip(NEXT) | instid1(VALU_DEP_4)
	v_cvt_f32_f16_e32 v6, v6
	v_div_fmas_f32 v40, v40, v42, v43
	v_cvt_f32_f16_e32 v43, v12
	v_lshrrev_b32_e32 v12, 16, v12
	v_cvt_f32_f16_e32 v42, v11
	v_lshrrev_b32_e32 v11, 16, v11
	v_div_fixup_f32 v39, v40, v41, v39
	v_cvt_f32_f16_e32 v41, v10
	v_cvt_f32_f16_e32 v12, v12
	v_lshrrev_b32_e32 v10, 16, v10
	v_cvt_f32_f16_e32 v11, v11
	v_cvt_f64_f32_e32 v[39:40], v39
	v_cvt_f32_f16_e32 v5, v5
	s_delay_alu instid0(VALU_DEP_4) | instskip(NEXT) | instid1(VALU_DEP_3)
	v_cvt_f32_f16_e32 v10, v10
	v_add_f64 v[39:40], v[39:40], s[24:25]
	s_delay_alu instid0(VALU_DEP_1) | instskip(SKIP_2) | instid1(VALU_DEP_1)
	v_cvt_f32_f64_e32 v39, v[39:40]
	v_cvt_f32_f16_e32 v40, v9
	v_lshrrev_b32_e32 v9, 16, v9
	v_cvt_f32_f16_e32 v9, v9
	s_delay_alu instid0(VALU_DEP_4) | instskip(SKIP_1) | instid1(VALU_DEP_2)
	v_mul_f32_e32 v47, 0x4b800000, v39
	v_cmp_gt_f32_e32 vcc_lo, 0x800000, v39
	v_cndmask_b32_e32 v39, v39, v47, vcc_lo
	v_cvt_f32_f16_e32 v47, v1
	v_lshrrev_b32_e32 v1, 16, v1
	s_delay_alu instid0(VALU_DEP_3) | instskip(NEXT) | instid1(VALU_DEP_1)
	v_rsq_f32_e32 v39, v39
	v_cvt_f32_f16_e32 v1, v1
	s_waitcnt_depctr 0xfff
	v_mul_f32_e32 v53, 0x45800000, v39
	s_delay_alu instid0(VALU_DEP_1) | instskip(NEXT) | instid1(VALU_DEP_1)
	v_cndmask_b32_e32 v39, v39, v53, vcc_lo
	v_mul_f32_e32 v20, v20, v39
	v_mul_f32_e32 v54, v24, v39
	s_delay_alu instid0(VALU_DEP_2)
	v_mul_f32_e32 v24, v20, v11
	v_mul_f32_e32 v16, v16, v39
	;; [unrolled: 1-line block ×9, first 2 shown]
	v_dual_mul_f32 v16, v30, v8 :: v_dual_mul_f32 v35, v35, v39
	v_mul_f32_e32 v34, v34, v39
	v_mul_f32_e32 v53, v23, v39
	v_dual_mul_f32 v22, v22, v39 :: v_dual_mul_f32 v23, v19, v42
	v_dual_mul_f32 v55, v25, v39 :: v_dual_mul_f32 v4, v38, v4
	s_delay_alu instid0(VALU_DEP_4) | instskip(NEXT) | instid1(VALU_DEP_4)
	v_dual_mul_f32 v8, v34, v2 :: v_dual_mul_f32 v15, v15, v39
	v_mul_f32_e32 v20, v53, v44
	v_mul_f32_e32 v18, v18, v39
	;; [unrolled: 1-line block ×4, first 2 shown]
	v_dual_mul_f32 v27, v15, v9 :: v_dual_mul_f32 v22, v22, v12
	s_delay_alu instid0(VALU_DEP_4) | instskip(SKIP_2) | instid1(VALU_DEP_4)
	v_mul_f32_e32 v26, v18, v10
	v_mul_f32_e32 v12, v55, v45
	;; [unrolled: 1-line block ×3, first 2 shown]
	v_dual_mul_f32 v31, v31, v39 :: v_dual_and_b32 v34, 0x7fffffff, v22
	s_delay_alu instid0(VALU_DEP_4)
	v_and_b32_e32 v30, 0x7fffffff, v26
	v_mul_f32_e32 v17, v57, v46
	v_mul_f32_e32 v19, v54, v5
	;; [unrolled: 1-line block ×5, first 2 shown]
	v_and_b32_e32 v2, 0x7fffffff, v27
	v_and_b32_e32 v42, 0x7fffffff, v16
	;; [unrolled: 1-line block ×3, first 2 shown]
	v_dual_mul_f32 v32, v32, v39 :: v_dual_mul_f32 v7, v33, v49
	v_mul_f32_e32 v21, v21, v39
	v_mul_f32_e32 v5, v35, v50
	s_delay_alu instid0(VALU_DEP_3) | instskip(SKIP_1) | instid1(VALU_DEP_4)
	v_dual_mul_f32 v10, v32, v1 :: v_dual_and_b32 v35, 0x7fffffff, v20
	v_and_b32_e32 v1, 0x7fffffff, v28
	v_dual_mul_f32 v21, v21, v43 :: v_dual_and_b32 v46, 0x7fffffff, v8
	s_delay_alu instid0(VALU_DEP_3)
	v_dual_mul_f32 v37, v37, v39 :: v_dual_and_b32 v44, 0x7fffffff, v10
	v_and_b32_e32 v32, 0x7fffffff, v24
	v_mul_f32_e32 v15, v29, v48
	v_mul_f32_e32 v11, v56, v6
	;;#ASMSTART
	v_max3_f32 v1, v52, v1, v2

	;;#ASMEND
	v_and_b32_e32 v29, 0x7fffffff, v25
	;;#ASMSTART
	v_max3_f32 v1, v1, v29, v30

	;;#ASMEND
	v_mul_f32_e32 v6, v36, v3
	v_mul_f32_e32 v9, v31, v47
	v_and_b32_e32 v31, 0x7fffffff, v23
	;;#ASMSTART
	v_max3_f32 v1, v1, v31, v32

	;;#ASMEND
	v_and_b32_e32 v33, 0x7fffffff, v21
	v_and_b32_e32 v48, 0x7fffffff, v6
	;;#ASMSTART
	v_max3_f32 v1, v1, v33, v34

	;;#ASMEND
	v_and_b32_e32 v36, 0x7fffffff, v19
	;;#ASMSTART
	v_max3_f32 v1, v1, v35, v36

	;;#ASMEND
	v_dual_mul_f32 v3, v37, v51 :: v_dual_and_b32 v50, 0x7fffffff, v4
	v_and_b32_e32 v37, 0x7fffffff, v12
	v_and_b32_e32 v38, 0x7fffffff, v11
	;;#ASMSTART
	v_max3_f32 v1, v1, v37, v38

	;;#ASMEND
	v_and_b32_e32 v39, 0x7fffffff, v17
	;;#ASMSTART
	v_max3_f32 v1, v1, v39, v40

	;;#ASMEND
	;; [unrolled: 5-line block ×5, first 2 shown]
	v_and_b32_e32 v47, 0x7fffffff, v5
	v_and_b32_e32 v49, 0x7fffffff, v3
	;;#ASMSTART
	v_max3_f32 v1, v1, v47, v48

	;;#ASMEND
	;;#ASMSTART
	v_max3_f32 v29, v1, v49, v50

	;;#ASMEND
	s_cbranch_scc0 .LBB49_10
; %bb.4:
	s_mul_hi_i32 s1, s10, 0x2aaaaaab
	s_delay_alu instid0(SALU_CYCLE_1) | instskip(SKIP_1) | instid1(SALU_CYCLE_1)
	s_lshr_b32 s2, s1, 31
	s_ashr_i32 s1, s1, 2
	s_add_i32 s1, s1, s2
	s_delay_alu instid0(SALU_CYCLE_1)
	s_cmp_lt_i32 s1, 8
	s_cbranch_scc1 .LBB49_11
; %bb.5:
	s_cmp_lt_i32 s1, 16
	s_cbranch_scc1 .LBB49_12
; %bb.6:
	;; [unrolled: 3-line block ×3, first 2 shown]
	v_mov_b32_e32 v1, v29
	s_cmp_eq_u32 s1, 32
	s_cbranch_scc0 .LBB49_9
; %bb.8:
	s_delay_alu instid0(VALU_DEP_1) | instskip(SKIP_1) | instid1(VALU_DEP_1)
	v_mov_b32_dpp v1, v29 quad_perm:[1,0,3,2] row_mask:0xf bank_mask:0xf
	s_mov_b32 s2, 0x76543210
	v_cmp_gt_f32_e32 vcc_lo, v29, v1
	v_cndmask_b32_e32 v1, v1, v29, vcc_lo
	s_delay_alu instid0(VALU_DEP_1) | instskip(NEXT) | instid1(VALU_DEP_1)
	v_mov_b32_dpp v2, v1 quad_perm:[2,3,0,1] row_mask:0xf bank_mask:0xf
	v_cmp_gt_f32_e32 vcc_lo, v1, v2
	v_cndmask_b32_e32 v1, v2, v1, vcc_lo
	s_delay_alu instid0(VALU_DEP_1) | instskip(NEXT) | instid1(VALU_DEP_1)
	v_mov_b32_dpp v2, v1 row_xmask:7 row_mask:0xf bank_mask:0xf
	v_cmp_gt_f32_e32 vcc_lo, v1, v2
	v_cndmask_b32_e32 v1, v2, v1, vcc_lo
	s_delay_alu instid0(VALU_DEP_1) | instskip(NEXT) | instid1(VALU_DEP_1)
	v_mov_b32_dpp v2, v1 row_xmask:15 row_mask:0xf bank_mask:0xf
	v_cmp_gt_f32_e32 vcc_lo, v1, v2
	v_cndmask_b32_e32 v1, v2, v1, vcc_lo
	s_delay_alu instid0(VALU_DEP_1) | instskip(NEXT) | instid1(VALU_DEP_1)
	v_permlanex16_b32 v2, v1, s2, 0xfedcba98 op_sel:[1,1]
	v_cmp_gt_f32_e32 vcc_lo, v1, v2
	v_cndmask_b32_e32 v1, v2, v1, vcc_lo
.LBB49_9:
	s_mov_b32 s2, 0
	s_branch .LBB49_14
.LBB49_10:
	s_mov_b32 s1, 0
                                        ; implicit-def: $vgpr30
                                        ; implicit-def: $vgpr1_vgpr2
	s_and_b32 vcc_lo, exec_lo, s31
	s_cbranch_vccnz .LBB49_38
	s_branch .LBB49_41
.LBB49_11:
                                        ; implicit-def: $vgpr1
	s_branch .LBB49_21
.LBB49_12:
                                        ; implicit-def: $vgpr1
	s_branch .LBB49_18
.LBB49_13:
	s_mov_b32 s2, -1
                                        ; implicit-def: $vgpr1
.LBB49_14:
	s_delay_alu instid0(SALU_CYCLE_1)
	s_and_not1_b32 vcc_lo, exec_lo, s2
	s_cbranch_vccnz .LBB49_17
; %bb.15:
	v_mov_b32_e32 v1, v29
	s_cmp_eq_u32 s1, 16
	s_cbranch_scc0 .LBB49_17
; %bb.16:
	s_delay_alu instid0(VALU_DEP_1) | instskip(NEXT) | instid1(VALU_DEP_1)
	v_mov_b32_dpp v1, v29 quad_perm:[1,0,3,2] row_mask:0xf bank_mask:0xf
	v_cmp_gt_f32_e32 vcc_lo, v29, v1
	v_cndmask_b32_e32 v1, v1, v29, vcc_lo
	s_delay_alu instid0(VALU_DEP_1) | instskip(NEXT) | instid1(VALU_DEP_1)
	v_mov_b32_dpp v2, v1 quad_perm:[2,3,0,1] row_mask:0xf bank_mask:0xf
	v_cmp_gt_f32_e32 vcc_lo, v1, v2
	v_cndmask_b32_e32 v1, v2, v1, vcc_lo
	s_delay_alu instid0(VALU_DEP_1) | instskip(NEXT) | instid1(VALU_DEP_1)
	v_mov_b32_dpp v2, v1 row_half_mirror row_mask:0xf bank_mask:0xf
	v_cmp_gt_f32_e32 vcc_lo, v1, v2
	v_cndmask_b32_e32 v1, v2, v1, vcc_lo
	s_delay_alu instid0(VALU_DEP_1) | instskip(NEXT) | instid1(VALU_DEP_1)
	v_mov_b32_dpp v2, v1 row_mirror row_mask:0xf bank_mask:0xf
	v_cmp_gt_f32_e32 vcc_lo, v1, v2
	v_cndmask_b32_e32 v1, v2, v1, vcc_lo
.LBB49_17:
	s_cbranch_execnz .LBB49_20
.LBB49_18:
	v_mov_b32_e32 v1, v29
	s_cmp_eq_u32 s1, 8
	s_cbranch_scc0 .LBB49_20
; %bb.19:
	s_delay_alu instid0(VALU_DEP_1) | instskip(NEXT) | instid1(VALU_DEP_1)
	v_mov_b32_dpp v1, v29 quad_perm:[1,0,3,2] row_mask:0xf bank_mask:0xf
	v_cmp_gt_f32_e32 vcc_lo, v29, v1
	v_cndmask_b32_e32 v1, v1, v29, vcc_lo
	s_delay_alu instid0(VALU_DEP_1) | instskip(NEXT) | instid1(VALU_DEP_1)
	v_mov_b32_dpp v2, v1 quad_perm:[2,3,0,1] row_mask:0xf bank_mask:0xf
	v_cmp_gt_f32_e32 vcc_lo, v1, v2
	v_cndmask_b32_e32 v1, v2, v1, vcc_lo
	s_delay_alu instid0(VALU_DEP_1) | instskip(NEXT) | instid1(VALU_DEP_1)
	v_mov_b32_dpp v2, v1 row_half_mirror row_mask:0xf bank_mask:0xf
	v_cmp_gt_f32_e32 vcc_lo, v1, v2
	v_cndmask_b32_e32 v1, v2, v1, vcc_lo
.LBB49_20:
	s_cbranch_execnz .LBB49_28
.LBB49_21:
	s_cmp_lt_i32 s1, 4
	s_cbranch_scc1 .LBB49_24
; %bb.22:
	v_mov_b32_e32 v1, v29
	s_cmp_eq_u32 s1, 4
	s_cbranch_scc0 .LBB49_25
; %bb.23:
	s_delay_alu instid0(VALU_DEP_1) | instskip(NEXT) | instid1(VALU_DEP_1)
	v_mov_b32_dpp v1, v29 quad_perm:[1,0,3,2] row_mask:0xf bank_mask:0xf
	v_cmp_gt_f32_e32 vcc_lo, v29, v1
	v_cndmask_b32_e32 v1, v1, v29, vcc_lo
	s_delay_alu instid0(VALU_DEP_1) | instskip(NEXT) | instid1(VALU_DEP_1)
	v_mov_b32_dpp v2, v1 quad_perm:[2,3,0,1] row_mask:0xf bank_mask:0xf
	v_cmp_gt_f32_e32 vcc_lo, v1, v2
	v_cndmask_b32_e32 v1, v2, v1, vcc_lo
	s_cbranch_execz .LBB49_26
	s_branch .LBB49_28
.LBB49_24:
                                        ; implicit-def: $vgpr1
	s_branch .LBB49_26
.LBB49_25:
	s_cbranch_execnz .LBB49_28
.LBB49_26:
	v_mov_b32_e32 v1, v29
	s_cmp_lg_u32 s1, 2
	s_cbranch_scc1 .LBB49_28
; %bb.27:
	s_delay_alu instid0(VALU_DEP_1) | instskip(NEXT) | instid1(VALU_DEP_1)
	v_mov_b32_dpp v1, v29 quad_perm:[1,0,3,2] row_mask:0xf bank_mask:0xf
	v_cmp_gt_f32_e32 vcc_lo, v29, v1
	v_cndmask_b32_e32 v1, v1, v29, vcc_lo
.LBB49_28:
	v_cvt_f32_u32_e32 v2, s1
	s_sub_i32 s2, 0, s1
	s_mov_b32 s31, 0
	s_delay_alu instid0(VALU_DEP_1) | instskip(SKIP_2) | instid1(VALU_DEP_1)
	v_rcp_iflag_f32_e32 v2, v2
	s_waitcnt_depctr 0xfff
	v_mul_f32_e32 v2, 0x4f7ffffe, v2
	v_cvt_u32_f32_e32 v2, v2
	s_delay_alu instid0(VALU_DEP_1) | instskip(NEXT) | instid1(VALU_DEP_1)
	v_mul_lo_u32 v30, s2, v2
	v_mul_hi_u32 v30, v2, v30
	s_delay_alu instid0(VALU_DEP_1) | instskip(NEXT) | instid1(VALU_DEP_1)
	v_add_nc_u32_e32 v2, v2, v30
	v_mul_hi_u32 v2, v0, v2
	s_delay_alu instid0(VALU_DEP_1) | instskip(NEXT) | instid1(VALU_DEP_1)
	v_mul_lo_u32 v30, v2, s1
	v_sub_nc_u32_e32 v30, v0, v30
	s_delay_alu instid0(VALU_DEP_1) | instskip(SKIP_1) | instid1(VALU_DEP_2)
	v_subrev_nc_u32_e32 v32, s1, v30
	v_cmp_le_u32_e32 vcc_lo, s1, v30
	v_dual_cndmask_b32 v30, v30, v32 :: v_dual_add_nc_u32 v31, 1, v2
	s_delay_alu instid0(VALU_DEP_1) | instskip(NEXT) | instid1(VALU_DEP_2)
	v_cndmask_b32_e32 v2, v2, v31, vcc_lo
	v_cmp_le_u32_e32 vcc_lo, s1, v30
	s_delay_alu instid0(VALU_DEP_2) | instskip(SKIP_1) | instid1(VALU_DEP_2)
	v_add_nc_u32_e32 v31, 1, v2
	v_mul_u32_u24_e32 v30, 24, v0
	v_cndmask_b32_e32 v31, v2, v31, vcc_lo
	s_delay_alu instid0(VALU_DEP_2) | instskip(SKIP_1) | instid1(VALU_DEP_3)
	v_cmp_gt_u32_e32 vcc_lo, s5, v30
	v_mul_f32_e32 v30, 0x3c010204, v1
	v_mul_lo_u32 v2, v31, s1
	s_delay_alu instid0(VALU_DEP_1) | instskip(NEXT) | instid1(VALU_DEP_1)
	v_sub_nc_u32_e32 v2, v0, v2
	v_cmp_eq_u32_e64 s1, 0, v2
                                        ; implicit-def: $vgpr1_vgpr2
	s_delay_alu instid0(VALU_DEP_1) | instskip(SKIP_2) | instid1(SALU_CYCLE_1)
	s_and_b32 s2, s1, vcc_lo
	s_mov_b32 s1, 0
	s_and_saveexec_b32 s3, s2
	s_xor_b32 s8, exec_lo, s3
	s_cbranch_execz .LBB49_37
; %bb.29:
	s_bitcmp0_b32 s11, 0
	s_mov_b32 s6, 0
	s_cbranch_scc0 .LBB49_34
; %bb.30:
	s_ashr_i32 s1, s5, 31
	s_mul_hi_u32 s3, s5, s34
	s_mul_i32 s1, s1, s34
	s_mul_i32 s2, s5, s34
	s_add_i32 s3, s3, s1
	s_ashr_i32 s11, s10, 31
	s_delay_alu instid0(SALU_CYCLE_1) | instskip(NEXT) | instid1(SALU_CYCLE_1)
	s_or_b64 s[14:15], s[2:3], s[10:11]
	s_mov_b32 s7, s15
	s_delay_alu instid0(SALU_CYCLE_1)
	s_cmp_lg_u64 s[6:7], 0
	s_cbranch_scc0 .LBB49_45
; %bb.31:
	s_add_u32 s14, s10, s11
	s_mov_b32 s6, s11
	s_mov_b32 s7, s11
	s_addc_u32 s15, s11, s11
	s_delay_alu instid0(SALU_CYCLE_1) | instskip(NEXT) | instid1(SALU_CYCLE_1)
	s_xor_b64 s[14:15], s[14:15], s[6:7]
	v_cvt_f32_u32_e32 v1, s14
	v_cvt_f32_u32_e32 v2, s15
	s_sub_u32 s18, 0, s14
	s_subb_u32 s19, 0, s15
	s_delay_alu instid0(VALU_DEP_1) | instskip(NEXT) | instid1(VALU_DEP_1)
	v_fmamk_f32 v1, v2, 0x4f800000, v1
	v_rcp_f32_e32 v1, v1
	s_waitcnt_depctr 0xfff
	v_mul_f32_e32 v1, 0x5f7ffffc, v1
	s_delay_alu instid0(VALU_DEP_1) | instskip(NEXT) | instid1(VALU_DEP_1)
	v_mul_f32_e32 v2, 0x2f800000, v1
	v_trunc_f32_e32 v2, v2
	s_delay_alu instid0(VALU_DEP_1) | instskip(SKIP_1) | instid1(VALU_DEP_2)
	v_fmamk_f32 v1, v2, 0xcf800000, v1
	v_cvt_u32_f32_e32 v2, v2
	v_cvt_u32_f32_e32 v1, v1
	s_delay_alu instid0(VALU_DEP_2) | instskip(NEXT) | instid1(VALU_DEP_2)
	v_readfirstlane_b32 s1, v2
	v_readfirstlane_b32 s11, v1
	s_delay_alu instid0(VALU_DEP_2) | instskip(NEXT) | instid1(VALU_DEP_1)
	s_mul_i32 s20, s18, s1
	s_mul_hi_u32 s22, s18, s11
	s_mul_i32 s21, s19, s11
	s_add_i32 s20, s22, s20
	s_mul_i32 s23, s18, s11
	s_add_i32 s20, s20, s21
	s_mul_hi_u32 s22, s11, s23
	s_mul_hi_u32 s24, s1, s23
	s_mul_i32 s21, s1, s23
	s_mul_hi_u32 s23, s11, s20
	s_mul_i32 s11, s11, s20
	s_mul_hi_u32 s25, s1, s20
	s_add_u32 s11, s22, s11
	s_addc_u32 s22, 0, s23
	s_add_u32 s11, s11, s21
	s_mul_i32 s20, s1, s20
	s_addc_u32 s11, s22, s24
	s_addc_u32 s21, s25, 0
	s_add_u32 s11, s11, s20
	s_addc_u32 s20, 0, s21
	v_add_co_u32 v1, s11, v1, s11
	s_delay_alu instid0(VALU_DEP_1) | instskip(SKIP_1) | instid1(VALU_DEP_1)
	s_cmp_lg_u32 s11, 0
	s_addc_u32 s1, s1, s20
	v_readfirstlane_b32 s11, v1
	s_mul_i32 s20, s18, s1
	s_delay_alu instid0(VALU_DEP_1)
	s_mul_hi_u32 s21, s18, s11
	s_mul_i32 s19, s19, s11
	s_add_i32 s20, s21, s20
	s_mul_i32 s18, s18, s11
	s_add_i32 s20, s20, s19
	s_mul_hi_u32 s21, s1, s18
	s_mul_i32 s22, s1, s18
	s_mul_hi_u32 s18, s11, s18
	s_mul_hi_u32 s23, s11, s20
	s_mul_i32 s11, s11, s20
	s_mul_hi_u32 s19, s1, s20
	s_add_u32 s11, s18, s11
	s_addc_u32 s18, 0, s23
	s_add_u32 s11, s11, s22
	s_mul_i32 s20, s1, s20
	s_addc_u32 s11, s18, s21
	s_addc_u32 s18, s19, 0
	s_add_u32 s11, s11, s20
	s_addc_u32 s18, 0, s18
	v_add_co_u32 v1, s11, v1, s11
	s_delay_alu instid0(VALU_DEP_1) | instskip(SKIP_2) | instid1(SALU_CYCLE_1)
	s_cmp_lg_u32 s11, 0
	s_addc_u32 s1, s1, s18
	s_ashr_i32 s18, s3, 31
	s_add_u32 s20, s2, s18
	s_addc_u32 s21, s3, s18
	v_readfirstlane_b32 s3, v1
	s_mov_b32 s19, s18
	s_delay_alu instid0(SALU_CYCLE_1) | instskip(NEXT) | instid1(SALU_CYCLE_1)
	s_xor_b64 s[20:21], s[20:21], s[18:19]
	s_mul_i32 s22, s20, s1
	s_delay_alu instid0(VALU_DEP_1)
	s_mul_hi_u32 s23, s20, s3
	s_mul_hi_u32 s11, s20, s1
	;; [unrolled: 1-line block ×3, first 2 shown]
	s_mul_i32 s3, s21, s3
	s_add_u32 s22, s23, s22
	s_addc_u32 s11, 0, s11
	s_mul_hi_u32 s24, s21, s1
	s_add_u32 s3, s22, s3
	s_mul_i32 s1, s21, s1
	s_addc_u32 s3, s11, s25
	s_addc_u32 s11, s24, 0
	s_add_u32 s3, s3, s1
	s_addc_u32 s11, 0, s11
	s_mul_i32 s24, s14, s3
	s_mul_hi_u32 s1, s14, s3
	s_mul_i32 s23, s14, s11
	v_sub_co_u32 v1, s20, s20, s24
	s_mul_i32 s22, s15, s3
	s_add_i32 s1, s1, s23
	s_delay_alu instid0(SALU_CYCLE_1) | instskip(NEXT) | instid1(VALU_DEP_1)
	s_add_i32 s1, s1, s22
	v_sub_co_u32 v2, s23, v1, s14
	s_sub_i32 s22, s21, s1
	s_cmp_lg_u32 s20, 0
	s_subb_u32 s22, s22, s15
	s_cmp_lg_u32 s23, 0
	v_cmp_le_u32_e32 vcc_lo, s14, v2
	s_subb_u32 s22, s22, 0
	s_delay_alu instid0(SALU_CYCLE_1)
	s_cmp_ge_u32 s22, s15
	v_cndmask_b32_e64 v2, 0, -1, vcc_lo
	s_cselect_b32 s23, -1, 0
	s_cmp_eq_u32 s22, s15
	s_cselect_b32 vcc_lo, -1, 0
	s_add_u32 s22, s3, 1
	v_cndmask_b32_e32 v2, s23, v2, vcc_lo
	s_addc_u32 s23, s11, 0
	s_add_u32 s24, s3, 2
	s_addc_u32 s25, s11, 0
	s_cmp_lg_u32 s20, 0
	v_cmp_le_u32_e32 vcc_lo, s14, v1
	s_subb_u32 s1, s21, s1
	v_mov_b32_e32 v32, s24
	s_cmp_ge_u32 s1, s15
	v_cndmask_b32_e64 v1, 0, -1, vcc_lo
	s_cselect_b32 s14, -1, 0
	s_cmp_eq_u32 s1, s15
	v_cmp_ne_u32_e32 vcc_lo, 0, v2
	v_mov_b32_e32 v2, s25
	s_cselect_b32 s1, -1, 0
	s_xor_b64 s[6:7], s[18:19], s[6:7]
	v_cndmask_b32_e64 v1, s14, v1, s1
	v_cndmask_b32_e32 v32, s22, v32, vcc_lo
	v_cndmask_b32_e32 v2, s23, v2, vcc_lo
	s_delay_alu instid0(VALU_DEP_3) | instskip(NEXT) | instid1(VALU_DEP_2)
	v_cmp_ne_u32_e32 vcc_lo, 0, v1
	v_cndmask_b32_e32 v1, s11, v2, vcc_lo
	s_delay_alu instid0(VALU_DEP_4) | instskip(NEXT) | instid1(VALU_DEP_2)
	v_cndmask_b32_e32 v2, s3, v32, vcc_lo
	v_xor_b32_e32 v32, s7, v1
	s_delay_alu instid0(VALU_DEP_2) | instskip(NEXT) | instid1(VALU_DEP_1)
	v_xor_b32_e32 v2, s6, v2
	v_sub_co_u32 v1, vcc_lo, v2, s6
	s_delay_alu instid0(VALU_DEP_3)
	v_subrev_co_ci_u32_e32 v2, vcc_lo, s7, v32, vcc_lo
	s_cbranch_execnz .LBB49_33
.LBB49_32:
	v_cvt_f32_u32_e32 v1, s10
	s_sub_i32 s3, 0, s10
	s_delay_alu instid0(VALU_DEP_1) | instskip(SKIP_2) | instid1(VALU_DEP_1)
	v_rcp_iflag_f32_e32 v1, v1
	s_waitcnt_depctr 0xfff
	v_mul_f32_e32 v1, 0x4f7ffffe, v1
	v_cvt_u32_f32_e32 v1, v1
	s_delay_alu instid0(VALU_DEP_1) | instskip(NEXT) | instid1(VALU_DEP_1)
	v_readfirstlane_b32 s1, v1
	s_mul_i32 s3, s3, s1
	s_delay_alu instid0(SALU_CYCLE_1) | instskip(NEXT) | instid1(SALU_CYCLE_1)
	s_mul_hi_u32 s3, s1, s3
	s_add_i32 s1, s1, s3
	s_delay_alu instid0(SALU_CYCLE_1) | instskip(NEXT) | instid1(SALU_CYCLE_1)
	s_mul_hi_u32 s1, s2, s1
	s_mul_i32 s3, s1, s10
	s_delay_alu instid0(SALU_CYCLE_1)
	s_sub_i32 s2, s2, s3
	s_add_i32 s3, s1, 1
	s_sub_i32 s6, s2, s10
	s_cmp_ge_u32 s2, s10
	s_cselect_b32 s1, s3, s1
	s_cselect_b32 s2, s6, s2
	s_add_i32 s6, s1, 1
	s_cmp_ge_u32 s2, s10
	s_mov_b32 s3, 0
	s_cselect_b32 s2, s6, s1
	s_delay_alu instid0(SALU_CYCLE_1)
	v_dual_mov_b32 v1, s2 :: v_dual_mov_b32 v2, s3
.LBB49_33:
	s_delay_alu instid0(VALU_DEP_1) | instskip(NEXT) | instid1(VALU_DEP_2)
	v_add_co_u32 v1, vcc_lo, v1, v31
	v_add_co_ci_u32_e32 v2, vcc_lo, 0, v2, vcc_lo
	s_branch .LBB49_36
.LBB49_34:
                                        ; implicit-def: $vgpr1_vgpr2
	s_cbranch_execz .LBB49_36
; %bb.35:
	v_mul_lo_u32 v1, v31, s4
	s_delay_alu instid0(VALU_DEP_1) | instskip(SKIP_1) | instid1(VALU_DEP_2)
	v_ashrrev_i32_e32 v2, 31, v1
	v_add_co_u32 v1, vcc_lo, v1, s34
	v_add_co_ci_u32_e32 v2, vcc_lo, 0, v2, vcc_lo
.LBB49_36:
	s_mov_b32 s1, exec_lo
.LBB49_37:
	s_or_b32 exec_lo, exec_lo, s8
	s_delay_alu instid0(SALU_CYCLE_1)
	s_and_b32 vcc_lo, exec_lo, s31
	s_cbranch_vccz .LBB49_41
.LBB49_38:
	v_mov_b32_dpp v1, v29 quad_perm:[1,0,3,2] row_mask:0xf bank_mask:0xf
	s_delay_alu instid0(VALU_DEP_1) | instskip(SKIP_1) | instid1(VALU_DEP_1)
	v_cmp_gt_f32_e32 vcc_lo, v29, v1
	v_cndmask_b32_e32 v1, v1, v29, vcc_lo
	v_mov_b32_dpp v2, v1 quad_perm:[2,3,0,1] row_mask:0xf bank_mask:0xf
	s_delay_alu instid0(VALU_DEP_1) | instskip(SKIP_1) | instid1(VALU_DEP_1)
	v_cmp_gt_f32_e32 vcc_lo, v1, v2
	v_cndmask_b32_e32 v1, v2, v1, vcc_lo
	v_mov_b32_dpp v2, v1 row_xmask:7 row_mask:0xf bank_mask:0xf
	s_delay_alu instid0(VALU_DEP_1) | instskip(SKIP_1) | instid1(VALU_DEP_1)
	v_cmp_gt_f32_e32 vcc_lo, v1, v2
	v_cndmask_b32_e32 v1, v2, v1, vcc_lo
	v_mov_b32_dpp v2, v1 row_xmask:15 row_mask:0xf bank_mask:0xf
	s_delay_alu instid0(VALU_DEP_1)
	v_cmp_gt_f32_e32 vcc_lo, v1, v2
	s_and_saveexec_b32 s1, s0
	s_cbranch_execz .LBB49_40
; %bb.39:
	v_cndmask_b32_e32 v1, v2, v1, vcc_lo
	v_lshrrev_b32_e32 v2, 3, v0
	s_mov_b32 s0, 0x76543210
	s_delay_alu instid0(VALU_DEP_1) | instskip(NEXT) | instid1(VALU_DEP_3)
	v_and_b32_e32 v2, 0x7c, v2
	v_permlanex16_b32 v29, v1, s0, 0xfedcba98 op_sel:[1,1]
	s_delay_alu instid0(VALU_DEP_1)
	v_cmp_gt_f32_e32 vcc_lo, v1, v29
	v_cndmask_b32_e32 v1, v29, v1, vcc_lo
	ds_store_b32 v2, v1
.LBB49_40:
	s_or_b32 exec_lo, exec_lo, s1
	s_waitcnt lgkmcnt(0)
	s_barrier
	buffer_gl0_inv
	ds_load_b32 v1, v14
	v_cmp_eq_u32_e64 s1, 0, v0
	s_waitcnt lgkmcnt(0)
	v_mov_b32_dpp v2, v1 quad_perm:[1,0,3,2] row_mask:0xf bank_mask:0xf
	s_delay_alu instid0(VALU_DEP_1) | instskip(SKIP_1) | instid1(VALU_DEP_1)
	v_cmp_gt_f32_e32 vcc_lo, v1, v2
	v_cndmask_b32_e32 v1, v2, v1, vcc_lo
	v_mov_b32_dpp v2, v1 quad_perm:[2,3,0,1] row_mask:0xf bank_mask:0xf
	s_delay_alu instid0(VALU_DEP_1) | instskip(SKIP_1) | instid1(VALU_DEP_1)
	v_cmp_gt_f32_e32 vcc_lo, v1, v2
	v_cndmask_b32_e32 v1, v2, v1, vcc_lo
	v_mov_b32_dpp v2, v1 row_xmask:7 row_mask:0xf bank_mask:0xf
	s_delay_alu instid0(VALU_DEP_1) | instskip(SKIP_1) | instid1(VALU_DEP_1)
	v_cmp_gt_f32_e32 vcc_lo, v1, v2
	v_cndmask_b32_e32 v1, v2, v1, vcc_lo
	v_dual_mul_f32 v30, 0x3c010204, v1 :: v_dual_mov_b32 v1, s34
	v_mov_b32_e32 v2, s35
.LBB49_41:
	s_and_saveexec_b32 s0, s1
	s_cbranch_execz .LBB49_43
; %bb.42:
	s_delay_alu instid0(VALU_DEP_1) | instskip(NEXT) | instid1(VALU_DEP_1)
	v_lshlrev_b64 v[0:1], 2, v[1:2]
	v_add_co_u32 v0, vcc_lo, s16, v0
	s_delay_alu instid0(VALU_DEP_2)
	v_add_co_ci_u32_e32 v1, vcc_lo, s17, v1, vcc_lo
	global_store_b32 v[0:1], v30, off
.LBB49_43:
	s_or_b32 exec_lo, exec_lo, s0
	;;#ASMSTART
	v_rcp_f32 v2, v30
	;;#ASMEND
	v_mul_f32_e32 v17, v17, v2
	v_mul_f32_e32 v21, v21, v2
	;; [unrolled: 1-line block ×3, first 2 shown]
	s_add_i32 s0, s5, 3
	v_mul_f32_e32 v15, v15, v2
	v_cvt_i32_f32_e32 v17, v17
	v_mul_f32_e32 v22, v22, v2
	v_cvt_i32_f32_e32 v21, v21
	;; [unrolled: 2-line block ×3, first 2 shown]
	v_and_b32_e32 v17, 0xff, v17
	v_cvt_i32_f32_e32 v22, v22
	v_dual_mul_f32 v0, v28, v2 :: v_dual_and_b32 v21, 0xff, v21
	s_delay_alu instid0(VALU_DEP_4) | instskip(SKIP_1) | instid1(VALU_DEP_4)
	v_and_b32_e32 v23, 0xff, v23
	v_cvt_i32_f32_e32 v14, v14
	v_lshlrev_b16 v22, 8, v22
	s_ashr_i32 s1, s0, 31
	v_cvt_i32_f32_e32 v0, v0
	v_mul_f32_e32 v1, v27, v2
	v_and_b32_e32 v14, 0xff, v14
	v_or_b32_e32 v21, v21, v22
	v_mul_f32_e32 v24, v24, v2
	v_and_b32_e32 v0, 0xff, v0
	v_cvt_i32_f32_e32 v1, v1
	s_lshr_b32 s1, s1, 30
	v_lshlrev_b32_e32 v21, 16, v21
	v_cvt_i32_f32_e32 v24, v24
	s_add_i32 s0, s0, s1
	v_lshlrev_b16 v1, 8, v1
	s_ashr_i32 s1, s9, 31
	v_mul_f32_e32 v6, v6, v2
	v_lshlrev_b16 v24, 8, v24
	v_mul_f32_e32 v5, v5, v2
	v_or_b32_e32 v0, v0, v1
	s_and_b32 s2, s0, -4
	s_mul_hi_u32 s0, s9, s34
	v_or_b32_e32 v23, v23, v24
	s_delay_alu instid0(VALU_DEP_2) | instskip(SKIP_3) | instid1(VALU_DEP_1)
	v_dual_mul_f32 v25, v26, v2 :: v_dual_and_b32 v0, 0xffff, v0
	s_mul_i32 s1, s1, s34
	s_mul_i32 s3, s9, s34
	s_add_i32 s1, s0, s1
	v_cvt_i32_f32_e32 v25, v25
	s_add_u32 s0, s12, s3
	v_cvt_i32_f32_e32 v15, v15
	v_cvt_i32_f32_e32 v6, v6
	;; [unrolled: 1-line block ×3, first 2 shown]
	v_lshlrev_b16 v25, 8, v25
	s_addc_u32 s1, s13, s1
	s_mov_b32 s3, -1
	s_and_b32 s1, s1, 0xffff
	v_mul_f32_e32 v9, v9, v2
	v_or_b32_e32 v1, v14, v25
	v_and_b32_e32 v14, 0xffff, v23
	v_and_b32_e32 v15, 0xff, v15
	v_mul_f32_e32 v7, v7, v2
	v_lshlrev_b16 v6, 8, v6
	v_lshlrev_b32_e32 v22, 16, v1
	v_or_b32_e32 v1, v14, v21
	v_mul_f32_e32 v14, v20, v2
	v_mul_f32_e32 v12, v12, v2
	;; [unrolled: 1-line block ×3, first 2 shown]
	v_or_b32_e32 v0, v0, v22
	v_and_b32_e32 v5, 0xff, v5
	v_cvt_i32_f32_e32 v9, v9
	v_mul_f32_e32 v16, v16, v2
	v_mul_f32_e32 v8, v8, v2
	buffer_store_b64 v[0:1], v13, s[0:3], 0 offen
	v_cvt_i32_f32_e32 v1, v14
	v_mul_f32_e32 v14, v18, v2
	v_mul_f32_e32 v0, v19, v2
	;; [unrolled: 1-line block ×3, first 2 shown]
	v_or_b32_e32 v5, v5, v6
	v_dual_mul_f32 v10, v10, v2 :: v_dual_and_b32 v1, 0xff, v1
	v_mul_f32_e32 v2, v3, v2
	v_cvt_i32_f32_e32 v3, v7
	s_delay_alu instid0(VALU_DEP_4)
	v_and_b32_e32 v5, 0xffff, v5
	v_cvt_i32_f32_e32 v0, v0
	v_cvt_i32_f32_e32 v14, v14
	v_and_b32_e32 v9, 0xff, v9
	v_and_b32_e32 v3, 0xff, v3
	v_cvt_i32_f32_e32 v12, v12
	v_cvt_i32_f32_e32 v16, v16
	;; [unrolled: 1-line block ×5, first 2 shown]
	v_and_b32_e32 v12, 0xff, v12
	v_cvt_i32_f32_e32 v11, v11
	v_cvt_i32_f32_e32 v7, v8
	v_lshlrev_b16 v14, 8, v14
	v_lshlrev_b16 v16, 8, v16
	v_lshlrev_b16 v0, 8, v0
	v_lshlrev_b16 v11, 8, v11
	v_lshlrev_b16 v4, 8, v4
	v_and_b32_e32 v2, 0xff, v2
	v_lshlrev_b16 v8, 8, v10
	v_lshlrev_b16 v7, 8, v7
	v_or_b32_e32 v14, v17, v14
	v_or_b32_e32 v15, v15, v16
	;; [unrolled: 1-line block ×7, first 2 shown]
	v_and_b32_e32 v1, 0xffff, v14
	v_lshlrev_b32_e32 v14, 16, v15
	v_and_b32_e32 v0, 0xffff, v0
	v_lshlrev_b32_e32 v6, 16, v10
	v_lshlrev_b32_e32 v2, 16, v2
	v_and_b32_e32 v4, 0xffff, v4
	v_lshlrev_b32_e32 v7, 16, v3
	v_or_b32_e32 v1, v1, v14
	v_or_b32_e32 v0, v0, v6
	;; [unrolled: 1-line block ×3, first 2 shown]
	s_movk_i32 s4, 0x100
	v_or_b32_e32 v2, v4, v7
	;;#ASMSTART
	s_nop 0
	;;#ASMEND
	buffer_store_b64 v[0:1], v13, s[0:3], s4 offen
	s_movk_i32 s4, 0x200
	;;#ASMSTART
	s_nop 0
	;;#ASMEND
	buffer_store_b64 v[2:3], v13, s[0:3], s4 offen
	;;#ASMSTART
	s_nop 0
	;;#ASMEND
.LBB49_44:
	s_nop 0
	s_sendmsg sendmsg(MSG_DEALLOC_VGPRS)
	s_endpgm
.LBB49_45:
                                        ; implicit-def: $vgpr1_vgpr2
	s_branch .LBB49_32
	.section	.rodata,"a",@progbits
	.p2align	6, 0x0
	.amdhsa_kernel _ZN5aiter24add_rmsnorm_quant_kernelIDF16_aLi256ELi24ELb1ELb1ELb1ELi1EEEvPT0_PT_PfS4_S4_S4_diiiiiiib
		.amdhsa_group_segment_fixed_size 64
		.amdhsa_private_segment_fixed_size 0
		.amdhsa_kernarg_size 88
		.amdhsa_user_sgpr_count 15
		.amdhsa_user_sgpr_dispatch_ptr 0
		.amdhsa_user_sgpr_queue_ptr 0
		.amdhsa_user_sgpr_kernarg_segment_ptr 1
		.amdhsa_user_sgpr_dispatch_id 0
		.amdhsa_user_sgpr_private_segment_size 0
		.amdhsa_wavefront_size32 1
		.amdhsa_uses_dynamic_stack 0
		.amdhsa_enable_private_segment 0
		.amdhsa_system_sgpr_workgroup_id_x 1
		.amdhsa_system_sgpr_workgroup_id_y 0
		.amdhsa_system_sgpr_workgroup_id_z 0
		.amdhsa_system_sgpr_workgroup_info 0
		.amdhsa_system_vgpr_workitem_id 0
		.amdhsa_next_free_vgpr 66
		.amdhsa_next_free_sgpr 40
		.amdhsa_reserve_vcc 1
		.amdhsa_float_round_mode_32 0
		.amdhsa_float_round_mode_16_64 0
		.amdhsa_float_denorm_mode_32 3
		.amdhsa_float_denorm_mode_16_64 3
		.amdhsa_dx10_clamp 1
		.amdhsa_ieee_mode 1
		.amdhsa_fp16_overflow 0
		.amdhsa_workgroup_processor_mode 1
		.amdhsa_memory_ordered 1
		.amdhsa_forward_progress 0
		.amdhsa_shared_vgpr_count 0
		.amdhsa_exception_fp_ieee_invalid_op 0
		.amdhsa_exception_fp_denorm_src 0
		.amdhsa_exception_fp_ieee_div_zero 0
		.amdhsa_exception_fp_ieee_overflow 0
		.amdhsa_exception_fp_ieee_underflow 0
		.amdhsa_exception_fp_ieee_inexact 0
		.amdhsa_exception_int_div_zero 0
	.end_amdhsa_kernel
	.section	.text._ZN5aiter24add_rmsnorm_quant_kernelIDF16_aLi256ELi24ELb1ELb1ELb1ELi1EEEvPT0_PT_PfS4_S4_S4_diiiiiiib,"axG",@progbits,_ZN5aiter24add_rmsnorm_quant_kernelIDF16_aLi256ELi24ELb1ELb1ELb1ELi1EEEvPT0_PT_PfS4_S4_S4_diiiiiiib,comdat
.Lfunc_end49:
	.size	_ZN5aiter24add_rmsnorm_quant_kernelIDF16_aLi256ELi24ELb1ELb1ELb1ELi1EEEvPT0_PT_PfS4_S4_S4_diiiiiiib, .Lfunc_end49-_ZN5aiter24add_rmsnorm_quant_kernelIDF16_aLi256ELi24ELb1ELb1ELb1ELi1EEEvPT0_PT_PfS4_S4_S4_diiiiiiib
                                        ; -- End function
	.section	.AMDGPU.csdata,"",@progbits
; Kernel info:
; codeLenInByte = 5036
; NumSgprs: 42
; NumVgprs: 66
; ScratchSize: 0
; MemoryBound: 0
; FloatMode: 240
; IeeeMode: 1
; LDSByteSize: 64 bytes/workgroup (compile time only)
; SGPRBlocks: 5
; VGPRBlocks: 8
; NumSGPRsForWavesPerEU: 42
; NumVGPRsForWavesPerEU: 66
; Occupancy: 16
; WaveLimiterHint : 0
; COMPUTE_PGM_RSRC2:SCRATCH_EN: 0
; COMPUTE_PGM_RSRC2:USER_SGPR: 15
; COMPUTE_PGM_RSRC2:TRAP_HANDLER: 0
; COMPUTE_PGM_RSRC2:TGID_X_EN: 1
; COMPUTE_PGM_RSRC2:TGID_Y_EN: 0
; COMPUTE_PGM_RSRC2:TGID_Z_EN: 0
; COMPUTE_PGM_RSRC2:TIDIG_COMP_CNT: 0
	.section	.text._ZN5aiter24add_rmsnorm_quant_kernelItaLi256ELi24ELb1ELb1ELb1ELi1EEEvPT0_PT_PfS4_S4_S4_diiiiiiib,"axG",@progbits,_ZN5aiter24add_rmsnorm_quant_kernelItaLi256ELi24ELb1ELb1ELb1ELi1EEEvPT0_PT_PfS4_S4_S4_diiiiiiib,comdat
	.protected	_ZN5aiter24add_rmsnorm_quant_kernelItaLi256ELi24ELb1ELb1ELb1ELi1EEEvPT0_PT_PfS4_S4_S4_diiiiiiib ; -- Begin function _ZN5aiter24add_rmsnorm_quant_kernelItaLi256ELi24ELb1ELb1ELb1ELi1EEEvPT0_PT_PfS4_S4_S4_diiiiiiib
	.globl	_ZN5aiter24add_rmsnorm_quant_kernelItaLi256ELi24ELb1ELb1ELb1ELi1EEEvPT0_PT_PfS4_S4_S4_diiiiiiib
	.p2align	8
	.type	_ZN5aiter24add_rmsnorm_quant_kernelItaLi256ELi24ELb1ELb1ELb1ELi1EEEvPT0_PT_PfS4_S4_S4_diiiiiiib,@function
_ZN5aiter24add_rmsnorm_quant_kernelItaLi256ELi24ELb1ELb1ELb1ELi1EEEvPT0_PT_PfS4_S4_S4_diiiiiiib: ; @_ZN5aiter24add_rmsnorm_quant_kernelItaLi256ELi24ELb1ELb1ELb1ELi1EEEvPT0_PT_PfS4_S4_S4_diiiiiiib
; %bb.0:
	s_load_b256 s[4:11], s[0:1], 0x38
	s_mov_b32 s34, s15
	s_mov_b32 s35, 0
	s_waitcnt lgkmcnt(0)
	s_ashr_i32 s3, s4, 31
	s_mov_b32 s2, s4
	s_delay_alu instid0(SALU_CYCLE_1) | instskip(NEXT) | instid1(VALU_DEP_1)
	v_cmp_ge_i64_e64 s2, s[34:35], s[2:3]
	s_and_b32 vcc_lo, exec_lo, s2
	s_cbranch_vccnz .LBB50_44
; %bb.1:
	s_load_b256 s[12:19], s[0:1], 0x0
	s_ashr_i32 s2, s6, 31
	s_mul_hi_u32 s3, s6, s34
	s_mul_i32 s20, s2, s34
	s_mul_i32 s2, s6, s34
	s_add_i32 s3, s3, s20
	s_load_b256 s[20:27], s[0:1], 0x20
	v_and_b32_e32 v1, 0x3e0, v0
	s_lshl_b64 s[2:3], s[2:3], 1
	v_lshlrev_b32_e32 v2, 3, v0
	s_mul_i32 s6, s7, s34
	s_mov_b32 s31, -1
	v_mul_u32_u24_e32 v1, 24, v1
	s_movk_i32 s1, 0x200
	s_mov_b32 s39, s31
	s_delay_alu instid0(VALU_DEP_1)
	v_and_or_b32 v13, 0xf8, v2, v1
	s_waitcnt lgkmcnt(0)
	s_add_u32 s28, s18, s2
	s_addc_u32 s2, s19, s3
	s_add_i32 s3, s5, 1
	v_lshlrev_b32_e32 v51, 1, v13
	s_lshr_b32 s0, s3, 31
	s_and_b32 s29, s2, 0xffff
	s_add_i32 s3, s3, s0
	s_movk_i32 s2, 0x400
	s_lshl_b32 s0, s3, 1
	s_mul_hi_u32 s3, s7, s34
	s_and_b32 s30, s0, -4
	s_ashr_i32 s0, s7, 31
	s_and_b32 s37, s23, 0xffff
	s_mul_i32 s0, s0, s34
	s_clause 0x1
	buffer_load_b128 v[14:17], v51, s[28:31], 0 offen glc slc
	buffer_load_b128 v[18:21], v51, s[28:31], s1 offen glc slc
	s_add_i32 s7, s3, s0
	buffer_load_b128 v[22:25], v51, s[28:31], s2 offen glc slc
	s_lshl_b64 s[6:7], s[6:7], 1
	s_mov_b32 s36, s22
	s_add_u32 s28, s20, s6
	s_addc_u32 s0, s21, s7
	s_mov_b32 s38, s30
	s_and_b32 s29, s0, 0xffff
	s_clause 0x2
	buffer_load_b128 v[26:29], v51, s[28:31], 0 offen glc slc
	buffer_load_b128 v[30:33], v51, s[28:31], s1 offen glc slc
	;; [unrolled: 1-line block ×3, first 2 shown]
	s_ashr_i32 s0, s8, 31
	s_mul_hi_u32 s3, s8, s34
	s_mul_i32 s0, s0, s34
	s_mul_i32 s6, s8, s34
	s_add_i32 s7, s3, s0
	s_delay_alu instid0(SALU_CYCLE_1) | instskip(NEXT) | instid1(SALU_CYCLE_1)
	s_lshl_b64 s[6:7], s[6:7], 1
	s_add_u32 s28, s14, s6
	s_addc_u32 s0, s15, s7
	s_delay_alu instid0(SALU_CYCLE_1)
	s_and_b32 s29, s0, 0xffff
	s_waitcnt vmcnt(5)
	v_lshrrev_b32_e32 v38, 16, v14
	s_waitcnt vmcnt(4)
	v_lshrrev_b32_e32 v49, 16, v20
	v_and_b32_e32 v50, 0xffff, v20
	s_waitcnt vmcnt(3)
	v_lshrrev_b32_e32 v54, 16, v22
	v_lshrrev_b32_e32 v41, 16, v16
	;; [unrolled: 1-line block ×6, first 2 shown]
	s_waitcnt vmcnt(2)
	v_lshrrev_b32_e32 v20, 16, v27
	v_and_b32_e32 v57, 0xffff, v23
	v_lshrrev_b32_e32 v23, 16, v28
	v_and_b32_e32 v14, 0xffff, v14
	v_lshrrev_b32_e32 v43, 16, v17
	v_cvt_f32_u32_e32 v20, v20
	v_and_b32_e32 v55, 0xffff, v22
	v_and_b32_e32 v22, 0xffff, v28
	s_waitcnt vmcnt(1)
	v_and_b32_e32 v28, 0xffff, v31
	v_cvt_f32_u32_e32 v23, v23
	v_cvt_f32_u32_e32 v14, v14
	v_lshrrev_b32_e32 v47, 16, v19
	v_cvt_f32_u32_e32 v22, v22
	v_and_b32_e32 v42, 0xffff, v16
	v_cvt_f32_u32_e32 v16, v38
	v_and_b32_e32 v38, 0xffff, v25
	v_and_b32_e32 v25, 0xffff, v30
	v_cvt_f32_u32_e32 v28, v28
	v_and_b32_e32 v44, 0xffff, v17
	v_and_b32_e32 v17, 0xffff, v26
	;; [unrolled: 1-line block ×3, first 2 shown]
	v_cvt_f32_u32_e32 v25, v25
	v_and_b32_e32 v46, 0xffff, v18
	v_and_b32_e32 v18, 0xffff, v27
	v_cvt_f32_u32_e32 v17, v17
	v_lshrrev_b32_e32 v52, 16, v21
	v_lshrrev_b32_e32 v58, 16, v24
	;; [unrolled: 1-line block ×3, first 2 shown]
	v_cvt_f32_u32_e32 v18, v18
	v_and_b32_e32 v40, 0xffff, v15
	v_lshrrev_b32_e32 v15, 16, v26
	v_cvt_f32_u32_e32 v26, v46
	v_cvt_f32_u32_e32 v27, v27
	v_lshrrev_b32_e32 v30, 16, v32
	v_cvt_f32_u32_e32 v19, v40
	v_cvt_f32_u32_e32 v15, v15
	s_delay_alu instid0(VALU_DEP_3) | instskip(NEXT) | instid1(VALU_DEP_2)
	v_cvt_f32_u32_e32 v30, v30
	v_dual_add_f32 v15, v16, v15 :: v_dual_add_f32 v16, v14, v17
	s_delay_alu instid0(VALU_DEP_4)
	v_add_f32_e32 v17, v19, v18
	v_cvt_f32_u32_e32 v19, v42
	s_waitcnt vmcnt(0)
	v_and_b32_e32 v42, 0xffff, v37
	v_mul_f32_e32 v14, v15, v15
	s_clause 0x2
	buffer_load_b128 v[9:12], v51, s[36:39], 0 offen
	buffer_load_b128 v[5:8], v51, s[36:39], s1 offen
	buffer_load_b128 v[1:4], v51, s[36:39], s2 offen
	v_and_b32_e32 v53, 0xffff, v21
	v_cvt_f32_u32_e32 v21, v39
	v_dual_add_f32 v19, v19, v22 :: v_dual_fmac_f32 v14, v16, v16
	v_cvt_f32_u32_e32 v22, v44
	v_lshrrev_b32_e32 v37, 16, v37
	s_delay_alu instid0(VALU_DEP_4) | instskip(SKIP_4) | instid1(VALU_DEP_4)
	v_add_f32_e32 v18, v21, v20
	v_cvt_f32_u32_e32 v20, v41
	v_dual_fmac_f32 v14, v17, v17 :: v_dual_and_b32 v59, 0xffff, v24
	v_lshrrev_b32_e32 v24, 16, v29
	v_cvt_f32_u32_e32 v40, v57
	v_add_f32_e32 v20, v20, v23
	s_delay_alu instid0(VALU_DEP_4) | instskip(SKIP_2) | instid1(VALU_DEP_3)
	v_dual_fmac_f32 v14, v18, v18 :: v_dual_and_b32 v21, 0xffff, v29
	v_cvt_f32_u32_e32 v23, v43
	v_cvt_f32_u32_e32 v24, v24
	v_dual_fmac_f32 v14, v19, v19 :: v_dual_and_b32 v29, 0xffff, v32
	s_delay_alu instid0(VALU_DEP_4) | instskip(SKIP_2) | instid1(VALU_DEP_4)
	v_cvt_f32_u32_e32 v21, v21
	v_and_b32_e32 v32, 0xffff, v33
	v_lshrrev_b32_e32 v33, 16, v33
	v_cvt_f32_u32_e32 v29, v29
	s_delay_alu instid0(VALU_DEP_4)
	v_dual_fmac_f32 v14, v20, v20 :: v_dual_add_f32 v21, v22, v21
	v_add_f32_e32 v22, v23, v24
	v_cvt_f32_u32_e32 v24, v45
	v_add_f32_e32 v23, v26, v25
	v_cvt_f32_u32_e32 v25, v48
	v_fmac_f32_e32 v14, v21, v21
	v_lshrrev_b32_e32 v26, 16, v31
	v_dual_add_f32 v24, v24, v27 :: v_dual_and_b32 v41, 0xffff, v36
	v_cvt_f32_u32_e32 v27, v47
	v_add_f32_e32 v25, v25, v28
	s_delay_alu instid0(VALU_DEP_4) | instskip(SKIP_4) | instid1(VALU_DEP_4)
	v_cvt_f32_u32_e32 v26, v26
	v_cvt_f32_u32_e32 v28, v50
	;; [unrolled: 1-line block ×5, first 2 shown]
	v_dual_add_f32 v26, v27, v26 :: v_dual_add_f32 v27, v28, v29
	v_cvt_f32_u32_e32 v29, v53
	v_add_f32_e32 v28, v31, v30
	v_cvt_f32_u32_e32 v30, v52
	v_and_b32_e32 v31, 0xffff, v34
	v_dual_fmac_f32 v14, v22, v22 :: v_dual_and_b32 v39, 0xffff, v35
	v_lshrrev_b32_e32 v34, 16, v34
	v_add_f32_e32 v29, v29, v32
	v_cvt_f32_u32_e32 v32, v55
	v_cvt_f32_u32_e32 v31, v31
	v_add_f32_e32 v30, v30, v33
	v_cvt_f32_u32_e32 v33, v54
	v_cvt_f32_u32_e32 v34, v34
	v_lshrrev_b32_e32 v35, 16, v35
	v_cvt_f32_u32_e32 v39, v39
	v_fmac_f32_e32 v14, v23, v23
	s_delay_alu instid0(VALU_DEP_4)
	v_dual_add_f32 v31, v32, v31 :: v_dual_add_f32 v32, v33, v34
	v_cvt_f32_u32_e32 v34, v56
	v_cvt_f32_u32_e32 v35, v35
	v_add_f32_e32 v33, v40, v39
	v_cvt_f32_u32_e32 v39, v59
	v_lshrrev_b32_e32 v36, 16, v36
	v_cvt_f32_u32_e32 v40, v41
	v_add_f32_e32 v34, v34, v35
	v_cvt_f32_u32_e32 v41, v58
	v_cvt_f32_u32_e32 v38, v38
	;; [unrolled: 1-line block ×3, first 2 shown]
	v_add_f32_e32 v35, v39, v40
	v_cvt_f32_u32_e32 v39, v42
	v_fmac_f32_e32 v14, v24, v24
	v_cvt_f32_u32_e32 v40, v60
	v_add_f32_e32 v36, v41, v36
	v_cvt_f32_u32_e32 v41, v37
	s_delay_alu instid0(VALU_DEP_4) | instskip(SKIP_2) | instid1(VALU_DEP_4)
	v_dual_add_f32 v37, v38, v39 :: v_dual_fmac_f32 v14, v25, v25
	v_and_b32_e32 v52, 31, v0
	v_perm_b32 v42, v22, v21, 0x7060302
	v_add_f32_e32 v38, v40, v41
	v_perm_b32 v41, v20, v19, 0x7060302
	v_fmac_f32_e32 v14, v26, v26
	v_perm_b32 v40, v18, v17, 0x7060302
	v_perm_b32 v46, v30, v29, 0x7060302
	;; [unrolled: 1-line block ×4, first 2 shown]
	v_fmac_f32_e32 v14, v27, v27
	v_perm_b32 v43, v24, v23, 0x7060302
	v_perm_b32 v50, v38, v37, 0x7060302
	;; [unrolled: 1-line block ×4, first 2 shown]
	v_fmac_f32_e32 v14, v28, v28
	v_cmp_eq_u32_e64 s0, 31, v52
	s_delay_alu instid0(VALU_DEP_2) | instskip(NEXT) | instid1(VALU_DEP_1)
	v_fmac_f32_e32 v14, v29, v29
	v_fmac_f32_e32 v14, v30, v30
	s_delay_alu instid0(VALU_DEP_1) | instskip(NEXT) | instid1(VALU_DEP_1)
	v_fmac_f32_e32 v14, v31, v31
	v_fmac_f32_e32 v14, v32, v32
	s_delay_alu instid0(VALU_DEP_1) | instskip(NEXT) | instid1(VALU_DEP_1)
	;; [unrolled: 3-line block ×5, first 2 shown]
	v_mov_b32_dpp v39, v14 quad_perm:[1,0,3,2] row_mask:0xf bank_mask:0xf
	v_add_f32_e32 v14, v14, v39
	s_delay_alu instid0(VALU_DEP_1) | instskip(NEXT) | instid1(VALU_DEP_1)
	v_mov_b32_dpp v39, v14 quad_perm:[2,3,0,1] row_mask:0xf bank_mask:0xf
	v_add_f32_e32 v14, v14, v39
	v_perm_b32 v39, v15, v16, 0x7060302
	s_delay_alu instid0(VALU_DEP_2)
	v_mov_b32_dpp v47, v14 row_xmask:7 row_mask:0xf bank_mask:0xf
	buffer_store_b128 v[39:42], v51, s[28:31], 0 offen glc slc
	;;#ASMSTART
	s_nop 0
	;;#ASMEND
	buffer_store_b128 v[43:46], v51, s[28:31], s1 offen glc slc
	;;#ASMSTART
	s_nop 0
	;;#ASMEND
	v_add_f32_e32 v14, v14, v47
	v_perm_b32 v47, v32, v31, 0x7060302
	s_delay_alu instid0(VALU_DEP_2)
	v_mov_b32_dpp v39, v14 row_xmask:15 row_mask:0xf bank_mask:0xf
	buffer_store_b128 v[47:50], v51, s[28:31], s2 offen glc slc
	;;#ASMSTART
	s_nop 0
	;;#ASMEND
	s_and_saveexec_b32 s1, s0
	s_cbranch_execz .LBB50_3
; %bb.2:
	v_add_f32_e32 v14, v14, v39
	s_mov_b32 s2, 0x76543210
	v_lshrrev_b32_e32 v39, 3, v0
	s_delay_alu instid0(VALU_DEP_2) | instskip(NEXT) | instid1(VALU_DEP_1)
	v_permlanex16_b32 v40, v14, s2, 0xfedcba98 op_sel:[1,1]
	v_dual_add_f32 v14, v14, v40 :: v_dual_and_b32 v39, 0x7c, v39
	ds_store_b32 v39, v14 offset:32
.LBB50_3:
	s_or_b32 exec_lo, exec_lo, s1
	v_and_b32_e32 v14, 7, v0
	s_waitcnt vmcnt(0) lgkmcnt(0)
	s_waitcnt_vscnt null, 0x0
	s_barrier
	buffer_gl0_inv
	v_cvt_f32_i32_e32 v41, s5
	v_lshlrev_b32_e32 v14, 2, v14
	s_cmp_lg_u32 s10, 0
	ds_load_b32 v39, v14 offset:32
	s_waitcnt lgkmcnt(0)
	v_mov_b32_dpp v40, v39 quad_perm:[1,0,3,2] row_mask:0xf bank_mask:0xf
	s_delay_alu instid0(VALU_DEP_1) | instskip(NEXT) | instid1(VALU_DEP_1)
	v_add_f32_e32 v39, v39, v40
	v_mov_b32_dpp v40, v39 quad_perm:[2,3,0,1] row_mask:0xf bank_mask:0xf
	s_delay_alu instid0(VALU_DEP_1) | instskip(NEXT) | instid1(VALU_DEP_1)
	v_add_f32_e32 v39, v39, v40
	v_mov_b32_dpp v40, v39 row_xmask:7 row_mask:0xf bank_mask:0xf
	s_delay_alu instid0(VALU_DEP_1) | instskip(NEXT) | instid1(VALU_DEP_1)
	v_add_f32_e32 v39, v39, v40
	v_div_scale_f32 v40, null, v41, v41, v39
	v_div_scale_f32 v44, vcc_lo, v39, v41, v39
	s_delay_alu instid0(VALU_DEP_2) | instskip(SKIP_2) | instid1(VALU_DEP_1)
	v_rcp_f32_e32 v42, v40
	s_waitcnt_depctr 0xfff
	v_fma_f32 v43, -v40, v42, 1.0
	v_fmac_f32_e32 v42, v43, v42
	s_delay_alu instid0(VALU_DEP_1) | instskip(NEXT) | instid1(VALU_DEP_1)
	v_mul_f32_e32 v43, v44, v42
	v_fma_f32 v45, -v40, v43, v44
	s_delay_alu instid0(VALU_DEP_1) | instskip(NEXT) | instid1(VALU_DEP_1)
	v_fmac_f32_e32 v43, v45, v42
	v_fma_f32 v40, -v40, v43, v44
	v_and_b32_e32 v44, 0xffff, v5
	v_lshrrev_b32_e32 v5, 16, v5
	s_delay_alu instid0(VALU_DEP_3)
	v_div_fmas_f32 v40, v40, v42, v43
	v_and_b32_e32 v42, 0xffff, v11
	v_and_b32_e32 v43, 0xffff, v12
	v_lshrrev_b32_e32 v12, 16, v12
	v_lshrrev_b32_e32 v11, 16, v11
	v_div_fixup_f32 v39, v40, v41, v39
	v_cvt_f32_u32_e32 v42, v42
	v_cvt_f32_u32_e32 v5, v5
	;; [unrolled: 1-line block ×4, first 2 shown]
	v_cvt_f64_f32_e32 v[39:40], v39
	v_cvt_f32_u32_e32 v44, v44
	v_cvt_f32_u32_e32 v43, v43
	s_delay_alu instid0(VALU_DEP_3) | instskip(NEXT) | instid1(VALU_DEP_1)
	v_add_f64 v[39:40], v[39:40], s[24:25]
	v_cvt_f32_f64_e32 v39, v[39:40]
	v_and_b32_e32 v40, 0xffff, v9
	v_lshrrev_b32_e32 v9, 16, v9
	s_delay_alu instid0(VALU_DEP_2) | instskip(NEXT) | instid1(VALU_DEP_2)
	v_cvt_f32_u32_e32 v40, v40
	v_cvt_f32_u32_e32 v9, v9
	v_mul_f32_e32 v53, 0x4b800000, v39
	v_cmp_gt_f32_e32 vcc_lo, 0x800000, v39
	v_and_b32_e32 v46, 0xffff, v7
	v_lshrrev_b32_e32 v7, 16, v7
	s_delay_alu instid0(VALU_DEP_4) | instskip(NEXT) | instid1(VALU_DEP_3)
	v_cndmask_b32_e32 v39, v39, v53, vcc_lo
	v_cvt_f32_u32_e32 v46, v46
	s_delay_alu instid0(VALU_DEP_3) | instskip(NEXT) | instid1(VALU_DEP_3)
	v_cvt_f32_u32_e32 v7, v7
	v_rsq_f32_e32 v39, v39
	s_waitcnt_depctr 0xfff
	v_mul_f32_e32 v53, 0x45800000, v39
	v_and_b32_e32 v50, 0xffff, v3
	v_lshrrev_b32_e32 v3, 16, v3
	s_delay_alu instid0(VALU_DEP_3) | instskip(SKIP_3) | instid1(VALU_DEP_4)
	v_cndmask_b32_e32 v39, v39, v53, vcc_lo
	v_and_b32_e32 v41, 0xffff, v10
	v_lshrrev_b32_e32 v10, 16, v10
	v_and_b32_e32 v45, 0xffff, v6
	v_dual_mul_f32 v20, v20, v39 :: v_dual_and_b32 v47, 0xffff, v8
	v_lshrrev_b32_e32 v8, 16, v8
	v_dual_mul_f32 v15, v15, v39 :: v_dual_and_b32 v48, 0xffff, v1
	v_lshrrev_b32_e32 v1, 16, v1
	v_dual_mul_f32 v22, v22, v39 :: v_dual_and_b32 v49, 0xffff, v2
	v_cvt_f32_u32_e32 v10, v10
	v_mul_f32_e32 v18, v18, v39
	v_lshrrev_b32_e32 v6, 16, v6
	v_dual_mul_f32 v54, v24, v39 :: v_dual_and_b32 v51, 0xffff, v4
	v_dual_mov_b32 v52, 0x2edbe6ff :: v_dual_mul_f32 v17, v17, v39
	v_cvt_f32_u32_e32 v8, v8
	v_cvt_f32_u32_e32 v1, v1
	;; [unrolled: 1-line block ×3, first 2 shown]
	v_mul_f32_e32 v16, v16, v39
	v_cvt_f32_u32_e32 v41, v41
	v_dual_mul_f32 v19, v19, v39 :: v_dual_mul_f32 v22, v22, v12
	v_mul_f32_e32 v56, v26, v39
	v_mul_f32_e32 v58, v28, v39
	;; [unrolled: 1-line block ×4, first 2 shown]
	v_dual_mul_f32 v26, v18, v10 :: v_dual_mul_f32 v33, v33, v39
	v_mul_f32_e32 v53, v23, v39
	v_lshrrev_b32_e32 v2, 16, v2
	v_cvt_f32_u32_e32 v6, v6
	v_lshrrev_b32_e32 v4, 16, v4
	v_cvt_f32_u32_e32 v45, v45
	v_cvt_f32_u32_e32 v50, v50
	v_dual_mul_f32 v28, v16, v40 :: v_dual_mul_f32 v23, v19, v42
	v_mul_f32_e32 v16, v30, v8
	v_mul_f32_e32 v19, v54, v5
	v_dual_mul_f32 v55, v25, v39 :: v_dual_mul_f32 v10, v32, v1
	v_mul_f32_e32 v21, v21, v39
	v_dual_mul_f32 v25, v17, v41 :: v_dual_mul_f32 v18, v58, v7
	v_and_b32_e32 v30, 0x7fffffff, v26
	v_dual_mul_f32 v24, v20, v11 :: v_dual_mul_f32 v7, v33, v49
	v_mul_f32_e32 v35, v35, v39
	v_cvt_f32_u32_e32 v3, v3
	v_dual_mul_f32 v57, v27, v39 :: v_dual_mul_f32 v20, v53, v44
	v_mul_f32_e32 v36, v36, v39
	v_cvt_f32_u32_e32 v2, v2
	v_mul_f32_e32 v27, v15, v9
	s_delay_alu instid0(VALU_DEP_4)
	v_dual_mul_f32 v17, v57, v46 :: v_dual_mul_f32 v34, v34, v39
	v_mul_f32_e32 v11, v56, v6
	v_cvt_f32_u32_e32 v47, v47
	v_mul_f32_e32 v29, v29, v39
	v_cvt_f32_u32_e32 v48, v48
	;; [unrolled: 2-line block ×3, first 2 shown]
	v_mul_f32_e32 v38, v38, v39
	v_mul_f32_e32 v31, v31, v39
	;; [unrolled: 1-line block ×3, first 2 shown]
	v_dual_mul_f32 v5, v35, v50 :: v_dual_and_b32 v32, 0x7fffffff, v24
	s_delay_alu instid0(VALU_DEP_4)
	v_dual_mul_f32 v4, v38, v4 :: v_dual_mul_f32 v21, v21, v43
	v_and_b32_e32 v40, 0x7fffffff, v18
	v_dual_mul_f32 v6, v36, v3 :: v_dual_and_b32 v1, 0x7fffffff, v28
	v_cvt_f32_u32_e32 v51, v51
	v_dual_mul_f32 v37, v37, v39 :: v_dual_and_b32 v34, 0x7fffffff, v22
	v_and_b32_e32 v2, 0x7fffffff, v27
	;;#ASMSTART
	v_max3_f32 v1, v52, v1, v2

	;;#ASMEND
	v_dual_mul_f32 v15, v29, v47 :: v_dual_and_b32 v42, 0x7fffffff, v16
	v_and_b32_e32 v29, 0x7fffffff, v25
	;;#ASMSTART
	v_max3_f32 v1, v1, v29, v30

	;;#ASMEND
	v_mul_f32_e32 v9, v31, v48
	v_and_b32_e32 v31, 0x7fffffff, v23
	;;#ASMSTART
	v_max3_f32 v1, v1, v31, v32

	;;#ASMEND
	v_and_b32_e32 v33, 0x7fffffff, v21
	;;#ASMSTART
	v_max3_f32 v1, v1, v33, v34

	;;#ASMEND
	v_and_b32_e32 v35, 0x7fffffff, v20
	v_and_b32_e32 v36, 0x7fffffff, v19
	;;#ASMSTART
	v_max3_f32 v1, v1, v35, v36

	;;#ASMEND
	v_dual_mul_f32 v3, v37, v51 :: v_dual_and_b32 v44, 0x7fffffff, v10
	v_and_b32_e32 v37, 0x7fffffff, v12
	v_and_b32_e32 v38, 0x7fffffff, v11
	;;#ASMSTART
	v_max3_f32 v1, v1, v37, v38

	;;#ASMEND
	v_and_b32_e32 v39, 0x7fffffff, v17
	;;#ASMSTART
	v_max3_f32 v1, v1, v39, v40

	;;#ASMEND
	;; [unrolled: 5-line block ×4, first 2 shown]
	v_and_b32_e32 v45, 0x7fffffff, v7
	v_and_b32_e32 v46, 0x7fffffff, v8
	;;#ASMSTART
	v_max3_f32 v1, v1, v45, v46

	;;#ASMEND
	v_and_b32_e32 v47, 0x7fffffff, v5
	v_and_b32_e32 v48, 0x7fffffff, v6
	;; [unrolled: 1-line block ×4, first 2 shown]
	;;#ASMSTART
	v_max3_f32 v1, v1, v47, v48

	;;#ASMEND
	;;#ASMSTART
	v_max3_f32 v29, v1, v49, v50

	;;#ASMEND
	s_cbranch_scc0 .LBB50_10
; %bb.4:
	s_mul_hi_i32 s1, s10, 0x2aaaaaab
	s_delay_alu instid0(SALU_CYCLE_1) | instskip(SKIP_1) | instid1(SALU_CYCLE_1)
	s_lshr_b32 s2, s1, 31
	s_ashr_i32 s1, s1, 2
	s_add_i32 s1, s1, s2
	s_delay_alu instid0(SALU_CYCLE_1)
	s_cmp_lt_i32 s1, 8
	s_cbranch_scc1 .LBB50_11
; %bb.5:
	s_cmp_lt_i32 s1, 16
	s_cbranch_scc1 .LBB50_12
; %bb.6:
	;; [unrolled: 3-line block ×3, first 2 shown]
	v_mov_b32_e32 v1, v29
	s_cmp_eq_u32 s1, 32
	s_cbranch_scc0 .LBB50_9
; %bb.8:
	s_delay_alu instid0(VALU_DEP_1) | instskip(SKIP_1) | instid1(VALU_DEP_1)
	v_mov_b32_dpp v1, v29 quad_perm:[1,0,3,2] row_mask:0xf bank_mask:0xf
	s_mov_b32 s2, 0x76543210
	v_cmp_gt_f32_e32 vcc_lo, v29, v1
	v_cndmask_b32_e32 v1, v1, v29, vcc_lo
	s_delay_alu instid0(VALU_DEP_1) | instskip(NEXT) | instid1(VALU_DEP_1)
	v_mov_b32_dpp v2, v1 quad_perm:[2,3,0,1] row_mask:0xf bank_mask:0xf
	v_cmp_gt_f32_e32 vcc_lo, v1, v2
	v_cndmask_b32_e32 v1, v2, v1, vcc_lo
	s_delay_alu instid0(VALU_DEP_1) | instskip(NEXT) | instid1(VALU_DEP_1)
	v_mov_b32_dpp v2, v1 row_xmask:7 row_mask:0xf bank_mask:0xf
	v_cmp_gt_f32_e32 vcc_lo, v1, v2
	v_cndmask_b32_e32 v1, v2, v1, vcc_lo
	s_delay_alu instid0(VALU_DEP_1) | instskip(NEXT) | instid1(VALU_DEP_1)
	v_mov_b32_dpp v2, v1 row_xmask:15 row_mask:0xf bank_mask:0xf
	v_cmp_gt_f32_e32 vcc_lo, v1, v2
	v_cndmask_b32_e32 v1, v2, v1, vcc_lo
	s_delay_alu instid0(VALU_DEP_1) | instskip(NEXT) | instid1(VALU_DEP_1)
	v_permlanex16_b32 v2, v1, s2, 0xfedcba98 op_sel:[1,1]
	v_cmp_gt_f32_e32 vcc_lo, v1, v2
	v_cndmask_b32_e32 v1, v2, v1, vcc_lo
.LBB50_9:
	s_mov_b32 s2, 0
	s_branch .LBB50_14
.LBB50_10:
	s_mov_b32 s1, 0
                                        ; implicit-def: $vgpr30
                                        ; implicit-def: $vgpr1_vgpr2
	s_and_b32 vcc_lo, exec_lo, s31
	s_cbranch_vccnz .LBB50_38
	s_branch .LBB50_41
.LBB50_11:
                                        ; implicit-def: $vgpr1
	s_branch .LBB50_21
.LBB50_12:
                                        ; implicit-def: $vgpr1
	s_branch .LBB50_18
.LBB50_13:
	s_mov_b32 s2, -1
                                        ; implicit-def: $vgpr1
.LBB50_14:
	s_delay_alu instid0(SALU_CYCLE_1)
	s_and_not1_b32 vcc_lo, exec_lo, s2
	s_cbranch_vccnz .LBB50_17
; %bb.15:
	v_mov_b32_e32 v1, v29
	s_cmp_eq_u32 s1, 16
	s_cbranch_scc0 .LBB50_17
; %bb.16:
	s_delay_alu instid0(VALU_DEP_1) | instskip(NEXT) | instid1(VALU_DEP_1)
	v_mov_b32_dpp v1, v29 quad_perm:[1,0,3,2] row_mask:0xf bank_mask:0xf
	v_cmp_gt_f32_e32 vcc_lo, v29, v1
	v_cndmask_b32_e32 v1, v1, v29, vcc_lo
	s_delay_alu instid0(VALU_DEP_1) | instskip(NEXT) | instid1(VALU_DEP_1)
	v_mov_b32_dpp v2, v1 quad_perm:[2,3,0,1] row_mask:0xf bank_mask:0xf
	v_cmp_gt_f32_e32 vcc_lo, v1, v2
	v_cndmask_b32_e32 v1, v2, v1, vcc_lo
	s_delay_alu instid0(VALU_DEP_1) | instskip(NEXT) | instid1(VALU_DEP_1)
	v_mov_b32_dpp v2, v1 row_half_mirror row_mask:0xf bank_mask:0xf
	v_cmp_gt_f32_e32 vcc_lo, v1, v2
	v_cndmask_b32_e32 v1, v2, v1, vcc_lo
	s_delay_alu instid0(VALU_DEP_1) | instskip(NEXT) | instid1(VALU_DEP_1)
	v_mov_b32_dpp v2, v1 row_mirror row_mask:0xf bank_mask:0xf
	v_cmp_gt_f32_e32 vcc_lo, v1, v2
	v_cndmask_b32_e32 v1, v2, v1, vcc_lo
.LBB50_17:
	s_cbranch_execnz .LBB50_20
.LBB50_18:
	v_mov_b32_e32 v1, v29
	s_cmp_eq_u32 s1, 8
	s_cbranch_scc0 .LBB50_20
; %bb.19:
	s_delay_alu instid0(VALU_DEP_1) | instskip(NEXT) | instid1(VALU_DEP_1)
	v_mov_b32_dpp v1, v29 quad_perm:[1,0,3,2] row_mask:0xf bank_mask:0xf
	v_cmp_gt_f32_e32 vcc_lo, v29, v1
	v_cndmask_b32_e32 v1, v1, v29, vcc_lo
	s_delay_alu instid0(VALU_DEP_1) | instskip(NEXT) | instid1(VALU_DEP_1)
	v_mov_b32_dpp v2, v1 quad_perm:[2,3,0,1] row_mask:0xf bank_mask:0xf
	v_cmp_gt_f32_e32 vcc_lo, v1, v2
	v_cndmask_b32_e32 v1, v2, v1, vcc_lo
	s_delay_alu instid0(VALU_DEP_1) | instskip(NEXT) | instid1(VALU_DEP_1)
	v_mov_b32_dpp v2, v1 row_half_mirror row_mask:0xf bank_mask:0xf
	v_cmp_gt_f32_e32 vcc_lo, v1, v2
	v_cndmask_b32_e32 v1, v2, v1, vcc_lo
.LBB50_20:
	s_cbranch_execnz .LBB50_28
.LBB50_21:
	s_cmp_lt_i32 s1, 4
	s_cbranch_scc1 .LBB50_24
; %bb.22:
	v_mov_b32_e32 v1, v29
	s_cmp_eq_u32 s1, 4
	s_cbranch_scc0 .LBB50_25
; %bb.23:
	s_delay_alu instid0(VALU_DEP_1) | instskip(NEXT) | instid1(VALU_DEP_1)
	v_mov_b32_dpp v1, v29 quad_perm:[1,0,3,2] row_mask:0xf bank_mask:0xf
	v_cmp_gt_f32_e32 vcc_lo, v29, v1
	v_cndmask_b32_e32 v1, v1, v29, vcc_lo
	s_delay_alu instid0(VALU_DEP_1) | instskip(NEXT) | instid1(VALU_DEP_1)
	v_mov_b32_dpp v2, v1 quad_perm:[2,3,0,1] row_mask:0xf bank_mask:0xf
	v_cmp_gt_f32_e32 vcc_lo, v1, v2
	v_cndmask_b32_e32 v1, v2, v1, vcc_lo
	s_cbranch_execz .LBB50_26
	s_branch .LBB50_28
.LBB50_24:
                                        ; implicit-def: $vgpr1
	s_branch .LBB50_26
.LBB50_25:
	s_cbranch_execnz .LBB50_28
.LBB50_26:
	v_mov_b32_e32 v1, v29
	s_cmp_lg_u32 s1, 2
	s_cbranch_scc1 .LBB50_28
; %bb.27:
	s_delay_alu instid0(VALU_DEP_1) | instskip(NEXT) | instid1(VALU_DEP_1)
	v_mov_b32_dpp v1, v29 quad_perm:[1,0,3,2] row_mask:0xf bank_mask:0xf
	v_cmp_gt_f32_e32 vcc_lo, v29, v1
	v_cndmask_b32_e32 v1, v1, v29, vcc_lo
.LBB50_28:
	v_cvt_f32_u32_e32 v2, s1
	s_sub_i32 s2, 0, s1
	s_mov_b32 s31, 0
	s_delay_alu instid0(VALU_DEP_1) | instskip(SKIP_2) | instid1(VALU_DEP_1)
	v_rcp_iflag_f32_e32 v2, v2
	s_waitcnt_depctr 0xfff
	v_mul_f32_e32 v2, 0x4f7ffffe, v2
	v_cvt_u32_f32_e32 v2, v2
	s_delay_alu instid0(VALU_DEP_1) | instskip(NEXT) | instid1(VALU_DEP_1)
	v_mul_lo_u32 v30, s2, v2
	v_mul_hi_u32 v30, v2, v30
	s_delay_alu instid0(VALU_DEP_1) | instskip(NEXT) | instid1(VALU_DEP_1)
	v_add_nc_u32_e32 v2, v2, v30
	v_mul_hi_u32 v2, v0, v2
	s_delay_alu instid0(VALU_DEP_1) | instskip(NEXT) | instid1(VALU_DEP_1)
	v_mul_lo_u32 v30, v2, s1
	v_sub_nc_u32_e32 v30, v0, v30
	s_delay_alu instid0(VALU_DEP_1) | instskip(SKIP_1) | instid1(VALU_DEP_2)
	v_subrev_nc_u32_e32 v32, s1, v30
	v_cmp_le_u32_e32 vcc_lo, s1, v30
	v_dual_cndmask_b32 v30, v30, v32 :: v_dual_add_nc_u32 v31, 1, v2
	s_delay_alu instid0(VALU_DEP_1) | instskip(NEXT) | instid1(VALU_DEP_2)
	v_cndmask_b32_e32 v2, v2, v31, vcc_lo
	v_cmp_le_u32_e32 vcc_lo, s1, v30
	s_delay_alu instid0(VALU_DEP_2) | instskip(SKIP_1) | instid1(VALU_DEP_2)
	v_add_nc_u32_e32 v31, 1, v2
	v_mul_u32_u24_e32 v30, 24, v0
	v_cndmask_b32_e32 v31, v2, v31, vcc_lo
	s_delay_alu instid0(VALU_DEP_2) | instskip(SKIP_1) | instid1(VALU_DEP_3)
	v_cmp_gt_u32_e32 vcc_lo, s5, v30
	v_mul_f32_e32 v30, 0x3c010204, v1
	v_mul_lo_u32 v2, v31, s1
	s_delay_alu instid0(VALU_DEP_1) | instskip(NEXT) | instid1(VALU_DEP_1)
	v_sub_nc_u32_e32 v2, v0, v2
	v_cmp_eq_u32_e64 s1, 0, v2
                                        ; implicit-def: $vgpr1_vgpr2
	s_delay_alu instid0(VALU_DEP_1) | instskip(SKIP_2) | instid1(SALU_CYCLE_1)
	s_and_b32 s2, s1, vcc_lo
	s_mov_b32 s1, 0
	s_and_saveexec_b32 s3, s2
	s_xor_b32 s8, exec_lo, s3
	s_cbranch_execz .LBB50_37
; %bb.29:
	s_bitcmp0_b32 s11, 0
	s_mov_b32 s6, 0
	s_cbranch_scc0 .LBB50_34
; %bb.30:
	s_ashr_i32 s1, s5, 31
	s_mul_hi_u32 s3, s5, s34
	s_mul_i32 s1, s1, s34
	s_mul_i32 s2, s5, s34
	s_add_i32 s3, s3, s1
	s_ashr_i32 s11, s10, 31
	s_delay_alu instid0(SALU_CYCLE_1) | instskip(NEXT) | instid1(SALU_CYCLE_1)
	s_or_b64 s[14:15], s[2:3], s[10:11]
	s_mov_b32 s7, s15
	s_delay_alu instid0(SALU_CYCLE_1)
	s_cmp_lg_u64 s[6:7], 0
	s_cbranch_scc0 .LBB50_45
; %bb.31:
	s_add_u32 s14, s10, s11
	s_mov_b32 s6, s11
	s_mov_b32 s7, s11
	s_addc_u32 s15, s11, s11
	s_delay_alu instid0(SALU_CYCLE_1) | instskip(NEXT) | instid1(SALU_CYCLE_1)
	s_xor_b64 s[14:15], s[14:15], s[6:7]
	v_cvt_f32_u32_e32 v1, s14
	v_cvt_f32_u32_e32 v2, s15
	s_sub_u32 s18, 0, s14
	s_subb_u32 s19, 0, s15
	s_delay_alu instid0(VALU_DEP_1) | instskip(NEXT) | instid1(VALU_DEP_1)
	v_fmamk_f32 v1, v2, 0x4f800000, v1
	v_rcp_f32_e32 v1, v1
	s_waitcnt_depctr 0xfff
	v_mul_f32_e32 v1, 0x5f7ffffc, v1
	s_delay_alu instid0(VALU_DEP_1) | instskip(NEXT) | instid1(VALU_DEP_1)
	v_mul_f32_e32 v2, 0x2f800000, v1
	v_trunc_f32_e32 v2, v2
	s_delay_alu instid0(VALU_DEP_1) | instskip(SKIP_1) | instid1(VALU_DEP_2)
	v_fmamk_f32 v1, v2, 0xcf800000, v1
	v_cvt_u32_f32_e32 v2, v2
	v_cvt_u32_f32_e32 v1, v1
	s_delay_alu instid0(VALU_DEP_2) | instskip(NEXT) | instid1(VALU_DEP_2)
	v_readfirstlane_b32 s1, v2
	v_readfirstlane_b32 s11, v1
	s_delay_alu instid0(VALU_DEP_2) | instskip(NEXT) | instid1(VALU_DEP_1)
	s_mul_i32 s20, s18, s1
	s_mul_hi_u32 s22, s18, s11
	s_mul_i32 s21, s19, s11
	s_add_i32 s20, s22, s20
	s_mul_i32 s23, s18, s11
	s_add_i32 s20, s20, s21
	s_mul_hi_u32 s22, s11, s23
	s_mul_hi_u32 s24, s1, s23
	s_mul_i32 s21, s1, s23
	s_mul_hi_u32 s23, s11, s20
	s_mul_i32 s11, s11, s20
	s_mul_hi_u32 s25, s1, s20
	s_add_u32 s11, s22, s11
	s_addc_u32 s22, 0, s23
	s_add_u32 s11, s11, s21
	s_mul_i32 s20, s1, s20
	s_addc_u32 s11, s22, s24
	s_addc_u32 s21, s25, 0
	s_add_u32 s11, s11, s20
	s_addc_u32 s20, 0, s21
	v_add_co_u32 v1, s11, v1, s11
	s_delay_alu instid0(VALU_DEP_1) | instskip(SKIP_1) | instid1(VALU_DEP_1)
	s_cmp_lg_u32 s11, 0
	s_addc_u32 s1, s1, s20
	v_readfirstlane_b32 s11, v1
	s_mul_i32 s20, s18, s1
	s_delay_alu instid0(VALU_DEP_1)
	s_mul_hi_u32 s21, s18, s11
	s_mul_i32 s19, s19, s11
	s_add_i32 s20, s21, s20
	s_mul_i32 s18, s18, s11
	s_add_i32 s20, s20, s19
	s_mul_hi_u32 s21, s1, s18
	s_mul_i32 s22, s1, s18
	s_mul_hi_u32 s18, s11, s18
	s_mul_hi_u32 s23, s11, s20
	s_mul_i32 s11, s11, s20
	s_mul_hi_u32 s19, s1, s20
	s_add_u32 s11, s18, s11
	s_addc_u32 s18, 0, s23
	s_add_u32 s11, s11, s22
	s_mul_i32 s20, s1, s20
	s_addc_u32 s11, s18, s21
	s_addc_u32 s18, s19, 0
	s_add_u32 s11, s11, s20
	s_addc_u32 s18, 0, s18
	v_add_co_u32 v1, s11, v1, s11
	s_delay_alu instid0(VALU_DEP_1) | instskip(SKIP_2) | instid1(SALU_CYCLE_1)
	s_cmp_lg_u32 s11, 0
	s_addc_u32 s1, s1, s18
	s_ashr_i32 s18, s3, 31
	s_add_u32 s20, s2, s18
	s_addc_u32 s21, s3, s18
	v_readfirstlane_b32 s3, v1
	s_mov_b32 s19, s18
	s_delay_alu instid0(SALU_CYCLE_1) | instskip(NEXT) | instid1(SALU_CYCLE_1)
	s_xor_b64 s[20:21], s[20:21], s[18:19]
	s_mul_i32 s22, s20, s1
	s_delay_alu instid0(VALU_DEP_1)
	s_mul_hi_u32 s23, s20, s3
	s_mul_hi_u32 s11, s20, s1
	;; [unrolled: 1-line block ×3, first 2 shown]
	s_mul_i32 s3, s21, s3
	s_add_u32 s22, s23, s22
	s_addc_u32 s11, 0, s11
	s_mul_hi_u32 s24, s21, s1
	s_add_u32 s3, s22, s3
	s_mul_i32 s1, s21, s1
	s_addc_u32 s3, s11, s25
	s_addc_u32 s11, s24, 0
	s_add_u32 s3, s3, s1
	s_addc_u32 s11, 0, s11
	s_mul_i32 s24, s14, s3
	s_mul_hi_u32 s1, s14, s3
	s_mul_i32 s23, s14, s11
	v_sub_co_u32 v1, s20, s20, s24
	s_mul_i32 s22, s15, s3
	s_add_i32 s1, s1, s23
	s_delay_alu instid0(SALU_CYCLE_1) | instskip(NEXT) | instid1(VALU_DEP_1)
	s_add_i32 s1, s1, s22
	v_sub_co_u32 v2, s23, v1, s14
	s_sub_i32 s22, s21, s1
	s_cmp_lg_u32 s20, 0
	s_subb_u32 s22, s22, s15
	s_cmp_lg_u32 s23, 0
	v_cmp_le_u32_e32 vcc_lo, s14, v2
	s_subb_u32 s22, s22, 0
	s_delay_alu instid0(SALU_CYCLE_1)
	s_cmp_ge_u32 s22, s15
	v_cndmask_b32_e64 v2, 0, -1, vcc_lo
	s_cselect_b32 s23, -1, 0
	s_cmp_eq_u32 s22, s15
	s_cselect_b32 vcc_lo, -1, 0
	s_add_u32 s22, s3, 1
	v_cndmask_b32_e32 v2, s23, v2, vcc_lo
	s_addc_u32 s23, s11, 0
	s_add_u32 s24, s3, 2
	s_addc_u32 s25, s11, 0
	s_cmp_lg_u32 s20, 0
	v_cmp_le_u32_e32 vcc_lo, s14, v1
	s_subb_u32 s1, s21, s1
	v_mov_b32_e32 v32, s24
	s_cmp_ge_u32 s1, s15
	v_cndmask_b32_e64 v1, 0, -1, vcc_lo
	s_cselect_b32 s14, -1, 0
	s_cmp_eq_u32 s1, s15
	v_cmp_ne_u32_e32 vcc_lo, 0, v2
	v_mov_b32_e32 v2, s25
	s_cselect_b32 s1, -1, 0
	s_xor_b64 s[6:7], s[18:19], s[6:7]
	v_cndmask_b32_e64 v1, s14, v1, s1
	v_cndmask_b32_e32 v32, s22, v32, vcc_lo
	v_cndmask_b32_e32 v2, s23, v2, vcc_lo
	s_delay_alu instid0(VALU_DEP_3) | instskip(NEXT) | instid1(VALU_DEP_2)
	v_cmp_ne_u32_e32 vcc_lo, 0, v1
	v_cndmask_b32_e32 v1, s11, v2, vcc_lo
	s_delay_alu instid0(VALU_DEP_4) | instskip(NEXT) | instid1(VALU_DEP_2)
	v_cndmask_b32_e32 v2, s3, v32, vcc_lo
	v_xor_b32_e32 v32, s7, v1
	s_delay_alu instid0(VALU_DEP_2) | instskip(NEXT) | instid1(VALU_DEP_1)
	v_xor_b32_e32 v2, s6, v2
	v_sub_co_u32 v1, vcc_lo, v2, s6
	s_delay_alu instid0(VALU_DEP_3)
	v_subrev_co_ci_u32_e32 v2, vcc_lo, s7, v32, vcc_lo
	s_cbranch_execnz .LBB50_33
.LBB50_32:
	v_cvt_f32_u32_e32 v1, s10
	s_sub_i32 s3, 0, s10
	s_delay_alu instid0(VALU_DEP_1) | instskip(SKIP_2) | instid1(VALU_DEP_1)
	v_rcp_iflag_f32_e32 v1, v1
	s_waitcnt_depctr 0xfff
	v_mul_f32_e32 v1, 0x4f7ffffe, v1
	v_cvt_u32_f32_e32 v1, v1
	s_delay_alu instid0(VALU_DEP_1) | instskip(NEXT) | instid1(VALU_DEP_1)
	v_readfirstlane_b32 s1, v1
	s_mul_i32 s3, s3, s1
	s_delay_alu instid0(SALU_CYCLE_1) | instskip(NEXT) | instid1(SALU_CYCLE_1)
	s_mul_hi_u32 s3, s1, s3
	s_add_i32 s1, s1, s3
	s_delay_alu instid0(SALU_CYCLE_1) | instskip(NEXT) | instid1(SALU_CYCLE_1)
	s_mul_hi_u32 s1, s2, s1
	s_mul_i32 s3, s1, s10
	s_delay_alu instid0(SALU_CYCLE_1)
	s_sub_i32 s2, s2, s3
	s_add_i32 s3, s1, 1
	s_sub_i32 s6, s2, s10
	s_cmp_ge_u32 s2, s10
	s_cselect_b32 s1, s3, s1
	s_cselect_b32 s2, s6, s2
	s_add_i32 s6, s1, 1
	s_cmp_ge_u32 s2, s10
	s_mov_b32 s3, 0
	s_cselect_b32 s2, s6, s1
	s_delay_alu instid0(SALU_CYCLE_1)
	v_dual_mov_b32 v1, s2 :: v_dual_mov_b32 v2, s3
.LBB50_33:
	s_delay_alu instid0(VALU_DEP_1) | instskip(NEXT) | instid1(VALU_DEP_2)
	v_add_co_u32 v1, vcc_lo, v1, v31
	v_add_co_ci_u32_e32 v2, vcc_lo, 0, v2, vcc_lo
	s_branch .LBB50_36
.LBB50_34:
                                        ; implicit-def: $vgpr1_vgpr2
	s_cbranch_execz .LBB50_36
; %bb.35:
	v_mul_lo_u32 v1, v31, s4
	s_delay_alu instid0(VALU_DEP_1) | instskip(SKIP_1) | instid1(VALU_DEP_2)
	v_ashrrev_i32_e32 v2, 31, v1
	v_add_co_u32 v1, vcc_lo, v1, s34
	v_add_co_ci_u32_e32 v2, vcc_lo, 0, v2, vcc_lo
.LBB50_36:
	s_mov_b32 s1, exec_lo
.LBB50_37:
	s_or_b32 exec_lo, exec_lo, s8
	s_delay_alu instid0(SALU_CYCLE_1)
	s_and_b32 vcc_lo, exec_lo, s31
	s_cbranch_vccz .LBB50_41
.LBB50_38:
	v_mov_b32_dpp v1, v29 quad_perm:[1,0,3,2] row_mask:0xf bank_mask:0xf
	s_delay_alu instid0(VALU_DEP_1) | instskip(SKIP_1) | instid1(VALU_DEP_1)
	v_cmp_gt_f32_e32 vcc_lo, v29, v1
	v_cndmask_b32_e32 v1, v1, v29, vcc_lo
	v_mov_b32_dpp v2, v1 quad_perm:[2,3,0,1] row_mask:0xf bank_mask:0xf
	s_delay_alu instid0(VALU_DEP_1) | instskip(SKIP_1) | instid1(VALU_DEP_1)
	v_cmp_gt_f32_e32 vcc_lo, v1, v2
	v_cndmask_b32_e32 v1, v2, v1, vcc_lo
	v_mov_b32_dpp v2, v1 row_xmask:7 row_mask:0xf bank_mask:0xf
	s_delay_alu instid0(VALU_DEP_1) | instskip(SKIP_1) | instid1(VALU_DEP_1)
	v_cmp_gt_f32_e32 vcc_lo, v1, v2
	v_cndmask_b32_e32 v1, v2, v1, vcc_lo
	v_mov_b32_dpp v2, v1 row_xmask:15 row_mask:0xf bank_mask:0xf
	s_delay_alu instid0(VALU_DEP_1)
	v_cmp_gt_f32_e32 vcc_lo, v1, v2
	s_and_saveexec_b32 s1, s0
	s_cbranch_execz .LBB50_40
; %bb.39:
	v_cndmask_b32_e32 v1, v2, v1, vcc_lo
	v_lshrrev_b32_e32 v2, 3, v0
	s_mov_b32 s0, 0x76543210
	s_delay_alu instid0(VALU_DEP_1) | instskip(NEXT) | instid1(VALU_DEP_3)
	v_and_b32_e32 v2, 0x7c, v2
	v_permlanex16_b32 v29, v1, s0, 0xfedcba98 op_sel:[1,1]
	s_delay_alu instid0(VALU_DEP_1)
	v_cmp_gt_f32_e32 vcc_lo, v1, v29
	v_cndmask_b32_e32 v1, v29, v1, vcc_lo
	ds_store_b32 v2, v1
.LBB50_40:
	s_or_b32 exec_lo, exec_lo, s1
	s_waitcnt lgkmcnt(0)
	s_barrier
	buffer_gl0_inv
	ds_load_b32 v1, v14
	v_cmp_eq_u32_e64 s1, 0, v0
	s_waitcnt lgkmcnt(0)
	v_mov_b32_dpp v2, v1 quad_perm:[1,0,3,2] row_mask:0xf bank_mask:0xf
	s_delay_alu instid0(VALU_DEP_1) | instskip(SKIP_1) | instid1(VALU_DEP_1)
	v_cmp_gt_f32_e32 vcc_lo, v1, v2
	v_cndmask_b32_e32 v1, v2, v1, vcc_lo
	v_mov_b32_dpp v2, v1 quad_perm:[2,3,0,1] row_mask:0xf bank_mask:0xf
	s_delay_alu instid0(VALU_DEP_1) | instskip(SKIP_1) | instid1(VALU_DEP_1)
	v_cmp_gt_f32_e32 vcc_lo, v1, v2
	v_cndmask_b32_e32 v1, v2, v1, vcc_lo
	v_mov_b32_dpp v2, v1 row_xmask:7 row_mask:0xf bank_mask:0xf
	s_delay_alu instid0(VALU_DEP_1) | instskip(SKIP_1) | instid1(VALU_DEP_1)
	v_cmp_gt_f32_e32 vcc_lo, v1, v2
	v_cndmask_b32_e32 v1, v2, v1, vcc_lo
	v_dual_mul_f32 v30, 0x3c010204, v1 :: v_dual_mov_b32 v1, s34
	v_mov_b32_e32 v2, s35
.LBB50_41:
	s_and_saveexec_b32 s0, s1
	s_cbranch_execz .LBB50_43
; %bb.42:
	s_delay_alu instid0(VALU_DEP_1) | instskip(NEXT) | instid1(VALU_DEP_1)
	v_lshlrev_b64 v[0:1], 2, v[1:2]
	v_add_co_u32 v0, vcc_lo, s16, v0
	s_delay_alu instid0(VALU_DEP_2)
	v_add_co_ci_u32_e32 v1, vcc_lo, s17, v1, vcc_lo
	global_store_b32 v[0:1], v30, off
.LBB50_43:
	s_or_b32 exec_lo, exec_lo, s0
	;;#ASMSTART
	v_rcp_f32 v2, v30
	;;#ASMEND
	v_mul_f32_e32 v17, v17, v2
	v_mul_f32_e32 v21, v21, v2
	;; [unrolled: 1-line block ×3, first 2 shown]
	s_add_i32 s0, s5, 3
	v_mul_f32_e32 v15, v15, v2
	v_cvt_i32_f32_e32 v17, v17
	v_mul_f32_e32 v22, v22, v2
	v_cvt_i32_f32_e32 v21, v21
	;; [unrolled: 2-line block ×3, first 2 shown]
	v_and_b32_e32 v17, 0xff, v17
	v_cvt_i32_f32_e32 v22, v22
	v_dual_mul_f32 v0, v28, v2 :: v_dual_and_b32 v21, 0xff, v21
	s_delay_alu instid0(VALU_DEP_4) | instskip(SKIP_1) | instid1(VALU_DEP_4)
	v_and_b32_e32 v23, 0xff, v23
	v_cvt_i32_f32_e32 v14, v14
	v_lshlrev_b16 v22, 8, v22
	s_ashr_i32 s1, s0, 31
	v_cvt_i32_f32_e32 v0, v0
	v_mul_f32_e32 v1, v27, v2
	v_and_b32_e32 v14, 0xff, v14
	v_or_b32_e32 v21, v21, v22
	v_mul_f32_e32 v24, v24, v2
	v_and_b32_e32 v0, 0xff, v0
	v_cvt_i32_f32_e32 v1, v1
	s_lshr_b32 s1, s1, 30
	v_lshlrev_b32_e32 v21, 16, v21
	v_cvt_i32_f32_e32 v24, v24
	s_add_i32 s0, s0, s1
	v_lshlrev_b16 v1, 8, v1
	s_ashr_i32 s1, s9, 31
	v_mul_f32_e32 v6, v6, v2
	v_lshlrev_b16 v24, 8, v24
	v_mul_f32_e32 v5, v5, v2
	v_or_b32_e32 v0, v0, v1
	s_and_b32 s2, s0, -4
	s_mul_hi_u32 s0, s9, s34
	v_or_b32_e32 v23, v23, v24
	s_delay_alu instid0(VALU_DEP_2) | instskip(SKIP_3) | instid1(VALU_DEP_1)
	v_dual_mul_f32 v25, v26, v2 :: v_dual_and_b32 v0, 0xffff, v0
	s_mul_i32 s1, s1, s34
	s_mul_i32 s3, s9, s34
	s_add_i32 s1, s0, s1
	v_cvt_i32_f32_e32 v25, v25
	s_add_u32 s0, s12, s3
	v_cvt_i32_f32_e32 v15, v15
	v_cvt_i32_f32_e32 v6, v6
	;; [unrolled: 1-line block ×3, first 2 shown]
	v_lshlrev_b16 v25, 8, v25
	s_addc_u32 s1, s13, s1
	s_mov_b32 s3, -1
	s_and_b32 s1, s1, 0xffff
	v_mul_f32_e32 v9, v9, v2
	v_or_b32_e32 v1, v14, v25
	v_and_b32_e32 v14, 0xffff, v23
	v_and_b32_e32 v15, 0xff, v15
	v_mul_f32_e32 v7, v7, v2
	v_lshlrev_b16 v6, 8, v6
	v_lshlrev_b32_e32 v22, 16, v1
	v_or_b32_e32 v1, v14, v21
	v_mul_f32_e32 v14, v20, v2
	v_mul_f32_e32 v12, v12, v2
	;; [unrolled: 1-line block ×3, first 2 shown]
	v_or_b32_e32 v0, v0, v22
	v_and_b32_e32 v5, 0xff, v5
	v_cvt_i32_f32_e32 v9, v9
	v_mul_f32_e32 v16, v16, v2
	v_mul_f32_e32 v8, v8, v2
	buffer_store_b64 v[0:1], v13, s[0:3], 0 offen
	v_cvt_i32_f32_e32 v1, v14
	v_mul_f32_e32 v14, v18, v2
	v_mul_f32_e32 v0, v19, v2
	;; [unrolled: 1-line block ×3, first 2 shown]
	v_or_b32_e32 v5, v5, v6
	v_dual_mul_f32 v10, v10, v2 :: v_dual_and_b32 v1, 0xff, v1
	v_mul_f32_e32 v2, v3, v2
	v_cvt_i32_f32_e32 v3, v7
	s_delay_alu instid0(VALU_DEP_4)
	v_and_b32_e32 v5, 0xffff, v5
	v_cvt_i32_f32_e32 v0, v0
	v_cvt_i32_f32_e32 v14, v14
	v_and_b32_e32 v9, 0xff, v9
	v_and_b32_e32 v3, 0xff, v3
	v_cvt_i32_f32_e32 v12, v12
	v_cvt_i32_f32_e32 v16, v16
	;; [unrolled: 1-line block ×5, first 2 shown]
	v_and_b32_e32 v12, 0xff, v12
	v_cvt_i32_f32_e32 v11, v11
	v_cvt_i32_f32_e32 v7, v8
	v_lshlrev_b16 v14, 8, v14
	v_lshlrev_b16 v16, 8, v16
	v_lshlrev_b16 v0, 8, v0
	v_lshlrev_b16 v11, 8, v11
	v_lshlrev_b16 v4, 8, v4
	v_and_b32_e32 v2, 0xff, v2
	v_lshlrev_b16 v8, 8, v10
	v_lshlrev_b16 v7, 8, v7
	v_or_b32_e32 v14, v17, v14
	v_or_b32_e32 v15, v15, v16
	;; [unrolled: 1-line block ×7, first 2 shown]
	v_and_b32_e32 v1, 0xffff, v14
	v_lshlrev_b32_e32 v14, 16, v15
	v_and_b32_e32 v0, 0xffff, v0
	v_lshlrev_b32_e32 v6, 16, v10
	v_lshlrev_b32_e32 v2, 16, v2
	v_and_b32_e32 v4, 0xffff, v4
	v_lshlrev_b32_e32 v7, 16, v3
	v_or_b32_e32 v1, v1, v14
	v_or_b32_e32 v0, v0, v6
	;; [unrolled: 1-line block ×3, first 2 shown]
	s_movk_i32 s4, 0x100
	v_or_b32_e32 v2, v4, v7
	;;#ASMSTART
	s_nop 0
	;;#ASMEND
	buffer_store_b64 v[0:1], v13, s[0:3], s4 offen
	s_movk_i32 s4, 0x200
	;;#ASMSTART
	s_nop 0
	;;#ASMEND
	buffer_store_b64 v[2:3], v13, s[0:3], s4 offen
	;;#ASMSTART
	s_nop 0
	;;#ASMEND
.LBB50_44:
	s_nop 0
	s_sendmsg sendmsg(MSG_DEALLOC_VGPRS)
	s_endpgm
.LBB50_45:
                                        ; implicit-def: $vgpr1_vgpr2
	s_branch .LBB50_32
	.section	.rodata,"a",@progbits
	.p2align	6, 0x0
	.amdhsa_kernel _ZN5aiter24add_rmsnorm_quant_kernelItaLi256ELi24ELb1ELb1ELb1ELi1EEEvPT0_PT_PfS4_S4_S4_diiiiiiib
		.amdhsa_group_segment_fixed_size 64
		.amdhsa_private_segment_fixed_size 0
		.amdhsa_kernarg_size 88
		.amdhsa_user_sgpr_count 15
		.amdhsa_user_sgpr_dispatch_ptr 0
		.amdhsa_user_sgpr_queue_ptr 0
		.amdhsa_user_sgpr_kernarg_segment_ptr 1
		.amdhsa_user_sgpr_dispatch_id 0
		.amdhsa_user_sgpr_private_segment_size 0
		.amdhsa_wavefront_size32 1
		.amdhsa_uses_dynamic_stack 0
		.amdhsa_enable_private_segment 0
		.amdhsa_system_sgpr_workgroup_id_x 1
		.amdhsa_system_sgpr_workgroup_id_y 0
		.amdhsa_system_sgpr_workgroup_id_z 0
		.amdhsa_system_sgpr_workgroup_info 0
		.amdhsa_system_vgpr_workitem_id 0
		.amdhsa_next_free_vgpr 61
		.amdhsa_next_free_sgpr 40
		.amdhsa_reserve_vcc 1
		.amdhsa_float_round_mode_32 0
		.amdhsa_float_round_mode_16_64 0
		.amdhsa_float_denorm_mode_32 3
		.amdhsa_float_denorm_mode_16_64 3
		.amdhsa_dx10_clamp 1
		.amdhsa_ieee_mode 1
		.amdhsa_fp16_overflow 0
		.amdhsa_workgroup_processor_mode 1
		.amdhsa_memory_ordered 1
		.amdhsa_forward_progress 0
		.amdhsa_shared_vgpr_count 0
		.amdhsa_exception_fp_ieee_invalid_op 0
		.amdhsa_exception_fp_denorm_src 0
		.amdhsa_exception_fp_ieee_div_zero 0
		.amdhsa_exception_fp_ieee_overflow 0
		.amdhsa_exception_fp_ieee_underflow 0
		.amdhsa_exception_fp_ieee_inexact 0
		.amdhsa_exception_int_div_zero 0
	.end_amdhsa_kernel
	.section	.text._ZN5aiter24add_rmsnorm_quant_kernelItaLi256ELi24ELb1ELb1ELb1ELi1EEEvPT0_PT_PfS4_S4_S4_diiiiiiib,"axG",@progbits,_ZN5aiter24add_rmsnorm_quant_kernelItaLi256ELi24ELb1ELb1ELb1ELi1EEEvPT0_PT_PfS4_S4_S4_diiiiiiib,comdat
.Lfunc_end50:
	.size	_ZN5aiter24add_rmsnorm_quant_kernelItaLi256ELi24ELb1ELb1ELb1ELi1EEEvPT0_PT_PfS4_S4_S4_diiiiiiib, .Lfunc_end50-_ZN5aiter24add_rmsnorm_quant_kernelItaLi256ELi24ELb1ELb1ELb1ELi1EEEvPT0_PT_PfS4_S4_S4_diiiiiiib
                                        ; -- End function
	.section	.AMDGPU.csdata,"",@progbits
; Kernel info:
; codeLenInByte = 5280
; NumSgprs: 42
; NumVgprs: 61
; ScratchSize: 0
; MemoryBound: 0
; FloatMode: 240
; IeeeMode: 1
; LDSByteSize: 64 bytes/workgroup (compile time only)
; SGPRBlocks: 5
; VGPRBlocks: 7
; NumSGPRsForWavesPerEU: 42
; NumVGPRsForWavesPerEU: 61
; Occupancy: 16
; WaveLimiterHint : 0
; COMPUTE_PGM_RSRC2:SCRATCH_EN: 0
; COMPUTE_PGM_RSRC2:USER_SGPR: 15
; COMPUTE_PGM_RSRC2:TRAP_HANDLER: 0
; COMPUTE_PGM_RSRC2:TGID_X_EN: 1
; COMPUTE_PGM_RSRC2:TGID_Y_EN: 0
; COMPUTE_PGM_RSRC2:TGID_Z_EN: 0
; COMPUTE_PGM_RSRC2:TIDIG_COMP_CNT: 0
	.section	.text._ZN5aiter24add_rmsnorm_quant_kernelIDF16_aLi256ELi24ELb1ELb1ELb0ELi1EEEvPT0_PT_PfS4_S4_S4_diiiiiiib,"axG",@progbits,_ZN5aiter24add_rmsnorm_quant_kernelIDF16_aLi256ELi24ELb1ELb1ELb0ELi1EEEvPT0_PT_PfS4_S4_S4_diiiiiiib,comdat
	.protected	_ZN5aiter24add_rmsnorm_quant_kernelIDF16_aLi256ELi24ELb1ELb1ELb0ELi1EEEvPT0_PT_PfS4_S4_S4_diiiiiiib ; -- Begin function _ZN5aiter24add_rmsnorm_quant_kernelIDF16_aLi256ELi24ELb1ELb1ELb0ELi1EEEvPT0_PT_PfS4_S4_S4_diiiiiiib
	.globl	_ZN5aiter24add_rmsnorm_quant_kernelIDF16_aLi256ELi24ELb1ELb1ELb0ELi1EEEvPT0_PT_PfS4_S4_S4_diiiiiiib
	.p2align	8
	.type	_ZN5aiter24add_rmsnorm_quant_kernelIDF16_aLi256ELi24ELb1ELb1ELb0ELi1EEEvPT0_PT_PfS4_S4_S4_diiiiiiib,@function
_ZN5aiter24add_rmsnorm_quant_kernelIDF16_aLi256ELi24ELb1ELb1ELb0ELi1EEEvPT0_PT_PfS4_S4_S4_diiiiiiib: ; @_ZN5aiter24add_rmsnorm_quant_kernelIDF16_aLi256ELi24ELb1ELb1ELb0ELi1EEEvPT0_PT_PfS4_S4_S4_diiiiiiib
; %bb.0:
	s_mov_b32 s2, s15
	s_load_b256 s[12:19], s[0:1], 0x38
	s_mov_b32 s3, 0
	s_waitcnt lgkmcnt(0)
	s_ashr_i32 s5, s12, 31
	s_mov_b32 s4, s12
	s_delay_alu instid0(SALU_CYCLE_1) | instskip(NEXT) | instid1(VALU_DEP_1)
	v_cmp_ge_i64_e64 s4, s[2:3], s[4:5]
	s_and_b32 vcc_lo, exec_lo, s4
	s_cbranch_vccnz .LBB51_44
; %bb.1:
	s_clause 0x1
	s_load_b256 s[4:11], s[0:1], 0x0
	s_load_b256 s[20:27], s[0:1], 0x20
	s_ashr_i32 s1, s14, 31
	s_waitcnt lgkmcnt(0)
	s_mul_hi_u32 s26, s14, s2
	s_mul_i32 s1, s1, s2
	s_mul_i32 s0, s14, s2
	s_add_i32 s1, s26, s1
	s_mul_hi_u32 s26, s15, s2
	s_lshl_b64 s[0:1], s[0:1], 1
	v_mul_u32_u24_e32 v13, 48, v0
	s_mul_i32 s14, s15, s2
	s_mov_b32 s31, -1
	s_delay_alu instid0(SALU_CYCLE_1)
	s_mov_b32 s39, s31
	s_add_u32 s28, s10, s0
	s_addc_u32 s0, s11, s1
	s_add_i32 s1, s13, 1
	s_ashr_i32 s10, s15, 31
	s_lshr_b32 s11, s1, 31
	s_mul_i32 s10, s10, s2
	s_add_i32 s1, s1, s11
	s_and_b32 s29, s0, 0xffff
	s_lshl_b32 s0, s1, 1
	s_add_i32 s15, s26, s10
	s_and_b32 s30, s0, -4
	s_lshl_b64 s[0:1], s[14:15], 1
	s_and_b32 s37, s23, 0xffff
	s_clause 0x2
	buffer_load_b128 v[15:18], v13, s[28:31], 0 offen
	buffer_load_b128 v[23:26], v13, s[28:31], 16 offen
	;; [unrolled: 1-line block ×3, first 2 shown]
	s_add_u32 s28, s20, s0
	s_addc_u32 s0, s21, s1
	s_mov_b32 s36, s22
	s_and_b32 s29, s0, 0xffff
	s_clause 0x2
	buffer_load_b128 v[19:22], v13, s[28:31], 0 offen
	buffer_load_b128 v[27:30], v13, s[28:31], 16 offen
	;; [unrolled: 1-line block ×3, first 2 shown]
	s_mov_b32 s38, s30
	s_clause 0x2
	buffer_load_b128 v[9:12], v13, s[36:39], 0 offen
	buffer_load_b128 v[5:8], v13, s[36:39], 16 offen
	;; [unrolled: 1-line block ×3, first 2 shown]
	s_ashr_i32 s0, s16, 31
	s_mul_hi_u32 s1, s16, s2
	s_mul_i32 s10, s0, s2
	s_mul_i32 s0, s16, s2
	s_add_i32 s1, s1, s10
	s_delay_alu instid0(SALU_CYCLE_1) | instskip(NEXT) | instid1(SALU_CYCLE_1)
	s_lshl_b64 s[0:1], s[0:1], 1
	s_add_u32 s28, s6, s0
	s_addc_u32 s0, s7, s1
	s_delay_alu instid0(SALU_CYCLE_1)
	s_and_b32 s29, s0, 0xffff
	s_waitcnt vmcnt(8)
	v_lshrrev_b32_e32 v14, 16, v15
	v_cvt_f32_f16_e32 v40, v15
	v_lshrrev_b32_e32 v41, 16, v16
	v_cvt_f32_f16_e32 v42, v17
	v_cvt_f32_f16_e32 v43, v18
	;; [unrolled: 1-line block ×3, first 2 shown]
	s_waitcnt vmcnt(5)
	v_lshrrev_b32_e32 v39, 16, v19
	v_cvt_f32_f16_e32 v44, v23
	v_lshrrev_b32_e32 v23, 16, v23
	s_delay_alu instid0(VALU_DEP_3) | instskip(SKIP_3) | instid1(VALU_DEP_4)
	v_cvt_f32_f16_e32 v15, v39
	v_cvt_f32_f16_e32 v39, v16
	;; [unrolled: 1-line block ×3, first 2 shown]
	v_lshrrev_b32_e32 v19, 16, v20
	v_add_f32_e32 v15, v14, v15
	v_lshrrev_b32_e32 v14, 16, v17
	s_delay_alu instid0(VALU_DEP_4)
	v_add_f32_e32 v16, v40, v16
	v_cvt_f32_f16_e32 v17, v20
	v_cvt_f32_f16_e32 v20, v41
	;; [unrolled: 1-line block ×4, first 2 shown]
	v_lshrrev_b32_e32 v21, 16, v21
	v_dual_mul_f32 v40, v15, v15 :: v_dual_and_b32 v51, 31, v0
	v_add_f32_e32 v17, v39, v17
	v_lshrrev_b32_e32 v39, 16, v18
	v_dual_add_f32 v18, v20, v19 :: v_dual_add_f32 v19, v42, v41
	v_cvt_f32_f16_e32 v20, v21
	v_cvt_f32_f16_e32 v21, v22
	v_lshrrev_b32_e32 v22, 16, v22
	v_fmac_f32_e32 v40, v16, v16
	v_cvt_f32_f16_e32 v14, v14
	v_cvt_f32_f16_e32 v39, v39
	v_lshrrev_b32_e32 v41, 16, v24
	v_cvt_f32_f16_e32 v22, v22
	v_add_f32_e32 v21, v43, v21
	v_cvt_f32_f16_e32 v42, v23
	v_lshrrev_b32_e32 v43, 16, v25
	v_cvt_f16_f32_e32 v53, v18
	v_add_f32_e32 v22, v39, v22
	v_cvt_f32_f16_e32 v39, v25
	v_add_f32_e32 v20, v14, v20
	v_cvt_f32_f16_e32 v14, v24
	s_waitcnt vmcnt(4)
	v_cvt_f32_f16_e32 v24, v27
	v_fmac_f32_e32 v40, v17, v17
	v_lshrrev_b32_e32 v27, 16, v27
	v_cvt_f32_f16_e32 v25, v28
	v_lshrrev_b32_e32 v28, 16, v28
	s_delay_alu instid0(VALU_DEP_4) | instskip(NEXT) | instid1(VALU_DEP_4)
	v_dual_add_f32 v23, v44, v24 :: v_dual_fmac_f32 v40, v18, v18
	v_cvt_f32_f16_e32 v27, v27
	s_delay_alu instid0(VALU_DEP_4) | instskip(NEXT) | instid1(VALU_DEP_4)
	v_add_f32_e32 v25, v14, v25
	v_cvt_f32_f16_e32 v28, v28
	v_lshrrev_b32_e32 v14, 16, v26
	v_fmac_f32_e32 v40, v19, v19
	v_add_f32_e32 v24, v42, v27
	v_cvt_f32_f16_e32 v27, v41
	v_cvt_f32_f16_e32 v41, v29
	v_lshrrev_b32_e32 v29, 16, v29
	v_cvt_f32_f16_e32 v42, v26
	v_cvt_f32_f16_e32 v44, v31
	v_add_f32_e32 v26, v27, v28
	v_cvt_f32_f16_e32 v28, v43
	v_cvt_f32_f16_e32 v29, v29
	v_add_f32_e32 v27, v39, v41
	v_cvt_f32_f16_e32 v39, v30
	v_lshrrev_b32_e32 v30, 16, v30
	v_fmac_f32_e32 v40, v20, v20
	v_lshrrev_b32_e32 v31, 16, v31
	s_delay_alu instid0(VALU_DEP_4)
	v_dual_add_f32 v28, v28, v29 :: v_dual_add_f32 v29, v42, v39
	v_cvt_f32_f16_e32 v41, v32
	v_cvt_f32_f16_e32 v14, v14
	;; [unrolled: 1-line block ×3, first 2 shown]
	v_lshrrev_b32_e32 v39, 16, v32
	s_waitcnt vmcnt(3)
	v_cvt_f32_f16_e32 v32, v35
	v_lshrrev_b32_e32 v35, 16, v35
	v_cvt_f32_f16_e32 v42, v31
	v_add_f32_e32 v30, v14, v30
	v_cvt_f32_f16_e32 v14, v33
	v_lshrrev_b32_e32 v43, 16, v33
	v_cvt_f32_f16_e32 v35, v35
	v_cvt_f32_f16_e32 v33, v36
	v_lshrrev_b32_e32 v36, 16, v36
	v_add_f32_e32 v31, v44, v32
	v_cvt_f16_f32_e32 v55, v20
	v_add_f32_e32 v32, v42, v35
	v_cvt_f32_f16_e32 v35, v39
	v_cvt_f32_f16_e32 v36, v36
	v_add_f32_e32 v33, v41, v33
	v_cvt_f32_f16_e32 v41, v37
	v_lshrrev_b32_e32 v37, 16, v37
	v_cvt_f32_f16_e32 v42, v34
	v_lshrrev_b32_e32 v39, 16, v34
	v_add_f32_e32 v34, v35, v36
	v_cvt_f32_f16_e32 v36, v43
	v_cvt_f32_f16_e32 v37, v37
	v_add_f32_e32 v35, v14, v41
	v_cvt_f32_f16_e32 v14, v38
	v_fmac_f32_e32 v40, v21, v21
	v_lshrrev_b32_e32 v43, 16, v38
	v_add_f32_e32 v36, v36, v37
	v_cvt_f32_f16_e32 v38, v39
	v_add_f32_e32 v37, v42, v14
	v_fmac_f32_e32 v40, v22, v22
	v_cvt_f32_f16_e32 v39, v43
	v_cvt_f16_f32_e32 v41, v19
	v_cvt_f16_f32_e32 v14, v16
	;; [unrolled: 1-line block ×3, first 2 shown]
	v_fmac_f32_e32 v40, v23, v23
	v_add_f32_e32 v38, v38, v39
	v_cvt_f16_f32_e32 v39, v15
	v_pack_b32_f16 v41, v41, v55
	v_cvt_f16_f32_e32 v42, v21
	v_fmac_f32_e32 v40, v24, v24
	v_cvt_f16_f32_e32 v56, v22
	v_pack_b32_f16 v39, v14, v39
	v_cvt_f16_f32_e32 v47, v23
	v_cvt_f16_f32_e32 v44, v25
	v_fmac_f32_e32 v40, v25, v25
	v_cvt_f16_f32_e32 v45, v27
	v_cvt_f16_f32_e32 v46, v29
	v_cvt_f16_f32_e32 v52, v31
	v_cvt_f16_f32_e32 v48, v33
	v_fmac_f32_e32 v40, v26, v26
	v_cvt_f16_f32_e32 v49, v35
	v_cvt_f16_f32_e32 v50, v37
	;; [unrolled: 5-line block ×3, first 2 shown]
	v_cvt_f16_f32_e32 v63, v36
	v_cvt_f16_f32_e32 v64, v38
	v_fmac_f32_e32 v40, v28, v28
	v_pack_b32_f16 v42, v42, v56
	v_pack_b32_f16 v46, v46, v59
	;; [unrolled: 1-line block ×4, first 2 shown]
	v_fmac_f32_e32 v40, v29, v29
	v_pack_b32_f16 v49, v49, v63
	v_pack_b32_f16 v48, v48, v61
	v_cmp_eq_u32_e64 s0, 31, v51
	s_delay_alu instid0(VALU_DEP_4) | instskip(NEXT) | instid1(VALU_DEP_1)
	v_fmac_f32_e32 v40, v30, v30
	v_fmac_f32_e32 v40, v31, v31
	s_delay_alu instid0(VALU_DEP_1) | instskip(NEXT) | instid1(VALU_DEP_1)
	v_fmac_f32_e32 v40, v32, v32
	v_fmac_f32_e32 v40, v33, v33
	s_delay_alu instid0(VALU_DEP_1) | instskip(NEXT) | instid1(VALU_DEP_1)
	;; [unrolled: 3-line block ×4, first 2 shown]
	v_fmac_f32_e32 v40, v38, v38
	v_mov_b32_dpp v54, v40 quad_perm:[1,0,3,2] row_mask:0xf bank_mask:0xf
	s_delay_alu instid0(VALU_DEP_1) | instskip(SKIP_1) | instid1(VALU_DEP_2)
	v_add_f32_e32 v40, v40, v54
	v_cvt_f16_f32_e32 v54, v28
	v_mov_b32_dpp v62, v40 quad_perm:[2,3,0,1] row_mask:0xf bank_mask:0xf
	s_delay_alu instid0(VALU_DEP_2) | instskip(NEXT) | instid1(VALU_DEP_2)
	v_pack_b32_f16 v45, v45, v54
	v_add_f32_e32 v55, v40, v62
	v_cvt_f16_f32_e32 v60, v32
	v_pack_b32_f16 v40, v43, v53
	v_pack_b32_f16 v43, v47, v57
	s_delay_alu instid0(VALU_DEP_4) | instskip(NEXT) | instid1(VALU_DEP_4)
	v_mov_b32_dpp v14, v55 row_xmask:7 row_mask:0xf bank_mask:0xf
	v_pack_b32_f16 v47, v52, v60
	buffer_store_b128 v[39:42], v13, s[28:31], 0 offen
	;;#ASMSTART
	s_nop 0
	;;#ASMEND
	buffer_store_b128 v[43:46], v13, s[28:31], 16 offen
	v_add_f32_e32 v14, v55, v14
	;;#ASMSTART
	s_nop 0
	;;#ASMEND
	buffer_store_b128 v[47:50], v13, s[28:31], 32 offen
	;;#ASMSTART
	s_nop 0
	;;#ASMEND
	v_mov_b32_dpp v39, v14 row_xmask:15 row_mask:0xf bank_mask:0xf
	s_and_saveexec_b32 s1, s0
	s_cbranch_execz .LBB51_3
; %bb.2:
	s_delay_alu instid0(VALU_DEP_1) | instskip(SKIP_2) | instid1(VALU_DEP_1)
	v_add_f32_e32 v13, v14, v39
	v_lshrrev_b32_e32 v14, 3, v0
	s_mov_b32 s6, 0x76543210
	v_and_b32_e32 v14, 0x7c, v14
	s_delay_alu instid0(VALU_DEP_3) | instskip(NEXT) | instid1(VALU_DEP_1)
	v_permlanex16_b32 v39, v13, s6, 0xfedcba98 op_sel:[1,1]
	v_add_f32_e32 v13, v13, v39
	ds_store_b32 v14, v13 offset:32
.LBB51_3:
	s_or_b32 exec_lo, exec_lo, s1
	v_and_b32_e32 v13, 7, v0
	s_waitcnt vmcnt(0) lgkmcnt(0)
	s_waitcnt_vscnt null, 0x0
	s_barrier
	buffer_gl0_inv
	v_cvt_f32_i32_e32 v40, s13
	v_lshlrev_b32_e32 v14, 2, v13
	v_cvt_f32_f16_e32 v48, v8
	v_lshrrev_b32_e32 v8, 16, v8
	v_cvt_f32_f16_e32 v51, v4
	v_lshrrev_b32_e32 v4, 16, v4
	ds_load_b32 v13, v14 offset:32
	v_cvt_f32_f16_e32 v45, v6
	v_cvt_f32_f16_e32 v8, v8
	v_lshrrev_b32_e32 v6, 16, v6
	v_cvt_f32_f16_e32 v46, v7
	v_cvt_f32_f16_e32 v49, v2
	v_lshrrev_b32_e32 v2, 16, v2
	v_cvt_f32_f16_e32 v4, v4
	v_lshrrev_b32_e32 v7, 16, v7
	v_cvt_f32_f16_e32 v50, v3
	v_cvt_f32_f16_e32 v6, v6
	v_cvt_f32_f16_e32 v2, v2
	v_lshrrev_b32_e32 v3, 16, v3
	v_cvt_f32_f16_e32 v7, v7
	s_cmp_lg_u32 s18, 0
	v_mov_b32_e32 v52, 0x2edbe6ff
	s_delay_alu instid0(VALU_DEP_3) | instskip(SKIP_2) | instid1(VALU_DEP_1)
	v_cvt_f32_f16_e32 v3, v3
	s_waitcnt lgkmcnt(0)
	v_mov_b32_dpp v39, v13 quad_perm:[1,0,3,2] row_mask:0xf bank_mask:0xf
	v_add_f32_e32 v13, v13, v39
	s_delay_alu instid0(VALU_DEP_1) | instskip(NEXT) | instid1(VALU_DEP_1)
	v_mov_b32_dpp v39, v13 quad_perm:[2,3,0,1] row_mask:0xf bank_mask:0xf
	v_add_f32_e32 v13, v13, v39
	s_delay_alu instid0(VALU_DEP_1) | instskip(NEXT) | instid1(VALU_DEP_1)
	v_mov_b32_dpp v39, v13 row_xmask:7 row_mask:0xf bank_mask:0xf
	v_add_f32_e32 v13, v13, v39
	s_delay_alu instid0(VALU_DEP_1) | instskip(SKIP_1) | instid1(VALU_DEP_2)
	v_div_scale_f32 v39, null, v40, v40, v13
	v_div_scale_f32 v43, vcc_lo, v13, v40, v13
	v_rcp_f32_e32 v41, v39
	s_waitcnt_depctr 0xfff
	v_fma_f32 v42, -v39, v41, 1.0
	s_delay_alu instid0(VALU_DEP_1) | instskip(NEXT) | instid1(VALU_DEP_1)
	v_fmac_f32_e32 v41, v42, v41
	v_mul_f32_e32 v42, v43, v41
	s_delay_alu instid0(VALU_DEP_1) | instskip(NEXT) | instid1(VALU_DEP_1)
	v_fma_f32 v44, -v39, v42, v43
	v_fmac_f32_e32 v42, v44, v41
	v_cvt_f32_f16_e32 v44, v5
	v_lshrrev_b32_e32 v5, 16, v5
	s_delay_alu instid0(VALU_DEP_3) | instskip(SKIP_2) | instid1(VALU_DEP_4)
	v_fma_f32 v39, -v39, v42, v43
	v_cvt_f32_f16_e32 v43, v12
	v_lshrrev_b32_e32 v12, 16, v12
	v_cvt_f32_f16_e32 v5, v5
	s_delay_alu instid0(VALU_DEP_4)
	v_div_fmas_f32 v39, v39, v41, v42
	v_cvt_f32_f16_e32 v41, v10
	v_cvt_f32_f16_e32 v42, v11
	v_lshrrev_b32_e32 v11, 16, v11
	v_cvt_f32_f16_e32 v12, v12
	v_div_fixup_f32 v13, v39, v40, v13
	v_lshrrev_b32_e32 v10, 16, v10
	s_delay_alu instid0(VALU_DEP_4) | instskip(NEXT) | instid1(VALU_DEP_3)
	v_cvt_f32_f16_e32 v11, v11
	v_cvt_f64_f32_e32 v[39:40], v13
	s_delay_alu instid0(VALU_DEP_3) | instskip(SKIP_1) | instid1(VALU_DEP_3)
	v_cvt_f32_f16_e32 v10, v10
	v_mul_u32_u24_e32 v13, 24, v0
	v_add_f64 v[39:40], v[39:40], s[24:25]
	s_delay_alu instid0(VALU_DEP_1) | instskip(SKIP_2) | instid1(VALU_DEP_1)
	v_cvt_f32_f64_e32 v39, v[39:40]
	v_cvt_f32_f16_e32 v40, v9
	v_lshrrev_b32_e32 v9, 16, v9
	v_cvt_f32_f16_e32 v9, v9
	s_delay_alu instid0(VALU_DEP_4) | instskip(SKIP_1) | instid1(VALU_DEP_2)
	v_mul_f32_e32 v47, 0x4b800000, v39
	v_cmp_gt_f32_e32 vcc_lo, 0x800000, v39
	v_cndmask_b32_e32 v39, v39, v47, vcc_lo
	v_cvt_f32_f16_e32 v47, v1
	v_lshrrev_b32_e32 v1, 16, v1
	s_delay_alu instid0(VALU_DEP_3) | instskip(NEXT) | instid1(VALU_DEP_1)
	v_rsq_f32_e32 v39, v39
	v_cvt_f32_f16_e32 v1, v1
	s_waitcnt_depctr 0xfff
	v_mul_f32_e32 v53, 0x45800000, v39
	s_delay_alu instid0(VALU_DEP_1) | instskip(NEXT) | instid1(VALU_DEP_1)
	v_cndmask_b32_e32 v39, v39, v53, vcc_lo
	v_mul_f32_e32 v20, v20, v39
	v_mul_f32_e32 v58, v26, v39
	s_delay_alu instid0(VALU_DEP_2)
	v_mul_f32_e32 v26, v20, v11
	v_mul_f32_e32 v16, v16, v39
	;; [unrolled: 1-line block ×8, first 2 shown]
	v_dual_mul_f32 v57, v25, v39 :: v_dual_mul_f32 v28, v16, v40
	v_mul_f32_e32 v16, v30, v8
	v_dual_mul_f32 v54, v22, v39 :: v_dual_mul_f32 v25, v19, v42
	v_dual_mul_f32 v56, v24, v39 :: v_dual_mul_f32 v11, v58, v6
	s_delay_alu instid0(VALU_DEP_3) | instskip(SKIP_1) | instid1(VALU_DEP_4)
	v_dual_mul_f32 v35, v35, v39 :: v_dual_and_b32 v42, 0x7fffffff, v16
	v_mul_f32_e32 v34, v34, v39
	v_mul_f32_e32 v24, v54, v12
	v_dual_mul_f32 v4, v38, v4 :: v_dual_mul_f32 v15, v15, v39
	v_mul_f32_e32 v12, v57, v45
	v_mul_f32_e32 v18, v18, v39
	;; [unrolled: 1-line block ×9, first 2 shown]
	v_dual_mul_f32 v55, v23, v39 :: v_dual_mul_f32 v8, v34, v2
	v_mul_f32_e32 v17, v17, v39
	v_dual_mul_f32 v31, v31, v39 :: v_dual_and_b32 v34, 0x7fffffff, v24
	s_delay_alu instid0(VALU_DEP_3) | instskip(SKIP_1) | instid1(VALU_DEP_4)
	v_mul_f32_e32 v20, v55, v44
	v_and_b32_e32 v30, 0x7fffffff, v21
	v_dual_mul_f32 v22, v17, v41 :: v_dual_mul_f32 v17, v59, v46
	v_mul_f32_e32 v18, v60, v7
	v_mul_f32_e32 v36, v36, v39
	;; [unrolled: 1-line block ×3, first 2 shown]
	v_and_b32_e32 v31, 0x7fffffff, v25
	v_and_b32_e32 v2, 0x7fffffff, v27
	v_dual_mul_f32 v7, v33, v49 :: v_dual_and_b32 v40, 0x7fffffff, v18
	v_dual_mul_f32 v10, v32, v1 :: v_dual_mul_f32 v23, v53, v43
	v_and_b32_e32 v46, 0x7fffffff, v8
	v_and_b32_e32 v1, 0x7fffffff, v28
	s_delay_alu instid0(VALU_DEP_3)
	v_dual_mul_f32 v37, v37, v39 :: v_dual_and_b32 v44, 0x7fffffff, v10
	;;#ASMSTART
	v_max3_f32 v1, v52, v1, v2

	;;#ASMEND
	v_dual_mul_f32 v15, v29, v48 :: v_dual_and_b32 v32, 0x7fffffff, v26
	v_and_b32_e32 v29, 0x7fffffff, v22
	;;#ASMSTART
	v_max3_f32 v1, v1, v29, v30

	;;#ASMEND
	;;#ASMSTART
	v_max3_f32 v1, v1, v31, v32

	;;#ASMEND
	v_dual_mul_f32 v6, v36, v3 :: v_dual_and_b32 v35, 0x7fffffff, v20
	v_and_b32_e32 v33, 0x7fffffff, v23
	;;#ASMSTART
	v_max3_f32 v1, v1, v33, v34

	;;#ASMEND
	v_and_b32_e32 v36, 0x7fffffff, v19
	;;#ASMSTART
	v_max3_f32 v1, v1, v35, v36

	;;#ASMEND
	v_dual_mul_f32 v3, v37, v51 :: v_dual_and_b32 v50, 0x7fffffff, v4
	v_and_b32_e32 v37, 0x7fffffff, v12
	v_and_b32_e32 v38, 0x7fffffff, v11
	;;#ASMSTART
	v_max3_f32 v1, v1, v37, v38

	;;#ASMEND
	v_and_b32_e32 v39, 0x7fffffff, v17
	;;#ASMSTART
	v_max3_f32 v1, v1, v39, v40

	;;#ASMEND
	;; [unrolled: 5-line block ×3, first 2 shown]
	v_and_b32_e32 v48, 0x7fffffff, v6
	v_and_b32_e32 v43, 0x7fffffff, v9
	;;#ASMSTART
	v_max3_f32 v1, v1, v43, v44

	;;#ASMEND
	v_and_b32_e32 v45, 0x7fffffff, v7
	;;#ASMSTART
	v_max3_f32 v1, v1, v45, v46

	;;#ASMEND
	v_and_b32_e32 v47, 0x7fffffff, v5
	v_and_b32_e32 v49, 0x7fffffff, v3
	;;#ASMSTART
	v_max3_f32 v1, v1, v47, v48

	;;#ASMEND
	;;#ASMSTART
	v_max3_f32 v29, v1, v49, v50

	;;#ASMEND
	s_cbranch_scc0 .LBB51_10
; %bb.4:
	s_mul_hi_i32 s1, s18, 0x2aaaaaab
	s_delay_alu instid0(SALU_CYCLE_1) | instskip(SKIP_1) | instid1(SALU_CYCLE_1)
	s_lshr_b32 s6, s1, 31
	s_ashr_i32 s1, s1, 2
	s_add_i32 s1, s1, s6
	s_delay_alu instid0(SALU_CYCLE_1)
	s_cmp_lt_i32 s1, 8
	s_cbranch_scc1 .LBB51_11
; %bb.5:
	s_cmp_lt_i32 s1, 16
	s_cbranch_scc1 .LBB51_12
; %bb.6:
	;; [unrolled: 3-line block ×3, first 2 shown]
	v_mov_b32_e32 v1, v29
	s_cmp_eq_u32 s1, 32
	s_cbranch_scc0 .LBB51_9
; %bb.8:
	s_delay_alu instid0(VALU_DEP_1) | instskip(SKIP_1) | instid1(VALU_DEP_1)
	v_mov_b32_dpp v1, v29 quad_perm:[1,0,3,2] row_mask:0xf bank_mask:0xf
	s_mov_b32 s6, 0x76543210
	v_cmp_gt_f32_e32 vcc_lo, v29, v1
	v_cndmask_b32_e32 v1, v1, v29, vcc_lo
	s_delay_alu instid0(VALU_DEP_1) | instskip(NEXT) | instid1(VALU_DEP_1)
	v_mov_b32_dpp v2, v1 quad_perm:[2,3,0,1] row_mask:0xf bank_mask:0xf
	v_cmp_gt_f32_e32 vcc_lo, v1, v2
	v_cndmask_b32_e32 v1, v2, v1, vcc_lo
	s_delay_alu instid0(VALU_DEP_1) | instskip(NEXT) | instid1(VALU_DEP_1)
	v_mov_b32_dpp v2, v1 row_xmask:7 row_mask:0xf bank_mask:0xf
	v_cmp_gt_f32_e32 vcc_lo, v1, v2
	v_cndmask_b32_e32 v1, v2, v1, vcc_lo
	s_delay_alu instid0(VALU_DEP_1) | instskip(NEXT) | instid1(VALU_DEP_1)
	v_mov_b32_dpp v2, v1 row_xmask:15 row_mask:0xf bank_mask:0xf
	v_cmp_gt_f32_e32 vcc_lo, v1, v2
	v_cndmask_b32_e32 v1, v2, v1, vcc_lo
	s_delay_alu instid0(VALU_DEP_1) | instskip(NEXT) | instid1(VALU_DEP_1)
	v_permlanex16_b32 v2, v1, s6, 0xfedcba98 op_sel:[1,1]
	v_cmp_gt_f32_e32 vcc_lo, v1, v2
	v_cndmask_b32_e32 v1, v2, v1, vcc_lo
.LBB51_9:
	s_mov_b32 s6, 0
	s_branch .LBB51_14
.LBB51_10:
	s_mov_b32 s1, 0
                                        ; implicit-def: $vgpr30
                                        ; implicit-def: $vgpr1_vgpr2
	s_and_b32 vcc_lo, exec_lo, s31
	s_cbranch_vccnz .LBB51_38
	s_branch .LBB51_41
.LBB51_11:
                                        ; implicit-def: $vgpr1
	s_branch .LBB51_21
.LBB51_12:
                                        ; implicit-def: $vgpr1
	s_branch .LBB51_18
.LBB51_13:
	s_mov_b32 s6, -1
                                        ; implicit-def: $vgpr1
.LBB51_14:
	s_delay_alu instid0(SALU_CYCLE_1)
	s_and_not1_b32 vcc_lo, exec_lo, s6
	s_cbranch_vccnz .LBB51_17
; %bb.15:
	v_mov_b32_e32 v1, v29
	s_cmp_eq_u32 s1, 16
	s_cbranch_scc0 .LBB51_17
; %bb.16:
	s_delay_alu instid0(VALU_DEP_1) | instskip(NEXT) | instid1(VALU_DEP_1)
	v_mov_b32_dpp v1, v29 quad_perm:[1,0,3,2] row_mask:0xf bank_mask:0xf
	v_cmp_gt_f32_e32 vcc_lo, v29, v1
	v_cndmask_b32_e32 v1, v1, v29, vcc_lo
	s_delay_alu instid0(VALU_DEP_1) | instskip(NEXT) | instid1(VALU_DEP_1)
	v_mov_b32_dpp v2, v1 quad_perm:[2,3,0,1] row_mask:0xf bank_mask:0xf
	v_cmp_gt_f32_e32 vcc_lo, v1, v2
	v_cndmask_b32_e32 v1, v2, v1, vcc_lo
	s_delay_alu instid0(VALU_DEP_1) | instskip(NEXT) | instid1(VALU_DEP_1)
	v_mov_b32_dpp v2, v1 row_half_mirror row_mask:0xf bank_mask:0xf
	v_cmp_gt_f32_e32 vcc_lo, v1, v2
	v_cndmask_b32_e32 v1, v2, v1, vcc_lo
	s_delay_alu instid0(VALU_DEP_1) | instskip(NEXT) | instid1(VALU_DEP_1)
	v_mov_b32_dpp v2, v1 row_mirror row_mask:0xf bank_mask:0xf
	v_cmp_gt_f32_e32 vcc_lo, v1, v2
	v_cndmask_b32_e32 v1, v2, v1, vcc_lo
.LBB51_17:
	s_cbranch_execnz .LBB51_20
.LBB51_18:
	v_mov_b32_e32 v1, v29
	s_cmp_eq_u32 s1, 8
	s_cbranch_scc0 .LBB51_20
; %bb.19:
	s_delay_alu instid0(VALU_DEP_1) | instskip(NEXT) | instid1(VALU_DEP_1)
	v_mov_b32_dpp v1, v29 quad_perm:[1,0,3,2] row_mask:0xf bank_mask:0xf
	v_cmp_gt_f32_e32 vcc_lo, v29, v1
	v_cndmask_b32_e32 v1, v1, v29, vcc_lo
	s_delay_alu instid0(VALU_DEP_1) | instskip(NEXT) | instid1(VALU_DEP_1)
	v_mov_b32_dpp v2, v1 quad_perm:[2,3,0,1] row_mask:0xf bank_mask:0xf
	v_cmp_gt_f32_e32 vcc_lo, v1, v2
	v_cndmask_b32_e32 v1, v2, v1, vcc_lo
	s_delay_alu instid0(VALU_DEP_1) | instskip(NEXT) | instid1(VALU_DEP_1)
	v_mov_b32_dpp v2, v1 row_half_mirror row_mask:0xf bank_mask:0xf
	v_cmp_gt_f32_e32 vcc_lo, v1, v2
	v_cndmask_b32_e32 v1, v2, v1, vcc_lo
.LBB51_20:
	s_cbranch_execnz .LBB51_28
.LBB51_21:
	s_cmp_lt_i32 s1, 4
	s_cbranch_scc1 .LBB51_24
; %bb.22:
	v_mov_b32_e32 v1, v29
	s_cmp_eq_u32 s1, 4
	s_cbranch_scc0 .LBB51_25
; %bb.23:
	s_delay_alu instid0(VALU_DEP_1) | instskip(NEXT) | instid1(VALU_DEP_1)
	v_mov_b32_dpp v1, v29 quad_perm:[1,0,3,2] row_mask:0xf bank_mask:0xf
	v_cmp_gt_f32_e32 vcc_lo, v29, v1
	v_cndmask_b32_e32 v1, v1, v29, vcc_lo
	s_delay_alu instid0(VALU_DEP_1) | instskip(NEXT) | instid1(VALU_DEP_1)
	v_mov_b32_dpp v2, v1 quad_perm:[2,3,0,1] row_mask:0xf bank_mask:0xf
	v_cmp_gt_f32_e32 vcc_lo, v1, v2
	v_cndmask_b32_e32 v1, v2, v1, vcc_lo
	s_cbranch_execz .LBB51_26
	s_branch .LBB51_28
.LBB51_24:
                                        ; implicit-def: $vgpr1
	s_branch .LBB51_26
.LBB51_25:
	s_cbranch_execnz .LBB51_28
.LBB51_26:
	v_mov_b32_e32 v1, v29
	s_cmp_lg_u32 s1, 2
	s_cbranch_scc1 .LBB51_28
; %bb.27:
	s_delay_alu instid0(VALU_DEP_1) | instskip(NEXT) | instid1(VALU_DEP_1)
	v_mov_b32_dpp v1, v29 quad_perm:[1,0,3,2] row_mask:0xf bank_mask:0xf
	v_cmp_gt_f32_e32 vcc_lo, v29, v1
	v_cndmask_b32_e32 v1, v1, v29, vcc_lo
.LBB51_28:
	v_cvt_f32_u32_e32 v2, s1
	s_sub_i32 s6, 0, s1
	s_mov_b32 s31, 0
	s_delay_alu instid0(VALU_DEP_1) | instskip(SKIP_2) | instid1(VALU_DEP_1)
	v_rcp_iflag_f32_e32 v2, v2
	s_waitcnt_depctr 0xfff
	v_mul_f32_e32 v2, 0x4f7ffffe, v2
	v_cvt_u32_f32_e32 v2, v2
	s_delay_alu instid0(VALU_DEP_1) | instskip(NEXT) | instid1(VALU_DEP_1)
	v_mul_lo_u32 v30, s6, v2
	v_mul_hi_u32 v30, v2, v30
	s_delay_alu instid0(VALU_DEP_1) | instskip(NEXT) | instid1(VALU_DEP_1)
	v_add_nc_u32_e32 v2, v2, v30
	v_mul_hi_u32 v2, v0, v2
	s_delay_alu instid0(VALU_DEP_1) | instskip(NEXT) | instid1(VALU_DEP_1)
	v_mul_lo_u32 v30, v2, s1
	v_sub_nc_u32_e32 v30, v0, v30
	s_delay_alu instid0(VALU_DEP_1) | instskip(SKIP_1) | instid1(VALU_DEP_2)
	v_subrev_nc_u32_e32 v32, s1, v30
	v_cmp_le_u32_e32 vcc_lo, s1, v30
	v_dual_cndmask_b32 v30, v30, v32 :: v_dual_add_nc_u32 v31, 1, v2
	s_delay_alu instid0(VALU_DEP_1) | instskip(NEXT) | instid1(VALU_DEP_2)
	v_cndmask_b32_e32 v2, v2, v31, vcc_lo
	v_cmp_le_u32_e32 vcc_lo, s1, v30
	s_delay_alu instid0(VALU_DEP_2) | instskip(NEXT) | instid1(VALU_DEP_1)
	v_dual_mul_f32 v30, 0x3c010204, v1 :: v_dual_add_nc_u32 v31, 1, v2
	v_cndmask_b32_e32 v31, v2, v31, vcc_lo
	v_cmp_gt_u32_e32 vcc_lo, s13, v13
	s_delay_alu instid0(VALU_DEP_2) | instskip(NEXT) | instid1(VALU_DEP_1)
	v_mul_lo_u32 v2, v31, s1
	v_sub_nc_u32_e32 v2, v0, v2
	s_delay_alu instid0(VALU_DEP_1) | instskip(NEXT) | instid1(VALU_DEP_1)
	v_cmp_eq_u32_e64 s1, 0, v2
                                        ; implicit-def: $vgpr1_vgpr2
	s_and_b32 s6, s1, vcc_lo
	s_mov_b32 s1, 0
	s_and_saveexec_b32 s7, s6
	s_delay_alu instid0(SALU_CYCLE_1)
	s_xor_b32 s16, exec_lo, s7
	s_cbranch_execz .LBB51_37
; %bb.29:
	s_bitcmp0_b32 s19, 0
	s_mov_b32 s10, 0
	s_cbranch_scc0 .LBB51_34
; %bb.30:
	s_ashr_i32 s1, s13, 31
	s_mul_hi_u32 s7, s13, s2
	s_mul_i32 s1, s1, s2
	s_mul_i32 s6, s13, s2
	s_add_i32 s7, s7, s1
	s_ashr_i32 s19, s18, 31
	s_delay_alu instid0(SALU_CYCLE_1) | instskip(NEXT) | instid1(SALU_CYCLE_1)
	s_or_b64 s[14:15], s[6:7], s[18:19]
	s_mov_b32 s11, s15
	s_delay_alu instid0(SALU_CYCLE_1)
	s_cmp_lg_u64 s[10:11], 0
	s_cbranch_scc0 .LBB51_45
; %bb.31:
	s_add_u32 s14, s18, s19
	s_mov_b32 s10, s19
	s_mov_b32 s11, s19
	s_addc_u32 s15, s19, s19
	s_delay_alu instid0(SALU_CYCLE_1) | instskip(NEXT) | instid1(SALU_CYCLE_1)
	s_xor_b64 s[14:15], s[14:15], s[10:11]
	v_cvt_f32_u32_e32 v1, s14
	v_cvt_f32_u32_e32 v2, s15
	s_sub_u32 s20, 0, s14
	s_subb_u32 s21, 0, s15
	s_delay_alu instid0(VALU_DEP_1) | instskip(NEXT) | instid1(VALU_DEP_1)
	v_fmamk_f32 v1, v2, 0x4f800000, v1
	v_rcp_f32_e32 v1, v1
	s_waitcnt_depctr 0xfff
	v_mul_f32_e32 v1, 0x5f7ffffc, v1
	s_delay_alu instid0(VALU_DEP_1) | instskip(NEXT) | instid1(VALU_DEP_1)
	v_mul_f32_e32 v2, 0x2f800000, v1
	v_trunc_f32_e32 v2, v2
	s_delay_alu instid0(VALU_DEP_1) | instskip(SKIP_1) | instid1(VALU_DEP_2)
	v_fmamk_f32 v1, v2, 0xcf800000, v1
	v_cvt_u32_f32_e32 v2, v2
	v_cvt_u32_f32_e32 v1, v1
	s_delay_alu instid0(VALU_DEP_2) | instskip(NEXT) | instid1(VALU_DEP_2)
	v_readfirstlane_b32 s1, v2
	v_readfirstlane_b32 s19, v1
	s_delay_alu instid0(VALU_DEP_2) | instskip(NEXT) | instid1(VALU_DEP_1)
	s_mul_i32 s22, s20, s1
	s_mul_hi_u32 s24, s20, s19
	s_mul_i32 s23, s21, s19
	s_add_i32 s22, s24, s22
	s_mul_i32 s25, s20, s19
	s_add_i32 s22, s22, s23
	s_mul_hi_u32 s24, s19, s25
	s_mul_hi_u32 s26, s1, s25
	s_mul_i32 s23, s1, s25
	s_mul_hi_u32 s25, s19, s22
	s_mul_i32 s19, s19, s22
	s_mul_hi_u32 s27, s1, s22
	s_add_u32 s19, s24, s19
	s_addc_u32 s24, 0, s25
	s_add_u32 s19, s19, s23
	s_mul_i32 s22, s1, s22
	s_addc_u32 s19, s24, s26
	s_addc_u32 s23, s27, 0
	s_add_u32 s19, s19, s22
	s_addc_u32 s22, 0, s23
	v_add_co_u32 v1, s19, v1, s19
	s_delay_alu instid0(VALU_DEP_1) | instskip(SKIP_1) | instid1(VALU_DEP_1)
	s_cmp_lg_u32 s19, 0
	s_addc_u32 s1, s1, s22
	v_readfirstlane_b32 s19, v1
	s_mul_i32 s22, s20, s1
	s_delay_alu instid0(VALU_DEP_1)
	s_mul_hi_u32 s23, s20, s19
	s_mul_i32 s21, s21, s19
	s_add_i32 s22, s23, s22
	s_mul_i32 s20, s20, s19
	s_add_i32 s22, s22, s21
	s_mul_hi_u32 s23, s1, s20
	s_mul_i32 s24, s1, s20
	s_mul_hi_u32 s20, s19, s20
	s_mul_hi_u32 s25, s19, s22
	s_mul_i32 s19, s19, s22
	s_mul_hi_u32 s21, s1, s22
	s_add_u32 s19, s20, s19
	s_addc_u32 s20, 0, s25
	s_add_u32 s19, s19, s24
	s_mul_i32 s22, s1, s22
	s_addc_u32 s19, s20, s23
	s_addc_u32 s20, s21, 0
	s_add_u32 s19, s19, s22
	s_addc_u32 s20, 0, s20
	v_add_co_u32 v1, s19, v1, s19
	s_delay_alu instid0(VALU_DEP_1) | instskip(SKIP_2) | instid1(SALU_CYCLE_1)
	s_cmp_lg_u32 s19, 0
	s_addc_u32 s1, s1, s20
	s_ashr_i32 s20, s7, 31
	s_add_u32 s22, s6, s20
	s_addc_u32 s23, s7, s20
	v_readfirstlane_b32 s7, v1
	s_mov_b32 s21, s20
	s_delay_alu instid0(SALU_CYCLE_1) | instskip(NEXT) | instid1(SALU_CYCLE_1)
	s_xor_b64 s[22:23], s[22:23], s[20:21]
	s_mul_i32 s24, s22, s1
	s_delay_alu instid0(VALU_DEP_1)
	s_mul_hi_u32 s25, s22, s7
	s_mul_hi_u32 s19, s22, s1
	;; [unrolled: 1-line block ×3, first 2 shown]
	s_mul_i32 s7, s23, s7
	s_add_u32 s24, s25, s24
	s_addc_u32 s19, 0, s19
	s_mul_hi_u32 s26, s23, s1
	s_add_u32 s7, s24, s7
	s_mul_i32 s1, s23, s1
	s_addc_u32 s7, s19, s27
	s_addc_u32 s19, s26, 0
	s_add_u32 s7, s7, s1
	s_addc_u32 s19, 0, s19
	s_mul_i32 s26, s14, s7
	s_mul_hi_u32 s1, s14, s7
	s_mul_i32 s25, s14, s19
	v_sub_co_u32 v1, s22, s22, s26
	s_mul_i32 s24, s15, s7
	s_add_i32 s1, s1, s25
	s_delay_alu instid0(SALU_CYCLE_1) | instskip(NEXT) | instid1(VALU_DEP_1)
	s_add_i32 s1, s1, s24
	v_sub_co_u32 v2, s25, v1, s14
	s_sub_i32 s24, s23, s1
	s_cmp_lg_u32 s22, 0
	s_subb_u32 s24, s24, s15
	s_cmp_lg_u32 s25, 0
	v_cmp_le_u32_e32 vcc_lo, s14, v2
	s_subb_u32 s24, s24, 0
	s_delay_alu instid0(SALU_CYCLE_1)
	s_cmp_ge_u32 s24, s15
	v_cndmask_b32_e64 v2, 0, -1, vcc_lo
	s_cselect_b32 s25, -1, 0
	s_cmp_eq_u32 s24, s15
	s_cselect_b32 vcc_lo, -1, 0
	s_add_u32 s24, s7, 1
	v_cndmask_b32_e32 v2, s25, v2, vcc_lo
	s_addc_u32 s25, s19, 0
	s_add_u32 s26, s7, 2
	s_addc_u32 s27, s19, 0
	s_cmp_lg_u32 s22, 0
	v_cmp_le_u32_e32 vcc_lo, s14, v1
	s_subb_u32 s1, s23, s1
	v_mov_b32_e32 v32, s26
	s_cmp_ge_u32 s1, s15
	v_cndmask_b32_e64 v1, 0, -1, vcc_lo
	s_cselect_b32 s14, -1, 0
	s_cmp_eq_u32 s1, s15
	v_cmp_ne_u32_e32 vcc_lo, 0, v2
	v_mov_b32_e32 v2, s27
	s_cselect_b32 s1, -1, 0
	s_xor_b64 s[10:11], s[20:21], s[10:11]
	v_cndmask_b32_e64 v1, s14, v1, s1
	v_cndmask_b32_e32 v32, s24, v32, vcc_lo
	v_cndmask_b32_e32 v2, s25, v2, vcc_lo
	s_delay_alu instid0(VALU_DEP_3) | instskip(NEXT) | instid1(VALU_DEP_2)
	v_cmp_ne_u32_e32 vcc_lo, 0, v1
	v_cndmask_b32_e32 v1, s19, v2, vcc_lo
	s_delay_alu instid0(VALU_DEP_4) | instskip(NEXT) | instid1(VALU_DEP_2)
	v_cndmask_b32_e32 v2, s7, v32, vcc_lo
	v_xor_b32_e32 v32, s11, v1
	s_delay_alu instid0(VALU_DEP_2) | instskip(NEXT) | instid1(VALU_DEP_1)
	v_xor_b32_e32 v2, s10, v2
	v_sub_co_u32 v1, vcc_lo, v2, s10
	s_delay_alu instid0(VALU_DEP_3)
	v_subrev_co_ci_u32_e32 v2, vcc_lo, s11, v32, vcc_lo
	s_cbranch_execnz .LBB51_33
.LBB51_32:
	v_cvt_f32_u32_e32 v1, s18
	s_sub_i32 s7, 0, s18
	s_delay_alu instid0(VALU_DEP_1) | instskip(SKIP_2) | instid1(VALU_DEP_1)
	v_rcp_iflag_f32_e32 v1, v1
	s_waitcnt_depctr 0xfff
	v_mul_f32_e32 v1, 0x4f7ffffe, v1
	v_cvt_u32_f32_e32 v1, v1
	s_delay_alu instid0(VALU_DEP_1) | instskip(NEXT) | instid1(VALU_DEP_1)
	v_readfirstlane_b32 s1, v1
	s_mul_i32 s7, s7, s1
	s_delay_alu instid0(SALU_CYCLE_1) | instskip(NEXT) | instid1(SALU_CYCLE_1)
	s_mul_hi_u32 s7, s1, s7
	s_add_i32 s1, s1, s7
	s_delay_alu instid0(SALU_CYCLE_1) | instskip(NEXT) | instid1(SALU_CYCLE_1)
	s_mul_hi_u32 s1, s6, s1
	s_mul_i32 s7, s1, s18
	s_delay_alu instid0(SALU_CYCLE_1)
	s_sub_i32 s6, s6, s7
	s_add_i32 s7, s1, 1
	s_sub_i32 s10, s6, s18
	s_cmp_ge_u32 s6, s18
	s_cselect_b32 s1, s7, s1
	s_cselect_b32 s6, s10, s6
	s_add_i32 s10, s1, 1
	s_cmp_ge_u32 s6, s18
	s_mov_b32 s7, 0
	s_cselect_b32 s6, s10, s1
	s_delay_alu instid0(SALU_CYCLE_1)
	v_dual_mov_b32 v1, s6 :: v_dual_mov_b32 v2, s7
.LBB51_33:
	s_delay_alu instid0(VALU_DEP_1) | instskip(NEXT) | instid1(VALU_DEP_2)
	v_add_co_u32 v1, vcc_lo, v1, v31
	v_add_co_ci_u32_e32 v2, vcc_lo, 0, v2, vcc_lo
	s_branch .LBB51_36
.LBB51_34:
                                        ; implicit-def: $vgpr1_vgpr2
	s_cbranch_execz .LBB51_36
; %bb.35:
	v_mul_lo_u32 v1, v31, s12
	s_delay_alu instid0(VALU_DEP_1) | instskip(SKIP_1) | instid1(VALU_DEP_2)
	v_ashrrev_i32_e32 v2, 31, v1
	v_add_co_u32 v1, vcc_lo, v1, s2
	v_add_co_ci_u32_e32 v2, vcc_lo, 0, v2, vcc_lo
.LBB51_36:
	s_mov_b32 s1, exec_lo
.LBB51_37:
	s_or_b32 exec_lo, exec_lo, s16
	s_delay_alu instid0(SALU_CYCLE_1)
	s_and_b32 vcc_lo, exec_lo, s31
	s_cbranch_vccz .LBB51_41
.LBB51_38:
	v_mov_b32_dpp v1, v29 quad_perm:[1,0,3,2] row_mask:0xf bank_mask:0xf
	s_delay_alu instid0(VALU_DEP_1) | instskip(SKIP_1) | instid1(VALU_DEP_1)
	v_cmp_gt_f32_e32 vcc_lo, v29, v1
	v_cndmask_b32_e32 v1, v1, v29, vcc_lo
	v_mov_b32_dpp v2, v1 quad_perm:[2,3,0,1] row_mask:0xf bank_mask:0xf
	s_delay_alu instid0(VALU_DEP_1) | instskip(SKIP_1) | instid1(VALU_DEP_1)
	v_cmp_gt_f32_e32 vcc_lo, v1, v2
	v_cndmask_b32_e32 v1, v2, v1, vcc_lo
	v_mov_b32_dpp v2, v1 row_xmask:7 row_mask:0xf bank_mask:0xf
	s_delay_alu instid0(VALU_DEP_1) | instskip(SKIP_1) | instid1(VALU_DEP_1)
	v_cmp_gt_f32_e32 vcc_lo, v1, v2
	v_cndmask_b32_e32 v1, v2, v1, vcc_lo
	v_mov_b32_dpp v2, v1 row_xmask:15 row_mask:0xf bank_mask:0xf
	s_delay_alu instid0(VALU_DEP_1)
	v_cmp_gt_f32_e32 vcc_lo, v1, v2
	s_and_saveexec_b32 s1, s0
	s_cbranch_execz .LBB51_40
; %bb.39:
	v_cndmask_b32_e32 v1, v2, v1, vcc_lo
	v_lshrrev_b32_e32 v2, 3, v0
	s_mov_b32 s0, 0x76543210
	s_delay_alu instid0(VALU_DEP_1) | instskip(NEXT) | instid1(VALU_DEP_3)
	v_and_b32_e32 v2, 0x7c, v2
	v_permlanex16_b32 v29, v1, s0, 0xfedcba98 op_sel:[1,1]
	s_delay_alu instid0(VALU_DEP_1)
	v_cmp_gt_f32_e32 vcc_lo, v1, v29
	v_cndmask_b32_e32 v1, v29, v1, vcc_lo
	ds_store_b32 v2, v1
.LBB51_40:
	s_or_b32 exec_lo, exec_lo, s1
	s_waitcnt lgkmcnt(0)
	s_barrier
	buffer_gl0_inv
	ds_load_b32 v1, v14
	v_cmp_eq_u32_e64 s1, 0, v0
	s_waitcnt lgkmcnt(0)
	v_mov_b32_dpp v2, v1 quad_perm:[1,0,3,2] row_mask:0xf bank_mask:0xf
	s_delay_alu instid0(VALU_DEP_1) | instskip(SKIP_1) | instid1(VALU_DEP_1)
	v_cmp_gt_f32_e32 vcc_lo, v1, v2
	v_cndmask_b32_e32 v1, v2, v1, vcc_lo
	v_mov_b32_dpp v2, v1 quad_perm:[2,3,0,1] row_mask:0xf bank_mask:0xf
	s_delay_alu instid0(VALU_DEP_1) | instskip(SKIP_1) | instid1(VALU_DEP_1)
	v_cmp_gt_f32_e32 vcc_lo, v1, v2
	v_cndmask_b32_e32 v1, v2, v1, vcc_lo
	v_mov_b32_dpp v2, v1 row_xmask:7 row_mask:0xf bank_mask:0xf
	s_delay_alu instid0(VALU_DEP_1) | instskip(SKIP_1) | instid1(VALU_DEP_1)
	v_cmp_gt_f32_e32 vcc_lo, v1, v2
	v_cndmask_b32_e32 v1, v2, v1, vcc_lo
	v_dual_mul_f32 v30, 0x3c010204, v1 :: v_dual_mov_b32 v1, s2
	v_mov_b32_e32 v2, s3
.LBB51_41:
	s_and_saveexec_b32 s0, s1
	s_cbranch_execz .LBB51_43
; %bb.42:
	s_delay_alu instid0(VALU_DEP_1) | instskip(NEXT) | instid1(VALU_DEP_1)
	v_lshlrev_b64 v[0:1], 2, v[1:2]
	v_add_co_u32 v0, vcc_lo, s8, v0
	s_delay_alu instid0(VALU_DEP_2)
	v_add_co_ci_u32_e32 v1, vcc_lo, s9, v1, vcc_lo
	global_store_b32 v[0:1], v30, off
.LBB51_43:
	s_or_b32 exec_lo, exec_lo, s0
	;;#ASMSTART
	v_rcp_f32 v0, v30
	;;#ASMEND
	v_mul_f32_e32 v15, v15, v0
	v_mul_f32_e32 v17, v17, v0
	v_mul_f32_e32 v25, v25, v0
	v_mul_f32_e32 v22, v22, v0
	v_mul_f32_e32 v9, v9, v0
	v_cvt_i32_f32_e32 v15, v15
	v_mul_f32_e32 v18, v18, v0
	v_cvt_i32_f32_e32 v17, v17
	v_cvt_i32_f32_e32 v25, v25
	s_delay_alu instid0(VALU_DEP_4) | instskip(NEXT) | instid1(VALU_DEP_4)
	v_dual_mul_f32 v2, v27, v0 :: v_dual_and_b32 v15, 0xff, v15
	v_cvt_i32_f32_e32 v18, v18
	v_cvt_i32_f32_e32 v22, v22
	s_delay_alu instid0(VALU_DEP_4)
	v_and_b32_e32 v25, 0xff, v25
	v_mul_f32_e32 v1, v28, v0
	v_dual_mul_f32 v20, v20, v0 :: v_dual_and_b32 v17, 0xff, v17
	v_lshlrev_b16 v18, 8, v18
	v_cvt_i32_f32_e32 v2, v2
	v_and_b32_e32 v22, 0xff, v22
	v_cvt_i32_f32_e32 v1, v1
	v_mul_f32_e32 v24, v24, v0
	v_or_b32_e32 v17, v17, v18
	v_mul_f32_e32 v16, v16, v0
	v_lshlrev_b16 v2, 8, v2
	v_and_b32_e32 v1, 0xff, v1
	v_mul_f32_e32 v7, v7, v0
	v_and_b32_e32 v17, 0xffff, v17
	v_cvt_i32_f32_e32 v16, v16
	v_mul_f32_e32 v5, v5, v0
	v_or_b32_e32 v2, v1, v2
	v_mul_f32_e32 v23, v23, v0
	v_mul_f32_e32 v21, v21, v0
	v_lshlrev_b16 v16, 8, v16
	s_delay_alu instid0(VALU_DEP_4) | instskip(NEXT) | instid1(VALU_DEP_4)
	v_dual_mul_f32 v19, v19, v0 :: v_dual_and_b32 v2, 0xffff, v2
	v_cvt_i32_f32_e32 v23, v23
	v_mul_f32_e32 v14, v26, v0
	v_mul_f32_e32 v11, v11, v0
	v_or_b32_e32 v15, v15, v16
	v_mul_f32_e32 v12, v12, v0
	v_cvt_i32_f32_e32 v9, v9
	v_mul_f32_e32 v8, v8, v0
	v_mul_f32_e32 v6, v6, v0
	v_mul_f32_e32 v4, v4, v0
	v_cvt_i32_f32_e32 v5, v5
	v_mul_f32_e32 v10, v10, v0
	v_mul_f32_e32 v0, v3, v0
	v_cvt_i32_f32_e32 v3, v7
	v_cvt_i32_f32_e32 v11, v11
	v_and_b32_e32 v5, 0xff, v5
	v_lshlrev_b32_e32 v15, 16, v15
	v_cvt_i32_f32_e32 v12, v12
	v_and_b32_e32 v3, 0xff, v3
	v_cvt_i32_f32_e32 v6, v6
	v_and_b32_e32 v9, 0xff, v9
	v_cvt_i32_f32_e32 v7, v8
	v_lshlrev_b16 v11, 8, v11
	v_and_b32_e32 v12, 0xff, v12
	v_lshlrev_b16 v6, 8, v6
	v_cvt_i32_f32_e32 v10, v10
	v_cvt_i32_f32_e32 v0, v0
	v_lshlrev_b16 v7, 8, v7
	v_cvt_i32_f32_e32 v24, v24
	v_or_b32_e32 v5, v5, v6
	v_and_b32_e32 v23, 0xff, v23
	v_cvt_i32_f32_e32 v14, v14
	v_and_b32_e32 v0, 0xff, v0
	v_lshlrev_b16 v8, 8, v10
	v_and_b32_e32 v5, 0xffff, v5
	v_cvt_i32_f32_e32 v4, v4
	v_or_b32_e32 v10, v12, v11
	v_or_b32_e32 v3, v3, v7
	v_lshlrev_b16 v14, 8, v14
	v_lshlrev_b16 v24, 8, v24
	;; [unrolled: 1-line block ×3, first 2 shown]
	v_cvt_i32_f32_e32 v20, v20
	v_lshlrev_b32_e32 v6, 16, v10
	v_cvt_i32_f32_e32 v21, v21
	v_or_b32_e32 v14, v25, v14
	v_or_b32_e32 v0, v0, v4
	v_or_b32_e32 v4, v9, v8
	v_lshlrev_b32_e32 v8, 16, v3
	v_cvt_i32_f32_e32 v19, v19
	v_or_b32_e32 v23, v23, v24
	v_lshlrev_b16 v21, 8, v21
	v_and_b32_e32 v20, 0xff, v20
	v_and_b32_e32 v14, 0xffff, v14
	v_lshlrev_b16 v19, 8, v19
	v_lshlrev_b32_e32 v23, 16, v23
	v_or_b32_e32 v21, v22, v21
	s_add_i32 s0, s13, 3
	s_ashr_i32 s1, s17, 31
	v_or_b32_e32 v16, v20, v19
	s_ashr_i32 s3, s0, 31
	v_or_b32_e32 v1, v14, v23
	s_lshr_b32 s3, s3, 30
	v_lshlrev_b32_e32 v14, 16, v21
	v_and_b32_e32 v16, 0xffff, v16
	v_lshlrev_b32_e32 v7, 16, v0
	v_and_b32_e32 v4, 0xffff, v4
	s_mul_hi_u32 s6, s17, s2
	s_add_i32 s0, s0, s3
	s_mul_i32 s1, s1, s2
	s_mul_i32 s7, s17, s2
	s_and_b32 s2, s0, -4
	s_add_i32 s6, s6, s1
	s_add_u32 s0, s4, s7
	v_or_b32_e32 v0, v2, v14
	v_or_b32_e32 v3, v17, v15
	;; [unrolled: 1-line block ×5, first 2 shown]
	s_addc_u32 s1, s5, s6
	s_mov_b32 s3, -1
	s_and_b32 s1, s1, 0xffff
	buffer_store_b64 v[0:1], v13, s[0:3], 0 offen
	;;#ASMSTART
	s_nop 0
	;;#ASMEND
	buffer_store_b64 v[2:3], v13, s[0:3], 8 offen
	;;#ASMSTART
	s_nop 0
	;;#ASMEND
	;; [unrolled: 4-line block ×3, first 2 shown]
.LBB51_44:
	s_nop 0
	s_sendmsg sendmsg(MSG_DEALLOC_VGPRS)
	s_endpgm
.LBB51_45:
                                        ; implicit-def: $vgpr1_vgpr2
	s_branch .LBB51_32
	.section	.rodata,"a",@progbits
	.p2align	6, 0x0
	.amdhsa_kernel _ZN5aiter24add_rmsnorm_quant_kernelIDF16_aLi256ELi24ELb1ELb1ELb0ELi1EEEvPT0_PT_PfS4_S4_S4_diiiiiiib
		.amdhsa_group_segment_fixed_size 64
		.amdhsa_private_segment_fixed_size 0
		.amdhsa_kernarg_size 88
		.amdhsa_user_sgpr_count 15
		.amdhsa_user_sgpr_dispatch_ptr 0
		.amdhsa_user_sgpr_queue_ptr 0
		.amdhsa_user_sgpr_kernarg_segment_ptr 1
		.amdhsa_user_sgpr_dispatch_id 0
		.amdhsa_user_sgpr_private_segment_size 0
		.amdhsa_wavefront_size32 1
		.amdhsa_uses_dynamic_stack 0
		.amdhsa_enable_private_segment 0
		.amdhsa_system_sgpr_workgroup_id_x 1
		.amdhsa_system_sgpr_workgroup_id_y 0
		.amdhsa_system_sgpr_workgroup_id_z 0
		.amdhsa_system_sgpr_workgroup_info 0
		.amdhsa_system_vgpr_workitem_id 0
		.amdhsa_next_free_vgpr 65
		.amdhsa_next_free_sgpr 40
		.amdhsa_reserve_vcc 1
		.amdhsa_float_round_mode_32 0
		.amdhsa_float_round_mode_16_64 0
		.amdhsa_float_denorm_mode_32 3
		.amdhsa_float_denorm_mode_16_64 3
		.amdhsa_dx10_clamp 1
		.amdhsa_ieee_mode 1
		.amdhsa_fp16_overflow 0
		.amdhsa_workgroup_processor_mode 1
		.amdhsa_memory_ordered 1
		.amdhsa_forward_progress 0
		.amdhsa_shared_vgpr_count 0
		.amdhsa_exception_fp_ieee_invalid_op 0
		.amdhsa_exception_fp_denorm_src 0
		.amdhsa_exception_fp_ieee_div_zero 0
		.amdhsa_exception_fp_ieee_overflow 0
		.amdhsa_exception_fp_ieee_underflow 0
		.amdhsa_exception_fp_ieee_inexact 0
		.amdhsa_exception_int_div_zero 0
	.end_amdhsa_kernel
	.section	.text._ZN5aiter24add_rmsnorm_quant_kernelIDF16_aLi256ELi24ELb1ELb1ELb0ELi1EEEvPT0_PT_PfS4_S4_S4_diiiiiiib,"axG",@progbits,_ZN5aiter24add_rmsnorm_quant_kernelIDF16_aLi256ELi24ELb1ELb1ELb0ELi1EEEvPT0_PT_PfS4_S4_S4_diiiiiiib,comdat
.Lfunc_end51:
	.size	_ZN5aiter24add_rmsnorm_quant_kernelIDF16_aLi256ELi24ELb1ELb1ELb0ELi1EEEvPT0_PT_PfS4_S4_S4_diiiiiiib, .Lfunc_end51-_ZN5aiter24add_rmsnorm_quant_kernelIDF16_aLi256ELi24ELb1ELb1ELb0ELi1EEEvPT0_PT_PfS4_S4_S4_diiiiiiib
                                        ; -- End function
	.section	.AMDGPU.csdata,"",@progbits
; Kernel info:
; codeLenInByte = 4992
; NumSgprs: 42
; NumVgprs: 65
; ScratchSize: 0
; MemoryBound: 0
; FloatMode: 240
; IeeeMode: 1
; LDSByteSize: 64 bytes/workgroup (compile time only)
; SGPRBlocks: 5
; VGPRBlocks: 8
; NumSGPRsForWavesPerEU: 42
; NumVGPRsForWavesPerEU: 65
; Occupancy: 16
; WaveLimiterHint : 0
; COMPUTE_PGM_RSRC2:SCRATCH_EN: 0
; COMPUTE_PGM_RSRC2:USER_SGPR: 15
; COMPUTE_PGM_RSRC2:TRAP_HANDLER: 0
; COMPUTE_PGM_RSRC2:TGID_X_EN: 1
; COMPUTE_PGM_RSRC2:TGID_Y_EN: 0
; COMPUTE_PGM_RSRC2:TGID_Z_EN: 0
; COMPUTE_PGM_RSRC2:TIDIG_COMP_CNT: 0
	.section	.text._ZN5aiter24add_rmsnorm_quant_kernelItaLi256ELi24ELb1ELb1ELb0ELi1EEEvPT0_PT_PfS4_S4_S4_diiiiiiib,"axG",@progbits,_ZN5aiter24add_rmsnorm_quant_kernelItaLi256ELi24ELb1ELb1ELb0ELi1EEEvPT0_PT_PfS4_S4_S4_diiiiiiib,comdat
	.protected	_ZN5aiter24add_rmsnorm_quant_kernelItaLi256ELi24ELb1ELb1ELb0ELi1EEEvPT0_PT_PfS4_S4_S4_diiiiiiib ; -- Begin function _ZN5aiter24add_rmsnorm_quant_kernelItaLi256ELi24ELb1ELb1ELb0ELi1EEEvPT0_PT_PfS4_S4_S4_diiiiiiib
	.globl	_ZN5aiter24add_rmsnorm_quant_kernelItaLi256ELi24ELb1ELb1ELb0ELi1EEEvPT0_PT_PfS4_S4_S4_diiiiiiib
	.p2align	8
	.type	_ZN5aiter24add_rmsnorm_quant_kernelItaLi256ELi24ELb1ELb1ELb0ELi1EEEvPT0_PT_PfS4_S4_S4_diiiiiiib,@function
_ZN5aiter24add_rmsnorm_quant_kernelItaLi256ELi24ELb1ELb1ELb0ELi1EEEvPT0_PT_PfS4_S4_S4_diiiiiiib: ; @_ZN5aiter24add_rmsnorm_quant_kernelItaLi256ELi24ELb1ELb1ELb0ELi1EEEvPT0_PT_PfS4_S4_S4_diiiiiiib
; %bb.0:
	s_mov_b32 s2, s15
	s_load_b256 s[12:19], s[0:1], 0x38
	s_mov_b32 s3, 0
	s_waitcnt lgkmcnt(0)
	s_ashr_i32 s5, s12, 31
	s_mov_b32 s4, s12
	s_delay_alu instid0(SALU_CYCLE_1) | instskip(NEXT) | instid1(VALU_DEP_1)
	v_cmp_ge_i64_e64 s4, s[2:3], s[4:5]
	s_and_b32 vcc_lo, exec_lo, s4
	s_cbranch_vccnz .LBB52_44
; %bb.1:
	s_load_b256 s[4:11], s[0:1], 0x0
	s_ashr_i32 s20, s14, 31
	s_mul_hi_u32 s21, s14, s2
	s_mul_i32 s22, s20, s2
	s_mul_i32 s20, s14, s2
	s_add_i32 s21, s21, s22
	v_mul_u32_u24_e32 v51, 48, v0
	s_lshl_b64 s[20:21], s[20:21], 1
	s_mov_b32 s31, -1
	s_delay_alu instid0(SALU_CYCLE_1)
	s_mov_b32 s39, s31
	s_waitcnt lgkmcnt(0)
	s_add_u32 s28, s10, s20
	s_addc_u32 s10, s11, s21
	s_load_b256 s[20:27], s[0:1], 0x20
	s_add_i32 s11, s13, 1
	s_and_b32 s29, s10, 0xffff
	s_lshr_b32 s0, s11, 31
	s_mul_hi_u32 s1, s15, s2
	s_add_i32 s11, s11, s0
	s_delay_alu instid0(SALU_CYCLE_1) | instskip(NEXT) | instid1(SALU_CYCLE_1)
	s_lshl_b32 s0, s11, 1
	s_and_b32 s30, s0, -4
	s_ashr_i32 s0, s15, 31
	s_clause 0x1
	buffer_load_b128 v[13:16], v51, s[28:31], 0 offen
	buffer_load_b128 v[17:20], v51, s[28:31], 16 offen
	s_mul_i32 s10, s0, s2
	s_mul_i32 s0, s15, s2
	s_add_i32 s1, s1, s10
	buffer_load_b128 v[21:24], v51, s[28:31], 32 offen
	s_lshl_b64 s[0:1], s[0:1], 1
	s_mov_b32 s38, s30
	s_waitcnt lgkmcnt(0)
	s_and_b32 s37, s23, 0xffff
	s_add_u32 s28, s20, s0
	s_addc_u32 s0, s21, s1
	s_mov_b32 s36, s22
	s_and_b32 s29, s0, 0xffff
	s_clause 0x2
	buffer_load_b128 v[25:28], v51, s[28:31], 0 offen
	buffer_load_b128 v[29:32], v51, s[28:31], 16 offen
	;; [unrolled: 1-line block ×3, first 2 shown]
	s_clause 0x2
	buffer_load_b128 v[9:12], v51, s[36:39], 0 offen
	buffer_load_b128 v[5:8], v51, s[36:39], 16 offen
	;; [unrolled: 1-line block ×3, first 2 shown]
	s_ashr_i32 s0, s16, 31
	s_mul_hi_u32 s1, s16, s2
	s_mul_i32 s10, s0, s2
	s_mul_i32 s0, s16, s2
	s_add_i32 s1, s1, s10
	s_delay_alu instid0(SALU_CYCLE_1) | instskip(NEXT) | instid1(SALU_CYCLE_1)
	s_lshl_b64 s[0:1], s[0:1], 1
	s_add_u32 s28, s6, s0
	s_addc_u32 s0, s7, s1
	s_delay_alu instid0(SALU_CYCLE_1)
	s_and_b32 s29, s0, 0xffff
	s_waitcnt vmcnt(8)
	v_lshrrev_b32_e32 v37, 16, v13
	s_waitcnt vmcnt(7)
	v_lshrrev_b32_e32 v43, 16, v17
	v_and_b32_e32 v44, 0xffff, v17
	v_lshrrev_b32_e32 v45, 16, v18
	v_and_b32_e32 v46, 0xffff, v18
	s_waitcnt vmcnt(6)
	v_lshrrev_b32_e32 v54, 16, v22
	v_lshrrev_b32_e32 v52, 16, v21
	;; [unrolled: 1-line block ×6, first 2 shown]
	v_and_b32_e32 v42, 0xffff, v16
	v_lshrrev_b32_e32 v49, 16, v20
	s_waitcnt vmcnt(5)
	v_and_b32_e32 v17, 0xffff, v25
	v_and_b32_e32 v18, 0xffff, v26
	;; [unrolled: 1-line block ×3, first 2 shown]
	v_cvt_f32_u32_e32 v16, v37
	v_cvt_f32_u32_e32 v20, v38
	;; [unrolled: 1-line block ×3, first 2 shown]
	v_and_b32_e32 v55, 0xffff, v22
	v_lshrrev_b32_e32 v22, 16, v27
	v_cvt_f32_u32_e32 v18, v18
	v_and_b32_e32 v40, 0xffff, v15
	v_lshrrev_b32_e32 v15, 16, v25
	v_lshrrev_b32_e32 v56, 16, v23
	v_cvt_f32_u32_e32 v22, v22
	v_and_b32_e32 v53, 0xffff, v21
	v_and_b32_e32 v21, 0xffff, v27
	v_cvt_f32_u32_e32 v15, v15
	v_and_b32_e32 v14, 0xffff, v14
	v_lshrrev_b32_e32 v58, 16, v24
	s_delay_alu instid0(VALU_DEP_4) | instskip(NEXT) | instid1(VALU_DEP_4)
	v_cvt_f32_u32_e32 v21, v21
	v_add_f32_e32 v15, v16, v15
	v_and_b32_e32 v48, 0xffff, v19
	v_lshrrev_b32_e32 v19, 16, v26
	v_cvt_f32_u32_e32 v14, v14
	s_waitcnt vmcnt(4)
	v_and_b32_e32 v26, 0xffff, v30
	s_delay_alu instid0(VALU_DEP_3) | instskip(SKIP_1) | instid1(VALU_DEP_3)
	v_cvt_f32_u32_e32 v19, v19
	v_and_b32_e32 v13, 0xffff, v13
	v_cvt_f32_u32_e32 v26, v26
	s_delay_alu instid0(VALU_DEP_2) | instskip(NEXT) | instid1(VALU_DEP_1)
	v_cvt_f32_u32_e32 v13, v13
	v_dual_add_f32 v16, v13, v17 :: v_dual_mul_f32 v13, v15, v15
	v_dual_add_f32 v17, v14, v18 :: v_dual_add_f32 v18, v20, v19
	v_cvt_f32_u32_e32 v14, v40
	v_cvt_f32_u32_e32 v20, v39
	s_waitcnt vmcnt(3)
	v_dual_fmac_f32 v13, v16, v16 :: v_dual_and_b32 v40, 0xffff, v35
	v_lshrrev_b32_e32 v35, 16, v35
	v_add_f32_e32 v19, v14, v21
	v_lshrrev_b32_e32 v21, 16, v28
	s_delay_alu instid0(VALU_DEP_4) | instskip(SKIP_2) | instid1(VALU_DEP_4)
	v_dual_fmac_f32 v13, v17, v17 :: v_dual_add_f32 v20, v20, v22
	v_cvt_f32_u32_e32 v22, v41
	v_cvt_f32_u32_e32 v14, v42
	;; [unrolled: 1-line block ×3, first 2 shown]
	s_delay_alu instid0(VALU_DEP_4)
	v_fmac_f32_e32 v13, v18, v18
	v_and_b32_e32 v57, 0xffff, v23
	v_and_b32_e32 v23, 0xffff, v28
	v_lshrrev_b32_e32 v28, 16, v30
	v_lshrrev_b32_e32 v30, 16, v31
	v_dual_fmac_f32 v13, v19, v19 :: v_dual_add_f32 v22, v22, v25
	s_delay_alu instid0(VALU_DEP_4) | instskip(SKIP_1) | instid1(VALU_DEP_4)
	v_cvt_f32_u32_e32 v23, v23
	v_cvt_f32_u32_e32 v25, v43
	;; [unrolled: 1-line block ×3, first 2 shown]
	s_delay_alu instid0(VALU_DEP_4)
	v_fmac_f32_e32 v13, v20, v20
	v_and_b32_e32 v37, 0xffff, v24
	v_dual_add_f32 v21, v14, v23 :: v_dual_and_b32 v24, 0xffff, v29
	v_cvt_f32_u32_e32 v14, v44
	v_lshrrev_b32_e32 v23, 16, v29
	v_and_b32_e32 v29, 0xffff, v31
	s_delay_alu instid0(VALU_DEP_4)
	v_cvt_f32_u32_e32 v24, v24
	v_cvt_f32_u32_e32 v28, v28
	v_and_b32_e32 v31, 0xffff, v32
	v_cvt_f32_u32_e32 v27, v23
	v_cvt_f32_u32_e32 v29, v29
	v_add_f32_e32 v23, v14, v24
	v_cvt_f32_u32_e32 v14, v46
	v_cvt_f32_u32_e32 v31, v31
	v_add_f32_e32 v24, v25, v27
	v_cvt_f32_u32_e32 v27, v45
	v_fmac_f32_e32 v13, v21, v21
	v_add_f32_e32 v25, v14, v26
	v_cvt_f32_u32_e32 v14, v48
	v_cvt_f32_u32_e32 v41, v35
	v_add_f32_e32 v26, v27, v28
	v_cvt_f32_u32_e32 v28, v47
	v_perm_b32 v42, v22, v21, 0x7060302
	v_add_f32_e32 v27, v14, v29
	v_lshrrev_b32_e32 v29, 16, v32
	v_cvt_f32_u32_e32 v14, v50
	v_add_f32_e32 v28, v28, v30
	v_cvt_f32_u32_e32 v30, v49
	v_and_b32_e32 v32, 0xffff, v33
	v_cvt_f32_u32_e32 v38, v29
	v_add_f32_e32 v29, v14, v31
	v_cvt_f32_u32_e32 v14, v53
	v_lshrrev_b32_e32 v31, 16, v33
	v_cvt_f32_u32_e32 v32, v32
	v_add_f32_e32 v30, v30, v38
	v_and_b32_e32 v38, 0xffff, v34
	v_cvt_f32_u32_e32 v33, v52
	v_and_b32_e32 v52, 31, v0
	v_cvt_f32_u32_e32 v39, v31
	v_fmac_f32_e32 v13, v22, v22
	v_add_f32_e32 v31, v14, v32
	v_cvt_f32_u32_e32 v14, v55
	v_lshrrev_b32_e32 v34, 16, v34
	v_add_f32_e32 v32, v33, v39
	v_cvt_f32_u32_e32 v38, v38
	v_fmac_f32_e32 v13, v23, v23
	v_cvt_f32_u32_e32 v39, v54
	v_cvt_f32_u32_e32 v34, v34
	v_perm_b32 v46, v30, v29, 0x7060302
	v_add_f32_e32 v33, v14, v38
	v_cvt_f32_u32_e32 v14, v57
	v_cvt_f32_u32_e32 v38, v40
	v_and_b32_e32 v40, 0xffff, v36
	v_add_f32_e32 v34, v39, v34
	v_cvt_f32_u32_e32 v39, v56
	v_fmac_f32_e32 v13, v24, v24
	v_add_f32_e32 v35, v14, v38
	v_cvt_f32_u32_e32 v14, v37
	v_lshrrev_b32_e32 v37, 16, v36
	v_add_f32_e32 v36, v39, v41
	v_cvt_f32_u32_e32 v38, v40
	v_cvt_f32_u32_e32 v39, v58
	v_perm_b32 v41, v20, v19, 0x7060302
	v_cvt_f32_u32_e32 v40, v37
	v_fmac_f32_e32 v13, v25, v25
	v_add_f32_e32 v37, v14, v38
	v_perm_b32 v45, v28, v27, 0x7060302
	v_perm_b32 v44, v26, v25, 0x7060302
	s_delay_alu instid0(VALU_DEP_4) | instskip(SKIP_3) | instid1(VALU_DEP_4)
	v_dual_add_f32 v38, v39, v40 :: v_dual_fmac_f32 v13, v26, v26
	v_perm_b32 v40, v18, v17, 0x7060302
	v_perm_b32 v39, v15, v16, 0x7060302
	;; [unrolled: 1-line block ×4, first 2 shown]
	v_fmac_f32_e32 v13, v27, v27
	v_perm_b32 v49, v36, v35, 0x7060302
	v_perm_b32 v48, v34, v33, 0x7060302
	;; [unrolled: 1-line block ×3, first 2 shown]
	v_cmp_eq_u32_e64 s0, 31, v52
	v_fmac_f32_e32 v13, v28, v28
	buffer_store_b128 v[39:42], v51, s[28:31], 0 offen
	;;#ASMSTART
	s_nop 0
	;;#ASMEND
	buffer_store_b128 v[43:46], v51, s[28:31], 16 offen
	;;#ASMSTART
	s_nop 0
	;;#ASMEND
	v_fmac_f32_e32 v13, v29, v29
	buffer_store_b128 v[47:50], v51, s[28:31], 32 offen
	;;#ASMSTART
	s_nop 0
	;;#ASMEND
	v_fmac_f32_e32 v13, v30, v30
	s_delay_alu instid0(VALU_DEP_1) | instskip(NEXT) | instid1(VALU_DEP_1)
	v_fmac_f32_e32 v13, v31, v31
	v_fmac_f32_e32 v13, v32, v32
	s_delay_alu instid0(VALU_DEP_1) | instskip(NEXT) | instid1(VALU_DEP_1)
	v_fmac_f32_e32 v13, v33, v33
	;; [unrolled: 3-line block ×4, first 2 shown]
	v_fmac_f32_e32 v13, v38, v38
	s_delay_alu instid0(VALU_DEP_1) | instskip(NEXT) | instid1(VALU_DEP_1)
	v_mov_b32_dpp v14, v13 quad_perm:[1,0,3,2] row_mask:0xf bank_mask:0xf
	v_add_f32_e32 v13, v13, v14
	s_delay_alu instid0(VALU_DEP_1) | instskip(NEXT) | instid1(VALU_DEP_1)
	v_mov_b32_dpp v14, v13 quad_perm:[2,3,0,1] row_mask:0xf bank_mask:0xf
	v_add_f32_e32 v13, v13, v14
	s_delay_alu instid0(VALU_DEP_1) | instskip(NEXT) | instid1(VALU_DEP_1)
	v_mov_b32_dpp v14, v13 row_xmask:7 row_mask:0xf bank_mask:0xf
	v_add_f32_e32 v13, v13, v14
	s_delay_alu instid0(VALU_DEP_1)
	v_mov_b32_dpp v14, v13 row_xmask:15 row_mask:0xf bank_mask:0xf
	s_and_saveexec_b32 s1, s0
	s_cbranch_execz .LBB52_3
; %bb.2:
	s_delay_alu instid0(VALU_DEP_1) | instskip(SKIP_2) | instid1(VALU_DEP_2)
	v_add_f32_e32 v13, v13, v14
	s_mov_b32 s6, 0x76543210
	v_lshrrev_b32_e32 v14, 3, v0
	v_permlanex16_b32 v39, v13, s6, 0xfedcba98 op_sel:[1,1]
	s_delay_alu instid0(VALU_DEP_1)
	v_dual_add_f32 v13, v13, v39 :: v_dual_and_b32 v14, 0x7c, v14
	ds_store_b32 v14, v13 offset:32
.LBB52_3:
	s_or_b32 exec_lo, exec_lo, s1
	v_and_b32_e32 v13, 7, v0
	s_waitcnt vmcnt(0) lgkmcnt(0)
	s_waitcnt_vscnt null, 0x0
	s_barrier
	buffer_gl0_inv
	v_cvt_f32_i32_e32 v40, s13
	v_lshlrev_b32_e32 v14, 2, v13
	s_cmp_lg_u32 s18, 0
	ds_load_b32 v13, v14 offset:32
	s_waitcnt lgkmcnt(0)
	v_mov_b32_dpp v39, v13 quad_perm:[1,0,3,2] row_mask:0xf bank_mask:0xf
	s_delay_alu instid0(VALU_DEP_1) | instskip(NEXT) | instid1(VALU_DEP_1)
	v_add_f32_e32 v13, v13, v39
	v_mov_b32_dpp v39, v13 quad_perm:[2,3,0,1] row_mask:0xf bank_mask:0xf
	s_delay_alu instid0(VALU_DEP_1) | instskip(NEXT) | instid1(VALU_DEP_1)
	v_add_f32_e32 v13, v13, v39
	v_mov_b32_dpp v39, v13 row_xmask:7 row_mask:0xf bank_mask:0xf
	s_delay_alu instid0(VALU_DEP_1) | instskip(NEXT) | instid1(VALU_DEP_1)
	v_add_f32_e32 v13, v13, v39
	v_div_scale_f32 v39, null, v40, v40, v13
	v_div_scale_f32 v43, vcc_lo, v13, v40, v13
	s_delay_alu instid0(VALU_DEP_2) | instskip(SKIP_2) | instid1(VALU_DEP_1)
	v_rcp_f32_e32 v41, v39
	s_waitcnt_depctr 0xfff
	v_fma_f32 v42, -v39, v41, 1.0
	v_fmac_f32_e32 v41, v42, v41
	s_delay_alu instid0(VALU_DEP_1) | instskip(NEXT) | instid1(VALU_DEP_1)
	v_mul_f32_e32 v42, v43, v41
	v_fma_f32 v44, -v39, v42, v43
	s_delay_alu instid0(VALU_DEP_1) | instskip(NEXT) | instid1(VALU_DEP_1)
	v_fmac_f32_e32 v42, v44, v41
	v_fma_f32 v39, -v39, v42, v43
	s_delay_alu instid0(VALU_DEP_1) | instskip(SKIP_2) | instid1(VALU_DEP_3)
	v_div_fmas_f32 v39, v39, v41, v42
	v_and_b32_e32 v42, 0xffff, v11
	v_lshrrev_b32_e32 v11, 16, v11
	v_div_fixup_f32 v13, v39, v40, v13
	s_delay_alu instid0(VALU_DEP_3) | instskip(NEXT) | instid1(VALU_DEP_3)
	v_cvt_f32_u32_e32 v42, v42
	v_cvt_f32_u32_e32 v11, v11
	s_delay_alu instid0(VALU_DEP_3) | instskip(SKIP_1) | instid1(VALU_DEP_2)
	v_cvt_f64_f32_e32 v[39:40], v13
	v_mul_u32_u24_e32 v13, 24, v0
	v_add_f64 v[39:40], v[39:40], s[24:25]
	s_delay_alu instid0(VALU_DEP_1) | instskip(SKIP_2) | instid1(VALU_DEP_2)
	v_cvt_f32_f64_e32 v39, v[39:40]
	v_and_b32_e32 v40, 0xffff, v9
	v_lshrrev_b32_e32 v9, 16, v9
	v_cvt_f32_u32_e32 v40, v40
	s_delay_alu instid0(VALU_DEP_2) | instskip(SKIP_4) | instid1(VALU_DEP_4)
	v_cvt_f32_u32_e32 v9, v9
	v_mul_f32_e32 v53, 0x4b800000, v39
	v_cmp_gt_f32_e32 vcc_lo, 0x800000, v39
	v_and_b32_e32 v46, 0xffff, v7
	v_lshrrev_b32_e32 v7, 16, v7
	v_cndmask_b32_e32 v39, v39, v53, vcc_lo
	s_delay_alu instid0(VALU_DEP_3) | instskip(NEXT) | instid1(VALU_DEP_3)
	v_cvt_f32_u32_e32 v46, v46
	v_cvt_f32_u32_e32 v7, v7
	s_delay_alu instid0(VALU_DEP_3) | instskip(SKIP_4) | instid1(VALU_DEP_3)
	v_rsq_f32_e32 v39, v39
	s_waitcnt_depctr 0xfff
	v_mul_f32_e32 v53, 0x45800000, v39
	v_and_b32_e32 v50, 0xffff, v3
	v_lshrrev_b32_e32 v3, 16, v3
	v_cndmask_b32_e32 v39, v39, v53, vcc_lo
	v_and_b32_e32 v44, 0xffff, v5
	v_lshrrev_b32_e32 v5, 16, v5
	v_and_b32_e32 v41, 0xffff, v10
	v_lshrrev_b32_e32 v10, 16, v10
	v_dual_mul_f32 v16, v16, v39 :: v_dual_and_b32 v47, 0xffff, v8
	v_mul_f32_e32 v54, v22, v39
	v_lshrrev_b32_e32 v8, 16, v8
	v_dual_mov_b32 v52, 0x2edbe6ff :: v_dual_mul_f32 v19, v19, v39
	v_dual_mul_f32 v56, v24, v39 :: v_dual_and_b32 v49, 0xffff, v2
	v_lshrrev_b32_e32 v2, 16, v2
	v_dual_mul_f32 v18, v18, v39 :: v_dual_and_b32 v43, 0xffff, v12
	v_lshrrev_b32_e32 v12, 16, v12
	v_dual_mul_f32 v20, v20, v39 :: v_dual_and_b32 v45, 0xffff, v6
	v_dual_mul_f32 v17, v17, v39 :: v_dual_and_b32 v48, 0xffff, v1
	v_lshrrev_b32_e32 v1, 16, v1
	v_lshrrev_b32_e32 v6, 16, v6
	v_cvt_f32_u32_e32 v5, v5
	v_mul_f32_e32 v15, v15, v39
	v_dual_mul_f32 v58, v26, v39 :: v_dual_and_b32 v51, 0xffff, v4
	v_lshrrev_b32_e32 v4, 16, v4
	v_cvt_f32_u32_e32 v41, v41
	v_cvt_f32_u32_e32 v10, v10
	;; [unrolled: 1-line block ×4, first 2 shown]
	v_mul_f32_e32 v57, v25, v39
	v_dual_mul_f32 v30, v30, v39 :: v_dual_mul_f32 v25, v19, v42
	v_mul_f32_e32 v59, v27, v39
	v_cvt_f32_u32_e32 v2, v2
	v_dual_mul_f32 v34, v34, v39 :: v_dual_mul_f32 v19, v56, v5
	v_cvt_f32_u32_e32 v43, v43
	v_cvt_f32_u32_e32 v12, v12
	v_mul_f32_e32 v53, v21, v39
	v_cvt_f32_u32_e32 v45, v45
	v_cvt_f32_u32_e32 v1, v1
	v_mul_f32_e32 v55, v23, v39
	v_dual_mul_f32 v60, v28, v39 :: v_dual_mul_f32 v27, v15, v9
	v_dual_mul_f32 v32, v32, v39 :: v_dual_mul_f32 v21, v18, v10
	v_mul_f32_e32 v28, v16, v40
	v_cvt_f32_u32_e32 v6, v6
	v_cvt_f32_u32_e32 v48, v48
	v_mul_f32_e32 v31, v31, v39
	v_cvt_f32_u32_e32 v47, v47
	v_cvt_f32_u32_e32 v49, v49
	;; [unrolled: 1-line block ×3, first 2 shown]
	v_dual_mul_f32 v29, v29, v39 :: v_dual_mul_f32 v10, v32, v1
	v_mul_f32_e32 v22, v17, v41
	v_mul_f32_e32 v16, v30, v8
	v_dual_mul_f32 v38, v38, v39 :: v_dual_mul_f32 v17, v59, v46
	v_dual_mul_f32 v33, v33, v39 :: v_dual_mul_f32 v8, v34, v2
	v_dual_mul_f32 v26, v20, v11 :: v_dual_mul_f32 v9, v31, v48
	v_dual_mul_f32 v24, v54, v12 :: v_dual_mul_f32 v23, v53, v43
	v_cvt_f32_u32_e32 v50, v50
	v_cvt_f32_u32_e32 v3, v3
	v_dual_mul_f32 v35, v35, v39 :: v_dual_and_b32 v30, 0x7fffffff, v21
	v_dual_mul_f32 v36, v36, v39 :: v_dual_mul_f32 v11, v58, v6
	v_mul_f32_e32 v12, v57, v45
	v_mul_f32_e32 v20, v55, v44
	v_and_b32_e32 v1, 0x7fffffff, v28
	v_cvt_f32_u32_e32 v51, v51
	v_dual_mul_f32 v37, v37, v39 :: v_dual_and_b32 v32, 0x7fffffff, v26
	v_and_b32_e32 v2, 0x7fffffff, v27
	;;#ASMSTART
	v_max3_f32 v1, v52, v1, v2

	;;#ASMEND
	v_mul_f32_e32 v4, v38, v4
	v_dual_mul_f32 v18, v60, v7 :: v_dual_mul_f32 v7, v33, v49
	v_mul_f32_e32 v15, v29, v47
	v_and_b32_e32 v29, 0x7fffffff, v22
	;;#ASMSTART
	v_max3_f32 v1, v1, v29, v30

	;;#ASMEND
	s_delay_alu instid0(VALU_DEP_3)
	v_and_b32_e32 v40, 0x7fffffff, v18
	v_and_b32_e32 v31, 0x7fffffff, v25
	;;#ASMSTART
	v_max3_f32 v1, v1, v31, v32

	;;#ASMEND
	v_and_b32_e32 v34, 0x7fffffff, v24
	v_and_b32_e32 v33, 0x7fffffff, v23
	;;#ASMSTART
	v_max3_f32 v1, v1, v33, v34

	;;#ASMEND
	v_dual_mul_f32 v5, v35, v50 :: v_dual_mul_f32 v6, v36, v3
	v_and_b32_e32 v35, 0x7fffffff, v20
	v_and_b32_e32 v36, 0x7fffffff, v19
	;;#ASMSTART
	v_max3_f32 v1, v1, v35, v36

	;;#ASMEND
	v_dual_mul_f32 v3, v37, v51 :: v_dual_and_b32 v42, 0x7fffffff, v16
	v_and_b32_e32 v37, 0x7fffffff, v12
	v_and_b32_e32 v38, 0x7fffffff, v11
	;;#ASMSTART
	v_max3_f32 v1, v1, v37, v38

	;;#ASMEND
	v_and_b32_e32 v39, 0x7fffffff, v17
	;;#ASMSTART
	v_max3_f32 v1, v1, v39, v40

	;;#ASMEND
	;; [unrolled: 5-line block ×3, first 2 shown]
	v_and_b32_e32 v43, 0x7fffffff, v9
	v_and_b32_e32 v44, 0x7fffffff, v10
	;;#ASMSTART
	v_max3_f32 v1, v1, v43, v44

	;;#ASMEND
	v_and_b32_e32 v45, 0x7fffffff, v7
	v_and_b32_e32 v46, 0x7fffffff, v8
	;;#ASMSTART
	v_max3_f32 v1, v1, v45, v46

	;;#ASMEND
	v_and_b32_e32 v47, 0x7fffffff, v5
	v_and_b32_e32 v48, 0x7fffffff, v6
	;; [unrolled: 1-line block ×4, first 2 shown]
	;;#ASMSTART
	v_max3_f32 v1, v1, v47, v48

	;;#ASMEND
	;;#ASMSTART
	v_max3_f32 v29, v1, v49, v50

	;;#ASMEND
	s_cbranch_scc0 .LBB52_10
; %bb.4:
	s_mul_hi_i32 s1, s18, 0x2aaaaaab
	s_delay_alu instid0(SALU_CYCLE_1) | instskip(SKIP_1) | instid1(SALU_CYCLE_1)
	s_lshr_b32 s6, s1, 31
	s_ashr_i32 s1, s1, 2
	s_add_i32 s1, s1, s6
	s_delay_alu instid0(SALU_CYCLE_1)
	s_cmp_lt_i32 s1, 8
	s_cbranch_scc1 .LBB52_11
; %bb.5:
	s_cmp_lt_i32 s1, 16
	s_cbranch_scc1 .LBB52_12
; %bb.6:
	;; [unrolled: 3-line block ×3, first 2 shown]
	v_mov_b32_e32 v1, v29
	s_cmp_eq_u32 s1, 32
	s_cbranch_scc0 .LBB52_9
; %bb.8:
	s_delay_alu instid0(VALU_DEP_1) | instskip(SKIP_1) | instid1(VALU_DEP_1)
	v_mov_b32_dpp v1, v29 quad_perm:[1,0,3,2] row_mask:0xf bank_mask:0xf
	s_mov_b32 s6, 0x76543210
	v_cmp_gt_f32_e32 vcc_lo, v29, v1
	v_cndmask_b32_e32 v1, v1, v29, vcc_lo
	s_delay_alu instid0(VALU_DEP_1) | instskip(NEXT) | instid1(VALU_DEP_1)
	v_mov_b32_dpp v2, v1 quad_perm:[2,3,0,1] row_mask:0xf bank_mask:0xf
	v_cmp_gt_f32_e32 vcc_lo, v1, v2
	v_cndmask_b32_e32 v1, v2, v1, vcc_lo
	s_delay_alu instid0(VALU_DEP_1) | instskip(NEXT) | instid1(VALU_DEP_1)
	v_mov_b32_dpp v2, v1 row_xmask:7 row_mask:0xf bank_mask:0xf
	v_cmp_gt_f32_e32 vcc_lo, v1, v2
	v_cndmask_b32_e32 v1, v2, v1, vcc_lo
	s_delay_alu instid0(VALU_DEP_1) | instskip(NEXT) | instid1(VALU_DEP_1)
	v_mov_b32_dpp v2, v1 row_xmask:15 row_mask:0xf bank_mask:0xf
	v_cmp_gt_f32_e32 vcc_lo, v1, v2
	v_cndmask_b32_e32 v1, v2, v1, vcc_lo
	s_delay_alu instid0(VALU_DEP_1) | instskip(NEXT) | instid1(VALU_DEP_1)
	v_permlanex16_b32 v2, v1, s6, 0xfedcba98 op_sel:[1,1]
	v_cmp_gt_f32_e32 vcc_lo, v1, v2
	v_cndmask_b32_e32 v1, v2, v1, vcc_lo
.LBB52_9:
	s_mov_b32 s6, 0
	s_branch .LBB52_14
.LBB52_10:
	s_mov_b32 s1, 0
                                        ; implicit-def: $vgpr30
                                        ; implicit-def: $vgpr1_vgpr2
	s_and_b32 vcc_lo, exec_lo, s31
	s_cbranch_vccnz .LBB52_38
	s_branch .LBB52_41
.LBB52_11:
                                        ; implicit-def: $vgpr1
	s_branch .LBB52_21
.LBB52_12:
                                        ; implicit-def: $vgpr1
	s_branch .LBB52_18
.LBB52_13:
	s_mov_b32 s6, -1
                                        ; implicit-def: $vgpr1
.LBB52_14:
	s_delay_alu instid0(SALU_CYCLE_1)
	s_and_not1_b32 vcc_lo, exec_lo, s6
	s_cbranch_vccnz .LBB52_17
; %bb.15:
	v_mov_b32_e32 v1, v29
	s_cmp_eq_u32 s1, 16
	s_cbranch_scc0 .LBB52_17
; %bb.16:
	s_delay_alu instid0(VALU_DEP_1) | instskip(NEXT) | instid1(VALU_DEP_1)
	v_mov_b32_dpp v1, v29 quad_perm:[1,0,3,2] row_mask:0xf bank_mask:0xf
	v_cmp_gt_f32_e32 vcc_lo, v29, v1
	v_cndmask_b32_e32 v1, v1, v29, vcc_lo
	s_delay_alu instid0(VALU_DEP_1) | instskip(NEXT) | instid1(VALU_DEP_1)
	v_mov_b32_dpp v2, v1 quad_perm:[2,3,0,1] row_mask:0xf bank_mask:0xf
	v_cmp_gt_f32_e32 vcc_lo, v1, v2
	v_cndmask_b32_e32 v1, v2, v1, vcc_lo
	s_delay_alu instid0(VALU_DEP_1) | instskip(NEXT) | instid1(VALU_DEP_1)
	v_mov_b32_dpp v2, v1 row_half_mirror row_mask:0xf bank_mask:0xf
	v_cmp_gt_f32_e32 vcc_lo, v1, v2
	v_cndmask_b32_e32 v1, v2, v1, vcc_lo
	s_delay_alu instid0(VALU_DEP_1) | instskip(NEXT) | instid1(VALU_DEP_1)
	v_mov_b32_dpp v2, v1 row_mirror row_mask:0xf bank_mask:0xf
	v_cmp_gt_f32_e32 vcc_lo, v1, v2
	v_cndmask_b32_e32 v1, v2, v1, vcc_lo
.LBB52_17:
	s_cbranch_execnz .LBB52_20
.LBB52_18:
	v_mov_b32_e32 v1, v29
	s_cmp_eq_u32 s1, 8
	s_cbranch_scc0 .LBB52_20
; %bb.19:
	s_delay_alu instid0(VALU_DEP_1) | instskip(NEXT) | instid1(VALU_DEP_1)
	v_mov_b32_dpp v1, v29 quad_perm:[1,0,3,2] row_mask:0xf bank_mask:0xf
	v_cmp_gt_f32_e32 vcc_lo, v29, v1
	v_cndmask_b32_e32 v1, v1, v29, vcc_lo
	s_delay_alu instid0(VALU_DEP_1) | instskip(NEXT) | instid1(VALU_DEP_1)
	v_mov_b32_dpp v2, v1 quad_perm:[2,3,0,1] row_mask:0xf bank_mask:0xf
	v_cmp_gt_f32_e32 vcc_lo, v1, v2
	v_cndmask_b32_e32 v1, v2, v1, vcc_lo
	s_delay_alu instid0(VALU_DEP_1) | instskip(NEXT) | instid1(VALU_DEP_1)
	v_mov_b32_dpp v2, v1 row_half_mirror row_mask:0xf bank_mask:0xf
	v_cmp_gt_f32_e32 vcc_lo, v1, v2
	v_cndmask_b32_e32 v1, v2, v1, vcc_lo
.LBB52_20:
	s_cbranch_execnz .LBB52_28
.LBB52_21:
	s_cmp_lt_i32 s1, 4
	s_cbranch_scc1 .LBB52_24
; %bb.22:
	v_mov_b32_e32 v1, v29
	s_cmp_eq_u32 s1, 4
	s_cbranch_scc0 .LBB52_25
; %bb.23:
	s_delay_alu instid0(VALU_DEP_1) | instskip(NEXT) | instid1(VALU_DEP_1)
	v_mov_b32_dpp v1, v29 quad_perm:[1,0,3,2] row_mask:0xf bank_mask:0xf
	v_cmp_gt_f32_e32 vcc_lo, v29, v1
	v_cndmask_b32_e32 v1, v1, v29, vcc_lo
	s_delay_alu instid0(VALU_DEP_1) | instskip(NEXT) | instid1(VALU_DEP_1)
	v_mov_b32_dpp v2, v1 quad_perm:[2,3,0,1] row_mask:0xf bank_mask:0xf
	v_cmp_gt_f32_e32 vcc_lo, v1, v2
	v_cndmask_b32_e32 v1, v2, v1, vcc_lo
	s_cbranch_execz .LBB52_26
	s_branch .LBB52_28
.LBB52_24:
                                        ; implicit-def: $vgpr1
	s_branch .LBB52_26
.LBB52_25:
	s_cbranch_execnz .LBB52_28
.LBB52_26:
	v_mov_b32_e32 v1, v29
	s_cmp_lg_u32 s1, 2
	s_cbranch_scc1 .LBB52_28
; %bb.27:
	s_delay_alu instid0(VALU_DEP_1) | instskip(NEXT) | instid1(VALU_DEP_1)
	v_mov_b32_dpp v1, v29 quad_perm:[1,0,3,2] row_mask:0xf bank_mask:0xf
	v_cmp_gt_f32_e32 vcc_lo, v29, v1
	v_cndmask_b32_e32 v1, v1, v29, vcc_lo
.LBB52_28:
	v_cvt_f32_u32_e32 v2, s1
	s_sub_i32 s6, 0, s1
	s_mov_b32 s31, 0
	s_delay_alu instid0(VALU_DEP_1) | instskip(SKIP_2) | instid1(VALU_DEP_1)
	v_rcp_iflag_f32_e32 v2, v2
	s_waitcnt_depctr 0xfff
	v_mul_f32_e32 v2, 0x4f7ffffe, v2
	v_cvt_u32_f32_e32 v2, v2
	s_delay_alu instid0(VALU_DEP_1) | instskip(NEXT) | instid1(VALU_DEP_1)
	v_mul_lo_u32 v30, s6, v2
	v_mul_hi_u32 v30, v2, v30
	s_delay_alu instid0(VALU_DEP_1) | instskip(NEXT) | instid1(VALU_DEP_1)
	v_add_nc_u32_e32 v2, v2, v30
	v_mul_hi_u32 v2, v0, v2
	s_delay_alu instid0(VALU_DEP_1) | instskip(NEXT) | instid1(VALU_DEP_1)
	v_mul_lo_u32 v30, v2, s1
	v_sub_nc_u32_e32 v30, v0, v30
	s_delay_alu instid0(VALU_DEP_1) | instskip(SKIP_1) | instid1(VALU_DEP_2)
	v_subrev_nc_u32_e32 v32, s1, v30
	v_cmp_le_u32_e32 vcc_lo, s1, v30
	v_dual_cndmask_b32 v30, v30, v32 :: v_dual_add_nc_u32 v31, 1, v2
	s_delay_alu instid0(VALU_DEP_1) | instskip(NEXT) | instid1(VALU_DEP_2)
	v_cndmask_b32_e32 v2, v2, v31, vcc_lo
	v_cmp_le_u32_e32 vcc_lo, s1, v30
	s_delay_alu instid0(VALU_DEP_2) | instskip(NEXT) | instid1(VALU_DEP_1)
	v_dual_mul_f32 v30, 0x3c010204, v1 :: v_dual_add_nc_u32 v31, 1, v2
	v_cndmask_b32_e32 v31, v2, v31, vcc_lo
	v_cmp_gt_u32_e32 vcc_lo, s13, v13
	s_delay_alu instid0(VALU_DEP_2) | instskip(NEXT) | instid1(VALU_DEP_1)
	v_mul_lo_u32 v2, v31, s1
	v_sub_nc_u32_e32 v2, v0, v2
	s_delay_alu instid0(VALU_DEP_1) | instskip(NEXT) | instid1(VALU_DEP_1)
	v_cmp_eq_u32_e64 s1, 0, v2
                                        ; implicit-def: $vgpr1_vgpr2
	s_and_b32 s6, s1, vcc_lo
	s_mov_b32 s1, 0
	s_and_saveexec_b32 s7, s6
	s_delay_alu instid0(SALU_CYCLE_1)
	s_xor_b32 s16, exec_lo, s7
	s_cbranch_execz .LBB52_37
; %bb.29:
	s_bitcmp0_b32 s19, 0
	s_mov_b32 s10, 0
	s_cbranch_scc0 .LBB52_34
; %bb.30:
	s_ashr_i32 s1, s13, 31
	s_mul_hi_u32 s7, s13, s2
	s_mul_i32 s1, s1, s2
	s_mul_i32 s6, s13, s2
	s_add_i32 s7, s7, s1
	s_ashr_i32 s19, s18, 31
	s_delay_alu instid0(SALU_CYCLE_1) | instskip(NEXT) | instid1(SALU_CYCLE_1)
	s_or_b64 s[14:15], s[6:7], s[18:19]
	s_mov_b32 s11, s15
	s_delay_alu instid0(SALU_CYCLE_1)
	s_cmp_lg_u64 s[10:11], 0
	s_cbranch_scc0 .LBB52_45
; %bb.31:
	s_add_u32 s14, s18, s19
	s_mov_b32 s10, s19
	s_mov_b32 s11, s19
	s_addc_u32 s15, s19, s19
	s_delay_alu instid0(SALU_CYCLE_1) | instskip(NEXT) | instid1(SALU_CYCLE_1)
	s_xor_b64 s[14:15], s[14:15], s[10:11]
	v_cvt_f32_u32_e32 v1, s14
	v_cvt_f32_u32_e32 v2, s15
	s_sub_u32 s20, 0, s14
	s_subb_u32 s21, 0, s15
	s_delay_alu instid0(VALU_DEP_1) | instskip(NEXT) | instid1(VALU_DEP_1)
	v_fmamk_f32 v1, v2, 0x4f800000, v1
	v_rcp_f32_e32 v1, v1
	s_waitcnt_depctr 0xfff
	v_mul_f32_e32 v1, 0x5f7ffffc, v1
	s_delay_alu instid0(VALU_DEP_1) | instskip(NEXT) | instid1(VALU_DEP_1)
	v_mul_f32_e32 v2, 0x2f800000, v1
	v_trunc_f32_e32 v2, v2
	s_delay_alu instid0(VALU_DEP_1) | instskip(SKIP_1) | instid1(VALU_DEP_2)
	v_fmamk_f32 v1, v2, 0xcf800000, v1
	v_cvt_u32_f32_e32 v2, v2
	v_cvt_u32_f32_e32 v1, v1
	s_delay_alu instid0(VALU_DEP_2) | instskip(NEXT) | instid1(VALU_DEP_2)
	v_readfirstlane_b32 s1, v2
	v_readfirstlane_b32 s19, v1
	s_delay_alu instid0(VALU_DEP_2) | instskip(NEXT) | instid1(VALU_DEP_1)
	s_mul_i32 s22, s20, s1
	s_mul_hi_u32 s24, s20, s19
	s_mul_i32 s23, s21, s19
	s_add_i32 s22, s24, s22
	s_mul_i32 s25, s20, s19
	s_add_i32 s22, s22, s23
	s_mul_hi_u32 s24, s19, s25
	s_mul_hi_u32 s26, s1, s25
	s_mul_i32 s23, s1, s25
	s_mul_hi_u32 s25, s19, s22
	s_mul_i32 s19, s19, s22
	s_mul_hi_u32 s27, s1, s22
	s_add_u32 s19, s24, s19
	s_addc_u32 s24, 0, s25
	s_add_u32 s19, s19, s23
	s_mul_i32 s22, s1, s22
	s_addc_u32 s19, s24, s26
	s_addc_u32 s23, s27, 0
	s_add_u32 s19, s19, s22
	s_addc_u32 s22, 0, s23
	v_add_co_u32 v1, s19, v1, s19
	s_delay_alu instid0(VALU_DEP_1) | instskip(SKIP_1) | instid1(VALU_DEP_1)
	s_cmp_lg_u32 s19, 0
	s_addc_u32 s1, s1, s22
	v_readfirstlane_b32 s19, v1
	s_mul_i32 s22, s20, s1
	s_delay_alu instid0(VALU_DEP_1)
	s_mul_hi_u32 s23, s20, s19
	s_mul_i32 s21, s21, s19
	s_add_i32 s22, s23, s22
	s_mul_i32 s20, s20, s19
	s_add_i32 s22, s22, s21
	s_mul_hi_u32 s23, s1, s20
	s_mul_i32 s24, s1, s20
	s_mul_hi_u32 s20, s19, s20
	s_mul_hi_u32 s25, s19, s22
	s_mul_i32 s19, s19, s22
	s_mul_hi_u32 s21, s1, s22
	s_add_u32 s19, s20, s19
	s_addc_u32 s20, 0, s25
	s_add_u32 s19, s19, s24
	s_mul_i32 s22, s1, s22
	s_addc_u32 s19, s20, s23
	s_addc_u32 s20, s21, 0
	s_add_u32 s19, s19, s22
	s_addc_u32 s20, 0, s20
	v_add_co_u32 v1, s19, v1, s19
	s_delay_alu instid0(VALU_DEP_1) | instskip(SKIP_2) | instid1(SALU_CYCLE_1)
	s_cmp_lg_u32 s19, 0
	s_addc_u32 s1, s1, s20
	s_ashr_i32 s20, s7, 31
	s_add_u32 s22, s6, s20
	s_addc_u32 s23, s7, s20
	v_readfirstlane_b32 s7, v1
	s_mov_b32 s21, s20
	s_delay_alu instid0(SALU_CYCLE_1) | instskip(NEXT) | instid1(SALU_CYCLE_1)
	s_xor_b64 s[22:23], s[22:23], s[20:21]
	s_mul_i32 s24, s22, s1
	s_delay_alu instid0(VALU_DEP_1)
	s_mul_hi_u32 s25, s22, s7
	s_mul_hi_u32 s19, s22, s1
	;; [unrolled: 1-line block ×3, first 2 shown]
	s_mul_i32 s7, s23, s7
	s_add_u32 s24, s25, s24
	s_addc_u32 s19, 0, s19
	s_mul_hi_u32 s26, s23, s1
	s_add_u32 s7, s24, s7
	s_mul_i32 s1, s23, s1
	s_addc_u32 s7, s19, s27
	s_addc_u32 s19, s26, 0
	s_add_u32 s7, s7, s1
	s_addc_u32 s19, 0, s19
	s_mul_i32 s26, s14, s7
	s_mul_hi_u32 s1, s14, s7
	s_mul_i32 s25, s14, s19
	v_sub_co_u32 v1, s22, s22, s26
	s_mul_i32 s24, s15, s7
	s_add_i32 s1, s1, s25
	s_delay_alu instid0(SALU_CYCLE_1) | instskip(NEXT) | instid1(VALU_DEP_1)
	s_add_i32 s1, s1, s24
	v_sub_co_u32 v2, s25, v1, s14
	s_sub_i32 s24, s23, s1
	s_cmp_lg_u32 s22, 0
	s_subb_u32 s24, s24, s15
	s_cmp_lg_u32 s25, 0
	v_cmp_le_u32_e32 vcc_lo, s14, v2
	s_subb_u32 s24, s24, 0
	s_delay_alu instid0(SALU_CYCLE_1)
	s_cmp_ge_u32 s24, s15
	v_cndmask_b32_e64 v2, 0, -1, vcc_lo
	s_cselect_b32 s25, -1, 0
	s_cmp_eq_u32 s24, s15
	s_cselect_b32 vcc_lo, -1, 0
	s_add_u32 s24, s7, 1
	v_cndmask_b32_e32 v2, s25, v2, vcc_lo
	s_addc_u32 s25, s19, 0
	s_add_u32 s26, s7, 2
	s_addc_u32 s27, s19, 0
	s_cmp_lg_u32 s22, 0
	v_cmp_le_u32_e32 vcc_lo, s14, v1
	s_subb_u32 s1, s23, s1
	v_mov_b32_e32 v32, s26
	s_cmp_ge_u32 s1, s15
	v_cndmask_b32_e64 v1, 0, -1, vcc_lo
	s_cselect_b32 s14, -1, 0
	s_cmp_eq_u32 s1, s15
	v_cmp_ne_u32_e32 vcc_lo, 0, v2
	v_mov_b32_e32 v2, s27
	s_cselect_b32 s1, -1, 0
	s_xor_b64 s[10:11], s[20:21], s[10:11]
	v_cndmask_b32_e64 v1, s14, v1, s1
	v_cndmask_b32_e32 v32, s24, v32, vcc_lo
	v_cndmask_b32_e32 v2, s25, v2, vcc_lo
	s_delay_alu instid0(VALU_DEP_3) | instskip(NEXT) | instid1(VALU_DEP_2)
	v_cmp_ne_u32_e32 vcc_lo, 0, v1
	v_cndmask_b32_e32 v1, s19, v2, vcc_lo
	s_delay_alu instid0(VALU_DEP_4) | instskip(NEXT) | instid1(VALU_DEP_2)
	v_cndmask_b32_e32 v2, s7, v32, vcc_lo
	v_xor_b32_e32 v32, s11, v1
	s_delay_alu instid0(VALU_DEP_2) | instskip(NEXT) | instid1(VALU_DEP_1)
	v_xor_b32_e32 v2, s10, v2
	v_sub_co_u32 v1, vcc_lo, v2, s10
	s_delay_alu instid0(VALU_DEP_3)
	v_subrev_co_ci_u32_e32 v2, vcc_lo, s11, v32, vcc_lo
	s_cbranch_execnz .LBB52_33
.LBB52_32:
	v_cvt_f32_u32_e32 v1, s18
	s_sub_i32 s7, 0, s18
	s_delay_alu instid0(VALU_DEP_1) | instskip(SKIP_2) | instid1(VALU_DEP_1)
	v_rcp_iflag_f32_e32 v1, v1
	s_waitcnt_depctr 0xfff
	v_mul_f32_e32 v1, 0x4f7ffffe, v1
	v_cvt_u32_f32_e32 v1, v1
	s_delay_alu instid0(VALU_DEP_1) | instskip(NEXT) | instid1(VALU_DEP_1)
	v_readfirstlane_b32 s1, v1
	s_mul_i32 s7, s7, s1
	s_delay_alu instid0(SALU_CYCLE_1) | instskip(NEXT) | instid1(SALU_CYCLE_1)
	s_mul_hi_u32 s7, s1, s7
	s_add_i32 s1, s1, s7
	s_delay_alu instid0(SALU_CYCLE_1) | instskip(NEXT) | instid1(SALU_CYCLE_1)
	s_mul_hi_u32 s1, s6, s1
	s_mul_i32 s7, s1, s18
	s_delay_alu instid0(SALU_CYCLE_1)
	s_sub_i32 s6, s6, s7
	s_add_i32 s7, s1, 1
	s_sub_i32 s10, s6, s18
	s_cmp_ge_u32 s6, s18
	s_cselect_b32 s1, s7, s1
	s_cselect_b32 s6, s10, s6
	s_add_i32 s10, s1, 1
	s_cmp_ge_u32 s6, s18
	s_mov_b32 s7, 0
	s_cselect_b32 s6, s10, s1
	s_delay_alu instid0(SALU_CYCLE_1)
	v_dual_mov_b32 v1, s6 :: v_dual_mov_b32 v2, s7
.LBB52_33:
	s_delay_alu instid0(VALU_DEP_1) | instskip(NEXT) | instid1(VALU_DEP_2)
	v_add_co_u32 v1, vcc_lo, v1, v31
	v_add_co_ci_u32_e32 v2, vcc_lo, 0, v2, vcc_lo
	s_branch .LBB52_36
.LBB52_34:
                                        ; implicit-def: $vgpr1_vgpr2
	s_cbranch_execz .LBB52_36
; %bb.35:
	v_mul_lo_u32 v1, v31, s12
	s_delay_alu instid0(VALU_DEP_1) | instskip(SKIP_1) | instid1(VALU_DEP_2)
	v_ashrrev_i32_e32 v2, 31, v1
	v_add_co_u32 v1, vcc_lo, v1, s2
	v_add_co_ci_u32_e32 v2, vcc_lo, 0, v2, vcc_lo
.LBB52_36:
	s_mov_b32 s1, exec_lo
.LBB52_37:
	s_or_b32 exec_lo, exec_lo, s16
	s_delay_alu instid0(SALU_CYCLE_1)
	s_and_b32 vcc_lo, exec_lo, s31
	s_cbranch_vccz .LBB52_41
.LBB52_38:
	v_mov_b32_dpp v1, v29 quad_perm:[1,0,3,2] row_mask:0xf bank_mask:0xf
	s_delay_alu instid0(VALU_DEP_1) | instskip(SKIP_1) | instid1(VALU_DEP_1)
	v_cmp_gt_f32_e32 vcc_lo, v29, v1
	v_cndmask_b32_e32 v1, v1, v29, vcc_lo
	v_mov_b32_dpp v2, v1 quad_perm:[2,3,0,1] row_mask:0xf bank_mask:0xf
	s_delay_alu instid0(VALU_DEP_1) | instskip(SKIP_1) | instid1(VALU_DEP_1)
	v_cmp_gt_f32_e32 vcc_lo, v1, v2
	v_cndmask_b32_e32 v1, v2, v1, vcc_lo
	v_mov_b32_dpp v2, v1 row_xmask:7 row_mask:0xf bank_mask:0xf
	s_delay_alu instid0(VALU_DEP_1) | instskip(SKIP_1) | instid1(VALU_DEP_1)
	v_cmp_gt_f32_e32 vcc_lo, v1, v2
	v_cndmask_b32_e32 v1, v2, v1, vcc_lo
	v_mov_b32_dpp v2, v1 row_xmask:15 row_mask:0xf bank_mask:0xf
	s_delay_alu instid0(VALU_DEP_1)
	v_cmp_gt_f32_e32 vcc_lo, v1, v2
	s_and_saveexec_b32 s1, s0
	s_cbranch_execz .LBB52_40
; %bb.39:
	v_cndmask_b32_e32 v1, v2, v1, vcc_lo
	v_lshrrev_b32_e32 v2, 3, v0
	s_mov_b32 s0, 0x76543210
	s_delay_alu instid0(VALU_DEP_1) | instskip(NEXT) | instid1(VALU_DEP_3)
	v_and_b32_e32 v2, 0x7c, v2
	v_permlanex16_b32 v29, v1, s0, 0xfedcba98 op_sel:[1,1]
	s_delay_alu instid0(VALU_DEP_1)
	v_cmp_gt_f32_e32 vcc_lo, v1, v29
	v_cndmask_b32_e32 v1, v29, v1, vcc_lo
	ds_store_b32 v2, v1
.LBB52_40:
	s_or_b32 exec_lo, exec_lo, s1
	s_waitcnt lgkmcnt(0)
	s_barrier
	buffer_gl0_inv
	ds_load_b32 v1, v14
	v_cmp_eq_u32_e64 s1, 0, v0
	s_waitcnt lgkmcnt(0)
	v_mov_b32_dpp v2, v1 quad_perm:[1,0,3,2] row_mask:0xf bank_mask:0xf
	s_delay_alu instid0(VALU_DEP_1) | instskip(SKIP_1) | instid1(VALU_DEP_1)
	v_cmp_gt_f32_e32 vcc_lo, v1, v2
	v_cndmask_b32_e32 v1, v2, v1, vcc_lo
	v_mov_b32_dpp v2, v1 quad_perm:[2,3,0,1] row_mask:0xf bank_mask:0xf
	s_delay_alu instid0(VALU_DEP_1) | instskip(SKIP_1) | instid1(VALU_DEP_1)
	v_cmp_gt_f32_e32 vcc_lo, v1, v2
	v_cndmask_b32_e32 v1, v2, v1, vcc_lo
	v_mov_b32_dpp v2, v1 row_xmask:7 row_mask:0xf bank_mask:0xf
	s_delay_alu instid0(VALU_DEP_1) | instskip(SKIP_1) | instid1(VALU_DEP_1)
	v_cmp_gt_f32_e32 vcc_lo, v1, v2
	v_cndmask_b32_e32 v1, v2, v1, vcc_lo
	v_dual_mul_f32 v30, 0x3c010204, v1 :: v_dual_mov_b32 v1, s2
	v_mov_b32_e32 v2, s3
.LBB52_41:
	s_and_saveexec_b32 s0, s1
	s_cbranch_execz .LBB52_43
; %bb.42:
	s_delay_alu instid0(VALU_DEP_1) | instskip(NEXT) | instid1(VALU_DEP_1)
	v_lshlrev_b64 v[0:1], 2, v[1:2]
	v_add_co_u32 v0, vcc_lo, s8, v0
	s_delay_alu instid0(VALU_DEP_2)
	v_add_co_ci_u32_e32 v1, vcc_lo, s9, v1, vcc_lo
	global_store_b32 v[0:1], v30, off
.LBB52_43:
	s_or_b32 exec_lo, exec_lo, s0
	;;#ASMSTART
	v_rcp_f32 v0, v30
	;;#ASMEND
	v_mul_f32_e32 v15, v15, v0
	v_mul_f32_e32 v17, v17, v0
	;; [unrolled: 1-line block ×5, first 2 shown]
	v_cvt_i32_f32_e32 v15, v15
	v_mul_f32_e32 v18, v18, v0
	v_cvt_i32_f32_e32 v17, v17
	v_cvt_i32_f32_e32 v25, v25
	s_delay_alu instid0(VALU_DEP_4) | instskip(NEXT) | instid1(VALU_DEP_4)
	v_dual_mul_f32 v2, v27, v0 :: v_dual_and_b32 v15, 0xff, v15
	v_cvt_i32_f32_e32 v18, v18
	v_cvt_i32_f32_e32 v22, v22
	s_delay_alu instid0(VALU_DEP_4)
	v_and_b32_e32 v25, 0xff, v25
	v_mul_f32_e32 v1, v28, v0
	v_dual_mul_f32 v20, v20, v0 :: v_dual_and_b32 v17, 0xff, v17
	v_lshlrev_b16 v18, 8, v18
	v_cvt_i32_f32_e32 v2, v2
	v_and_b32_e32 v22, 0xff, v22
	v_cvt_i32_f32_e32 v1, v1
	v_mul_f32_e32 v24, v24, v0
	v_or_b32_e32 v17, v17, v18
	v_mul_f32_e32 v16, v16, v0
	v_lshlrev_b16 v2, 8, v2
	v_and_b32_e32 v1, 0xff, v1
	v_mul_f32_e32 v7, v7, v0
	v_and_b32_e32 v17, 0xffff, v17
	v_cvt_i32_f32_e32 v16, v16
	v_mul_f32_e32 v5, v5, v0
	v_or_b32_e32 v2, v1, v2
	v_mul_f32_e32 v23, v23, v0
	v_mul_f32_e32 v21, v21, v0
	v_lshlrev_b16 v16, 8, v16
	s_delay_alu instid0(VALU_DEP_4) | instskip(NEXT) | instid1(VALU_DEP_4)
	v_dual_mul_f32 v19, v19, v0 :: v_dual_and_b32 v2, 0xffff, v2
	v_cvt_i32_f32_e32 v23, v23
	v_mul_f32_e32 v14, v26, v0
	v_mul_f32_e32 v11, v11, v0
	v_or_b32_e32 v15, v15, v16
	v_mul_f32_e32 v12, v12, v0
	v_cvt_i32_f32_e32 v9, v9
	v_mul_f32_e32 v8, v8, v0
	v_mul_f32_e32 v6, v6, v0
	v_mul_f32_e32 v4, v4, v0
	v_cvt_i32_f32_e32 v5, v5
	v_mul_f32_e32 v10, v10, v0
	v_mul_f32_e32 v0, v3, v0
	v_cvt_i32_f32_e32 v3, v7
	v_cvt_i32_f32_e32 v11, v11
	v_and_b32_e32 v5, 0xff, v5
	v_lshlrev_b32_e32 v15, 16, v15
	v_cvt_i32_f32_e32 v12, v12
	v_and_b32_e32 v3, 0xff, v3
	v_cvt_i32_f32_e32 v6, v6
	v_and_b32_e32 v9, 0xff, v9
	v_cvt_i32_f32_e32 v7, v8
	v_lshlrev_b16 v11, 8, v11
	v_and_b32_e32 v12, 0xff, v12
	v_lshlrev_b16 v6, 8, v6
	v_cvt_i32_f32_e32 v10, v10
	v_cvt_i32_f32_e32 v0, v0
	v_lshlrev_b16 v7, 8, v7
	v_cvt_i32_f32_e32 v24, v24
	v_or_b32_e32 v5, v5, v6
	v_and_b32_e32 v23, 0xff, v23
	v_cvt_i32_f32_e32 v14, v14
	v_and_b32_e32 v0, 0xff, v0
	v_lshlrev_b16 v8, 8, v10
	v_and_b32_e32 v5, 0xffff, v5
	v_cvt_i32_f32_e32 v4, v4
	v_or_b32_e32 v10, v12, v11
	v_or_b32_e32 v3, v3, v7
	v_lshlrev_b16 v14, 8, v14
	v_lshlrev_b16 v24, 8, v24
	;; [unrolled: 1-line block ×3, first 2 shown]
	v_cvt_i32_f32_e32 v20, v20
	v_lshlrev_b32_e32 v6, 16, v10
	v_cvt_i32_f32_e32 v21, v21
	v_or_b32_e32 v14, v25, v14
	v_or_b32_e32 v0, v0, v4
	v_or_b32_e32 v4, v9, v8
	v_lshlrev_b32_e32 v8, 16, v3
	v_cvt_i32_f32_e32 v19, v19
	v_or_b32_e32 v23, v23, v24
	v_lshlrev_b16 v21, 8, v21
	v_and_b32_e32 v20, 0xff, v20
	v_and_b32_e32 v14, 0xffff, v14
	v_lshlrev_b16 v19, 8, v19
	v_lshlrev_b32_e32 v23, 16, v23
	v_or_b32_e32 v21, v22, v21
	s_add_i32 s0, s13, 3
	s_ashr_i32 s1, s17, 31
	v_or_b32_e32 v16, v20, v19
	s_ashr_i32 s3, s0, 31
	v_or_b32_e32 v1, v14, v23
	s_lshr_b32 s3, s3, 30
	v_lshlrev_b32_e32 v14, 16, v21
	v_and_b32_e32 v16, 0xffff, v16
	v_lshlrev_b32_e32 v7, 16, v0
	v_and_b32_e32 v4, 0xffff, v4
	s_mul_hi_u32 s6, s17, s2
	s_add_i32 s0, s0, s3
	s_mul_i32 s1, s1, s2
	s_mul_i32 s7, s17, s2
	s_and_b32 s2, s0, -4
	s_add_i32 s6, s6, s1
	s_add_u32 s0, s4, s7
	v_or_b32_e32 v0, v2, v14
	v_or_b32_e32 v3, v17, v15
	v_or_b32_e32 v2, v16, v6
	v_or_b32_e32 v5, v5, v7
	v_or_b32_e32 v4, v4, v8
	s_addc_u32 s1, s5, s6
	s_mov_b32 s3, -1
	s_and_b32 s1, s1, 0xffff
	buffer_store_b64 v[0:1], v13, s[0:3], 0 offen
	;;#ASMSTART
	s_nop 0
	;;#ASMEND
	buffer_store_b64 v[2:3], v13, s[0:3], 8 offen
	;;#ASMSTART
	s_nop 0
	;;#ASMEND
	;; [unrolled: 4-line block ×3, first 2 shown]
.LBB52_44:
	s_nop 0
	s_sendmsg sendmsg(MSG_DEALLOC_VGPRS)
	s_endpgm
.LBB52_45:
                                        ; implicit-def: $vgpr1_vgpr2
	s_branch .LBB52_32
	.section	.rodata,"a",@progbits
	.p2align	6, 0x0
	.amdhsa_kernel _ZN5aiter24add_rmsnorm_quant_kernelItaLi256ELi24ELb1ELb1ELb0ELi1EEEvPT0_PT_PfS4_S4_S4_diiiiiiib
		.amdhsa_group_segment_fixed_size 64
		.amdhsa_private_segment_fixed_size 0
		.amdhsa_kernarg_size 88
		.amdhsa_user_sgpr_count 15
		.amdhsa_user_sgpr_dispatch_ptr 0
		.amdhsa_user_sgpr_queue_ptr 0
		.amdhsa_user_sgpr_kernarg_segment_ptr 1
		.amdhsa_user_sgpr_dispatch_id 0
		.amdhsa_user_sgpr_private_segment_size 0
		.amdhsa_wavefront_size32 1
		.amdhsa_uses_dynamic_stack 0
		.amdhsa_enable_private_segment 0
		.amdhsa_system_sgpr_workgroup_id_x 1
		.amdhsa_system_sgpr_workgroup_id_y 0
		.amdhsa_system_sgpr_workgroup_id_z 0
		.amdhsa_system_sgpr_workgroup_info 0
		.amdhsa_system_vgpr_workitem_id 0
		.amdhsa_next_free_vgpr 61
		.amdhsa_next_free_sgpr 40
		.amdhsa_reserve_vcc 1
		.amdhsa_float_round_mode_32 0
		.amdhsa_float_round_mode_16_64 0
		.amdhsa_float_denorm_mode_32 3
		.amdhsa_float_denorm_mode_16_64 3
		.amdhsa_dx10_clamp 1
		.amdhsa_ieee_mode 1
		.amdhsa_fp16_overflow 0
		.amdhsa_workgroup_processor_mode 1
		.amdhsa_memory_ordered 1
		.amdhsa_forward_progress 0
		.amdhsa_shared_vgpr_count 0
		.amdhsa_exception_fp_ieee_invalid_op 0
		.amdhsa_exception_fp_denorm_src 0
		.amdhsa_exception_fp_ieee_div_zero 0
		.amdhsa_exception_fp_ieee_overflow 0
		.amdhsa_exception_fp_ieee_underflow 0
		.amdhsa_exception_fp_ieee_inexact 0
		.amdhsa_exception_int_div_zero 0
	.end_amdhsa_kernel
	.section	.text._ZN5aiter24add_rmsnorm_quant_kernelItaLi256ELi24ELb1ELb1ELb0ELi1EEEvPT0_PT_PfS4_S4_S4_diiiiiiib,"axG",@progbits,_ZN5aiter24add_rmsnorm_quant_kernelItaLi256ELi24ELb1ELb1ELb0ELi1EEEvPT0_PT_PfS4_S4_S4_diiiiiiib,comdat
.Lfunc_end52:
	.size	_ZN5aiter24add_rmsnorm_quant_kernelItaLi256ELi24ELb1ELb1ELb0ELi1EEEvPT0_PT_PfS4_S4_S4_diiiiiiib, .Lfunc_end52-_ZN5aiter24add_rmsnorm_quant_kernelItaLi256ELi24ELb1ELb1ELb0ELi1EEEvPT0_PT_PfS4_S4_S4_diiiiiiib
                                        ; -- End function
	.section	.AMDGPU.csdata,"",@progbits
; Kernel info:
; codeLenInByte = 5244
; NumSgprs: 42
; NumVgprs: 61
; ScratchSize: 0
; MemoryBound: 0
; FloatMode: 240
; IeeeMode: 1
; LDSByteSize: 64 bytes/workgroup (compile time only)
; SGPRBlocks: 5
; VGPRBlocks: 7
; NumSGPRsForWavesPerEU: 42
; NumVGPRsForWavesPerEU: 61
; Occupancy: 16
; WaveLimiterHint : 0
; COMPUTE_PGM_RSRC2:SCRATCH_EN: 0
; COMPUTE_PGM_RSRC2:USER_SGPR: 15
; COMPUTE_PGM_RSRC2:TRAP_HANDLER: 0
; COMPUTE_PGM_RSRC2:TGID_X_EN: 1
; COMPUTE_PGM_RSRC2:TGID_Y_EN: 0
; COMPUTE_PGM_RSRC2:TGID_Z_EN: 0
; COMPUTE_PGM_RSRC2:TIDIG_COMP_CNT: 0
	.section	.text._ZN5aiter24add_rmsnorm_quant_kernelIDF16_aLi256ELi32ELb1ELb1ELb1ELi1EEEvPT0_PT_PfS4_S4_S4_diiiiiiib,"axG",@progbits,_ZN5aiter24add_rmsnorm_quant_kernelIDF16_aLi256ELi32ELb1ELb1ELb1ELi1EEEvPT0_PT_PfS4_S4_S4_diiiiiiib,comdat
	.protected	_ZN5aiter24add_rmsnorm_quant_kernelIDF16_aLi256ELi32ELb1ELb1ELb1ELi1EEEvPT0_PT_PfS4_S4_S4_diiiiiiib ; -- Begin function _ZN5aiter24add_rmsnorm_quant_kernelIDF16_aLi256ELi32ELb1ELb1ELb1ELi1EEEvPT0_PT_PfS4_S4_S4_diiiiiiib
	.globl	_ZN5aiter24add_rmsnorm_quant_kernelIDF16_aLi256ELi32ELb1ELb1ELb1ELi1EEEvPT0_PT_PfS4_S4_S4_diiiiiiib
	.p2align	8
	.type	_ZN5aiter24add_rmsnorm_quant_kernelIDF16_aLi256ELi32ELb1ELb1ELb1ELi1EEEvPT0_PT_PfS4_S4_S4_diiiiiiib,@function
_ZN5aiter24add_rmsnorm_quant_kernelIDF16_aLi256ELi32ELb1ELb1ELb1ELi1EEEvPT0_PT_PfS4_S4_S4_diiiiiiib: ; @_ZN5aiter24add_rmsnorm_quant_kernelIDF16_aLi256ELi32ELb1ELb1ELb1ELi1EEEvPT0_PT_PfS4_S4_S4_diiiiiiib
; %bb.0:
	s_mov_b32 s2, s15
	s_load_b256 s[12:19], s[0:1], 0x38
	s_mov_b32 s3, 0
	s_waitcnt lgkmcnt(0)
	s_ashr_i32 s5, s12, 31
	s_mov_b32 s4, s12
	s_delay_alu instid0(SALU_CYCLE_1) | instskip(NEXT) | instid1(VALU_DEP_1)
	v_cmp_ge_i64_e64 s4, s[2:3], s[4:5]
	s_and_b32 vcc_lo, exec_lo, s4
	s_cbranch_vccnz .LBB53_44
; %bb.1:
	s_clause 0x1
	s_load_b256 s[4:11], s[0:1], 0x0
	s_load_b256 s[20:27], s[0:1], 0x20
	s_ashr_i32 s1, s14, 31
	v_lshlrev_b32_e32 v30, 5, v0
	s_waitcnt lgkmcnt(0)
	s_mul_hi_u32 s27, s14, s2
	s_mul_i32 s26, s14, s2
	s_mul_i32 s14, s1, s2
	v_lshlrev_b32_e32 v1, 3, v0
	s_add_i32 s27, s27, s14
	v_and_b32_e32 v2, 0x7c00, v30
	s_lshl_b64 s[26:27], s[26:27], 1
	s_mov_b32 s31, -1
	s_movk_i32 s0, 0x200
	s_movk_i32 s1, 0x400
	v_and_or_b32 v29, 0xf8, v1, v2
	s_movk_i32 s14, 0x600
	s_mov_b32 s39, s31
	s_delay_alu instid0(VALU_DEP_1)
	v_lshlrev_b32_e32 v31, 1, v29
	s_add_u32 s28, s10, s26
	s_addc_u32 s10, s11, s27
	s_add_i32 s11, s13, 1
	s_mul_hi_u32 s26, s15, s2
	s_lshr_b32 s27, s11, 31
	s_and_b32 s29, s10, 0xffff
	s_add_i32 s11, s11, s27
	s_ashr_i32 s27, s15, 31
	s_lshl_b32 s11, s11, 1
	s_mul_i32 s27, s27, s2
	s_and_b32 s30, s11, -4
	s_mul_i32 s10, s15, s2
	s_add_i32 s11, s26, s27
	s_and_b32 s37, s23, 0xffff
	s_lshl_b64 s[10:11], s[10:11], 1
	s_clause 0x3
	buffer_load_b128 v[32:35], v31, s[28:31], 0 offen glc slc
	buffer_load_b128 v[36:39], v31, s[28:31], s0 offen glc slc
	buffer_load_b128 v[40:43], v31, s[28:31], s1 offen glc slc
	buffer_load_b128 v[25:28], v31, s[28:31], s14 offen glc slc
	s_add_u32 s28, s20, s10
	s_addc_u32 s10, s21, s11
	s_mov_b32 s36, s22
	s_and_b32 s29, s10, 0xffff
	s_clause 0x3
	buffer_load_b128 v[44:47], v31, s[28:31], 0 offen glc slc
	buffer_load_b128 v[48:51], v31, s[28:31], s0 offen glc slc
	;; [unrolled: 1-line block ×4, first 2 shown]
	s_mov_b32 s38, s30
	s_ashr_i32 s10, s16, 31
	s_mul_hi_u32 s11, s16, s2
	s_mul_i32 s15, s10, s2
	s_mul_i32 s10, s16, s2
	s_add_i32 s11, s11, s15
	s_delay_alu instid0(SALU_CYCLE_1) | instskip(NEXT) | instid1(SALU_CYCLE_1)
	s_lshl_b64 s[10:11], s[10:11], 1
	s_add_u32 s28, s6, s10
	s_addc_u32 s6, s7, s11
	s_delay_alu instid0(SALU_CYCLE_1)
	s_and_b32 s29, s6, 0xffff
	s_waitcnt vmcnt(6)
	v_cvt_f32_f16_e32 v59, v36
	v_cvt_f32_f16_e32 v52, v32
	v_lshrrev_b32_e32 v32, 16, v32
	v_cvt_f32_f16_e32 v53, v33
	v_lshrrev_b32_e32 v54, 16, v33
	s_waitcnt vmcnt(3)
	v_lshrrev_b32_e32 v33, 16, v44
	v_cvt_f32_f16_e32 v55, v34
	v_lshrrev_b32_e32 v56, 16, v34
	v_cvt_f32_f16_e32 v57, v35
	;; [unrolled: 2-line block ×3, first 2 shown]
	v_cvt_f32_f16_e32 v33, v33
	v_cvt_f32_f16_e32 v34, v44
	;; [unrolled: 1-line block ×3, first 2 shown]
	v_lshrrev_b32_e32 v60, 16, v36
	v_lshrrev_b32_e32 v36, 16, v45
	v_add_f32_e32 v32, v32, v33
	s_delay_alu instid0(VALU_DEP_4)
	v_dual_add_f32 v33, v52, v34 :: v_dual_add_f32 v34, v53, v35
	s_clause 0x3
	buffer_load_b128 v[13:16], v31, s[36:39], 0 offen
	buffer_load_b128 v[9:12], v31, s[36:39], s0 offen
	;; [unrolled: 1-line block ×4, first 2 shown]
	v_cvt_f32_f16_e32 v61, v37
	v_lshrrev_b32_e32 v62, 16, v37
	v_cvt_f32_f16_e32 v65, v39
	v_lshrrev_b32_e32 v66, 16, v39
	v_cvt_f32_f16_e32 v37, v54
	v_cvt_f32_f16_e32 v36, v36
	v_lshrrev_b32_e32 v39, 16, v46
	v_cvt_f32_f16_e32 v63, v38
	v_lshrrev_b32_e32 v64, 16, v38
	v_cvt_f32_f16_e32 v67, v40
	v_lshrrev_b32_e32 v68, 16, v40
	v_cvt_f32_f16_e32 v38, v46
	v_add_f32_e32 v35, v37, v36
	v_cvt_f32_f16_e32 v37, v56
	v_cvt_f32_f16_e32 v39, v39
	v_lshrrev_b32_e32 v40, 16, v47
	v_dual_add_f32 v36, v55, v38 :: v_dual_and_b32 v69, 31, v0
	v_cvt_f32_f16_e32 v70, v41
	v_lshrrev_b32_e32 v44, 16, v41
	v_mul_f32_e32 v71, v32, v32
	v_cvt_f32_f16_e32 v45, v42
	v_lshrrev_b32_e32 v52, 16, v42
	v_cvt_f32_f16_e32 v38, v47
	v_add_f32_e32 v37, v37, v39
	v_cvt_f32_f16_e32 v39, v58
	v_cvt_f32_f16_e32 v40, v40
	s_waitcnt vmcnt(6)
	v_cvt_f32_f16_e32 v41, v48
	v_lshrrev_b32_e32 v42, 16, v48
	v_cvt_f32_f16_e32 v47, v25
	v_add_f32_e32 v38, v57, v38
	v_lshrrev_b32_e32 v53, 16, v25
	v_add_f32_e32 v25, v39, v40
	v_cvt_f32_f16_e32 v40, v60
	v_cvt_f32_f16_e32 v42, v42
	v_fmac_f32_e32 v71, v33, v33
	v_cvt_f32_f16_e32 v44, v44
	v_add_f32_e32 v39, v59, v41
	v_cvt_f32_f16_e32 v41, v49
	v_lshrrev_b32_e32 v49, 16, v49
	v_cvt_f32_f16_e32 v48, v26
	v_lshrrev_b32_e32 v54, 16, v26
	v_add_f32_e32 v26, v40, v42
	v_dual_fmac_f32 v71, v34, v34 :: v_dual_add_f32 v40, v61, v41
	v_cvt_f32_f16_e32 v42, v62
	v_cvt_f32_f16_e32 v49, v49
	;; [unrolled: 1-line block ×3, first 2 shown]
	v_lshrrev_b32_e32 v50, 16, v50
	v_cvt_f32_f16_e32 v55, v27
	v_lshrrev_b32_e32 v56, 16, v27
	v_add_f32_e32 v27, v42, v49
	v_cvt_f32_f16_e32 v42, v64
	v_cvt_f32_f16_e32 v49, v50
	;; [unrolled: 1-line block ×3, first 2 shown]
	v_lshrrev_b32_e32 v51, 16, v51
	v_cvt_f32_f16_e32 v57, v28
	v_lshrrev_b32_e32 v50, 16, v28
	v_add_f32_e32 v28, v42, v49
	v_cvt_f32_f16_e32 v49, v66
	v_cvt_f32_f16_e32 v51, v51
	v_dual_fmac_f32 v71, v35, v35 :: v_dual_add_f32 v42, v65, v58
	s_waitcnt vmcnt(5)
	v_cvt_f32_f16_e32 v58, v21
	v_lshrrev_b32_e32 v60, 16, v21
	v_add_f32_e32 v21, v49, v51
	v_lshrrev_b32_e32 v51, 16, v22
	v_cvt_f32_f16_e32 v46, v43
	v_lshrrev_b32_e32 v43, 16, v43
	v_cvt_f32_f16_e32 v59, v68
	v_cvt_f32_f16_e32 v49, v22
	;; [unrolled: 1-line block ×3, first 2 shown]
	v_add_f32_e32 v22, v67, v58
	v_cvt_f32_f16_e32 v58, v23
	v_fmac_f32_e32 v71, v36, v36
	v_lshrrev_b32_e32 v61, 16, v23
	v_cvt_f32_f16_e32 v51, v51
	v_cvt_f32_f16_e32 v52, v52
	v_add_f32_e32 v23, v59, v60
	v_cvt_f32_f16_e32 v59, v43
	v_cvt_f32_f16_e32 v60, v24
	v_add_f32_e32 v43, v70, v49
	v_lshrrev_b32_e32 v49, 16, v24
	v_add_f32_e32 v24, v44, v51
	v_add_f32_e32 v44, v45, v58
	v_cvt_f32_f16_e32 v51, v54
	v_cvt_f32_f16_e32 v54, v61
	v_fmac_f32_e32 v71, v37, v37
	s_waitcnt vmcnt(4)
	v_cvt_f32_f16_e32 v58, v18
	v_lshrrev_b32_e32 v61, 16, v18
	v_cvt_f32_f16_e32 v45, v49
	v_add_f32_e32 v18, v52, v54
	v_fmac_f32_e32 v71, v38, v38
	v_cvt_f32_f16_e32 v52, v19
	v_lshrrev_b32_e32 v54, 16, v19
	v_add_f32_e32 v19, v46, v60
	v_cvt_f32_f16_e32 v60, v50
	v_cvt_f32_f16_e32 v50, v20
	v_lshrrev_b32_e32 v49, 16, v20
	v_add_f32_e32 v20, v59, v45
	v_dual_fmac_f32 v71, v25, v25 :: v_dual_add_f32 v46, v48, v58
	v_cvt_f32_f16_e32 v62, v17
	v_cvt_f32_f16_e32 v59, v61
	s_delay_alu instid0(VALU_DEP_3) | instskip(SKIP_1) | instid1(VALU_DEP_4)
	v_dual_add_f32 v48, v57, v50 :: v_dual_fmac_f32 v71, v39, v39
	v_add_f32_e32 v41, v63, v41
	v_add_f32_e32 v45, v47, v62
	;; [unrolled: 1-line block ×3, first 2 shown]
	v_cvt_f32_f16_e32 v52, v49
	v_dual_fmac_f32 v71, v26, v26 :: v_dual_add_f32 v50, v51, v59
	v_lshrrev_b32_e32 v17, 16, v17
	v_cvt_f32_f16_e32 v53, v53
	s_delay_alu instid0(VALU_DEP_4) | instskip(NEXT) | instid1(VALU_DEP_4)
	v_add_f32_e32 v52, v60, v52
	v_fmac_f32_e32 v71, v40, v40
	v_cvt_f32_f16_e32 v56, v56
	v_cvt_f32_f16_e32 v17, v17
	;; [unrolled: 1-line block ×3, first 2 shown]
	v_cvt_f16_f32_e32 v60, v32
	v_fmac_f32_e32 v71, v27, v27
	v_cvt_f16_f32_e32 v55, v36
	v_add_f32_e32 v49, v53, v17
	v_add_f32_e32 v51, v56, v54
	v_cvt_f16_f32_e32 v17, v33
	v_fmac_f32_e32 v71, v41, v41
	v_cvt_f16_f32_e32 v53, v34
	v_cvt_f16_f32_e32 v54, v35
	;; [unrolled: 1-line block ×4, first 2 shown]
	v_fmac_f32_e32 v71, v28, v28
	v_cvt_f16_f32_e32 v58, v40
	v_pack_b32_f16 v54, v53, v54
	v_pack_b32_f16 v53, v17, v60
	v_cvt_f16_f32_e32 v59, v41
	v_fmac_f32_e32 v71, v42, v42
	v_cvt_f16_f32_e32 v62, v42
	v_cvt_f16_f32_e32 v73, v37
	v_cvt_f16_f32_e32 v56, v25
	v_cvt_f16_f32_e32 v74, v26
	v_fmac_f32_e32 v71, v21, v21
	v_cvt_f16_f32_e32 v75, v27
	v_cvt_f16_f32_e32 v76, v28
	v_cvt_f16_f32_e32 v77, v21
	;; [unrolled: 5-line block ×6, first 2 shown]
	v_pack_b32_f16 v56, v57, v56
	v_fmac_f32_e32 v71, v44, v44
	v_pack_b32_f16 v55, v55, v73
	v_pack_b32_f16 v60, v62, v77
	v_pack_b32_f16 v59, v59, v76
	v_pack_b32_f16 v58, v58, v75
	v_fmac_f32_e32 v71, v18, v18
	v_pack_b32_f16 v57, v61, v74
	v_pack_b32_f16 v64, v64, v81
	v_pack_b32_f16 v63, v63, v80
	;; [unrolled: 5-line block ×3, first 2 shown]
	v_pack_b32_f16 v66, v72, v84
	v_fmac_f32_e32 v71, v20, v20
	v_pack_b32_f16 v65, v70, v83
	buffer_store_b128 v[53:56], v31, s[28:31], 0 offen glc slc
	;;#ASMSTART
	s_nop 0
	;;#ASMEND
	buffer_store_b128 v[57:60], v31, s[28:31], s0 offen glc slc
	v_fmac_f32_e32 v71, v45, v45
	v_cmp_eq_u32_e64 s0, 31, v69
	;;#ASMSTART
	s_nop 0
	;;#ASMEND
	buffer_store_b128 v[61:64], v31, s[28:31], s1 offen glc slc
	;;#ASMSTART
	s_nop 0
	;;#ASMEND
	v_fmac_f32_e32 v71, v49, v49
	buffer_store_b128 v[65:68], v31, s[28:31], s14 offen glc slc
	;;#ASMSTART
	s_nop 0
	;;#ASMEND
	v_fmac_f32_e32 v71, v46, v46
	s_delay_alu instid0(VALU_DEP_1) | instskip(NEXT) | instid1(VALU_DEP_1)
	v_fmac_f32_e32 v71, v50, v50
	v_fmac_f32_e32 v71, v47, v47
	s_delay_alu instid0(VALU_DEP_1) | instskip(NEXT) | instid1(VALU_DEP_1)
	v_fmac_f32_e32 v71, v51, v51
	;; [unrolled: 3-line block ×3, first 2 shown]
	v_mov_b32_dpp v82, v71 quad_perm:[1,0,3,2] row_mask:0xf bank_mask:0xf
	s_delay_alu instid0(VALU_DEP_1) | instskip(NEXT) | instid1(VALU_DEP_1)
	v_add_f32_e32 v71, v71, v82
	v_mov_b32_dpp v17, v71 quad_perm:[2,3,0,1] row_mask:0xf bank_mask:0xf
	s_delay_alu instid0(VALU_DEP_1) | instskip(NEXT) | instid1(VALU_DEP_1)
	v_add_f32_e32 v17, v71, v17
	v_mov_b32_dpp v71, v17 row_xmask:7 row_mask:0xf bank_mask:0xf
	s_delay_alu instid0(VALU_DEP_1) | instskip(NEXT) | instid1(VALU_DEP_1)
	v_add_f32_e32 v17, v17, v71
	v_mov_b32_dpp v53, v17 row_xmask:15 row_mask:0xf bank_mask:0xf
	s_and_saveexec_b32 s1, s0
	s_cbranch_execz .LBB53_3
; %bb.2:
	s_delay_alu instid0(VALU_DEP_1) | instskip(SKIP_2) | instid1(VALU_DEP_2)
	v_add_f32_e32 v17, v17, v53
	s_mov_b32 s6, 0x76543210
	v_lshrrev_b32_e32 v31, 3, v0
	v_permlanex16_b32 v53, v17, s6, 0xfedcba98 op_sel:[1,1]
	s_delay_alu instid0(VALU_DEP_2) | instskip(NEXT) | instid1(VALU_DEP_2)
	v_and_b32_e32 v31, 0x7c, v31
	v_add_f32_e32 v17, v17, v53
	ds_store_b32 v31, v17 offset:32
.LBB53_3:
	s_or_b32 exec_lo, exec_lo, s1
	v_and_b32_e32 v17, 7, v0
	s_waitcnt vmcnt(0) lgkmcnt(0)
	s_waitcnt_vscnt null, 0x0
	s_barrier
	buffer_gl0_inv
	v_cvt_f32_i32_e32 v54, s13
	v_lshlrev_b32_e32 v17, 2, v17
	v_cvt_f32_f16_e32 v60, v12
	v_lshrrev_b32_e32 v12, 16, v12
	v_cvt_f32_f16_e32 v68, v4
	v_lshrrev_b32_e32 v4, 16, v4
	ds_load_b32 v31, v17 offset:32
	v_cvt_f32_f16_e32 v59, v11
	v_lshrrev_b32_e32 v11, 16, v11
	v_cvt_f32_f16_e32 v61, v5
	v_lshrrev_b32_e32 v5, 16, v5
	v_cvt_f32_f16_e32 v63, v7
	v_cvt_f32_f16_e32 v64, v8
	v_lshrrev_b32_e32 v8, 16, v8
	v_cvt_f32_f16_e32 v65, v1
	v_lshrrev_b32_e32 v1, 16, v1
	;; [unrolled: 2-line block ×3, first 2 shown]
	v_lshrrev_b32_e32 v7, 16, v7
	v_cvt_f32_f16_e32 v12, v12
	v_cvt_f32_f16_e32 v4, v4
	;; [unrolled: 1-line block ×3, first 2 shown]
	v_lshrrev_b32_e32 v6, 16, v6
	v_cvt_f32_f16_e32 v11, v11
	v_cvt_f32_f16_e32 v5, v5
	;; [unrolled: 1-line block ×3, first 2 shown]
	s_waitcnt lgkmcnt(0)
	v_mov_b32_dpp v53, v31 quad_perm:[1,0,3,2] row_mask:0xf bank_mask:0xf
	v_cvt_f32_f16_e32 v1, v1
	v_cvt_f32_f16_e32 v2, v2
	;; [unrolled: 1-line block ×4, first 2 shown]
	v_add_f32_e32 v31, v31, v53
	s_cmp_lg_u32 s18, 0
	s_delay_alu instid0(VALU_DEP_1) | instskip(NEXT) | instid1(VALU_DEP_1)
	v_mov_b32_dpp v53, v31 quad_perm:[2,3,0,1] row_mask:0xf bank_mask:0xf
	v_add_f32_e32 v31, v31, v53
	s_delay_alu instid0(VALU_DEP_1) | instskip(NEXT) | instid1(VALU_DEP_1)
	v_mov_b32_dpp v53, v31 row_xmask:7 row_mask:0xf bank_mask:0xf
	v_add_f32_e32 v31, v31, v53
	s_delay_alu instid0(VALU_DEP_1) | instskip(SKIP_1) | instid1(VALU_DEP_2)
	v_div_scale_f32 v53, null, v54, v54, v31
	v_div_scale_f32 v57, vcc_lo, v31, v54, v31
	v_rcp_f32_e32 v55, v53
	s_waitcnt_depctr 0xfff
	v_fma_f32 v56, -v53, v55, 1.0
	s_delay_alu instid0(VALU_DEP_1) | instskip(NEXT) | instid1(VALU_DEP_1)
	v_fmac_f32_e32 v55, v56, v55
	v_mul_f32_e32 v56, v57, v55
	s_delay_alu instid0(VALU_DEP_1) | instskip(NEXT) | instid1(VALU_DEP_1)
	v_fma_f32 v58, -v53, v56, v57
	v_fmac_f32_e32 v56, v58, v55
	v_cvt_f32_f16_e32 v58, v10
	v_lshrrev_b32_e32 v10, 16, v10
	s_delay_alu instid0(VALU_DEP_3) | instskip(SKIP_2) | instid1(VALU_DEP_4)
	v_fma_f32 v53, -v53, v56, v57
	v_cvt_f32_f16_e32 v57, v9
	v_lshrrev_b32_e32 v9, 16, v9
	v_cvt_f32_f16_e32 v10, v10
	s_delay_alu instid0(VALU_DEP_4)
	v_div_fmas_f32 v53, v53, v55, v56
	v_cvt_f32_f16_e32 v55, v15
	v_lshrrev_b32_e32 v15, 16, v15
	v_cvt_f32_f16_e32 v56, v16
	v_lshrrev_b32_e32 v16, 16, v16
	v_div_fixup_f32 v31, v53, v54, v31
	v_cvt_f32_f16_e32 v9, v9
	v_cvt_f32_f16_e32 v15, v15
	s_delay_alu instid0(VALU_DEP_4) | instskip(NEXT) | instid1(VALU_DEP_4)
	v_cvt_f32_f16_e32 v16, v16
	v_cvt_f64_f32_e32 v[53:54], v31
	s_delay_alu instid0(VALU_DEP_1) | instskip(NEXT) | instid1(VALU_DEP_1)
	v_add_f64 v[53:54], v[53:54], s[24:25]
	v_cvt_f32_f64_e32 v31, v[53:54]
	v_cvt_f32_f16_e32 v53, v13
	v_lshrrev_b32_e32 v13, 16, v13
	v_cvt_f32_f16_e32 v54, v14
	v_lshrrev_b32_e32 v14, 16, v14
	s_delay_alu instid0(VALU_DEP_3) | instskip(NEXT) | instid1(VALU_DEP_2)
	v_cvt_f32_f16_e32 v13, v13
	v_cvt_f32_f16_e32 v14, v14
	v_cmp_gt_f32_e32 vcc_lo, 0x800000, v31
	v_mul_f32_e32 v66, 0x4b800000, v31
	s_delay_alu instid0(VALU_DEP_1) | instskip(SKIP_2) | instid1(VALU_DEP_3)
	v_cndmask_b32_e32 v31, v31, v66, vcc_lo
	v_cvt_f32_f16_e32 v66, v3
	v_lshrrev_b32_e32 v3, 16, v3
	v_rsq_f32_e32 v31, v31
	s_delay_alu instid0(VALU_DEP_1) | instskip(SKIP_2) | instid1(VALU_DEP_1)
	v_cvt_f32_f16_e32 v3, v3
	s_waitcnt_depctr 0xfff
	v_mul_f32_e32 v70, 0x45800000, v31
	v_cndmask_b32_e32 v31, v31, v70, vcc_lo
	s_delay_alu instid0(VALU_DEP_1)
	v_dual_mov_b32 v69, 0x2edbe6ff :: v_dual_mul_f32 v32, v32, v31
	v_dual_mul_f32 v33, v33, v31 :: v_dual_mul_f32 v70, v31, v26
	v_dual_mul_f32 v37, v37, v31 :: v_dual_mul_f32 v40, v31, v40
	v_mul_f32_e32 v44, v31, v44
	v_dual_mul_f32 v34, v34, v31 :: v_dual_mul_f32 v21, v31, v21
	v_dual_mul_f32 v36, v36, v31 :: v_dual_mul_f32 v73, v31, v22
	;; [unrolled: 1-line block ×3, first 2 shown]
	v_mul_f32_e32 v35, v35, v31
	v_mul_f32_e32 v52, v31, v52
	v_dual_mul_f32 v38, v31, v38 :: v_dual_mul_f32 v25, v25, v31
	v_mul_f32_e32 v72, v31, v28
	v_mul_f32_e32 v74, v31, v23
	;; [unrolled: 1-line block ×7, first 2 shown]
	v_dual_mul_f32 v49, v31, v49 :: v_dual_mul_f32 v4, v52, v4
	v_dual_mul_f32 v50, v31, v50 :: v_dual_mul_f32 v21, v21, v12
	v_mul_f32_e32 v32, v32, v13
	v_mul_f32_e32 v41, v31, v41
	v_mul_f32_e32 v43, v31, v43
	v_mul_f32_e32 v75, v31, v24
	v_mul_f32_e32 v76, v31, v18
	v_mul_f32_e32 v77, v31, v19
	v_mul_f32_e32 v45, v31, v45
	v_dual_mul_f32 v46, v31, v46 :: v_dual_mul_f32 v23, v72, v11
	v_mul_f32_e32 v47, v31, v47
	v_dual_mul_f32 v48, v31, v48 :: v_dual_mul_f32 v19, v73, v61
	v_mul_f32_e32 v36, v36, v55
	v_mul_f32_e32 v51, v31, v51
	;; [unrolled: 1-line block ×10, first 2 shown]
	v_dual_mul_f32 v14, v78, v8 :: v_dual_mul_f32 v25, v71, v10
	v_and_b32_e32 v38, 0x7fffffff, v31
	v_mul_f32_e32 v10, v49, v1
	v_dual_mul_f32 v24, v40, v58 :: v_dual_and_b32 v1, 0x7fffffff, v33
	v_mul_f32_e32 v8, v50, v2
	v_and_b32_e32 v2, 0x7fffffff, v32
	;;#ASMSTART
	v_max3_f32 v1, v69, v1, v2

	;;#ASMEND
	v_mul_f32_e32 v22, v41, v59
	v_mul_f32_e32 v13, v77, v64
	v_and_b32_e32 v39, 0x7fffffff, v28
	;;#ASMSTART
	v_max3_f32 v1, v1, v38, v39

	;;#ASMEND
	v_and_b32_e32 v40, 0x7fffffff, v36
	v_and_b32_e32 v41, 0x7fffffff, v37
	;;#ASMSTART
	v_max3_f32 v1, v1, v40, v41

	;;#ASMEND
	v_mul_f32_e32 v16, v76, v7
	v_dual_mul_f32 v12, v43, v62 :: v_dual_mul_f32 v9, v45, v65
	v_and_b32_e32 v42, 0x7fffffff, v34
	v_and_b32_e32 v43, 0x7fffffff, v35
	;;#ASMSTART
	v_max3_f32 v1, v1, v42, v43

	;;#ASMEND
	v_mul_f32_e32 v11, v75, v6
	v_dual_mul_f32 v7, v46, v67 :: v_dual_and_b32 v46, 0x7fffffff, v24
	v_and_b32_e32 v44, 0x7fffffff, v26
	v_and_b32_e32 v45, 0x7fffffff, v27
	;;#ASMSTART
	v_max3_f32 v1, v1, v44, v45

	;;#ASMEND
	v_dual_mul_f32 v5, v47, v66 :: v_dual_and_b32 v50, 0x7fffffff, v20
	v_and_b32_e32 v47, 0x7fffffff, v25
	;;#ASMSTART
	v_max3_f32 v1, v1, v46, v47

	;;#ASMEND
	v_dual_mul_f32 v6, v51, v3 :: v_dual_mul_f32 v3, v48, v68
	v_and_b32_e32 v48, 0x7fffffff, v22
	v_and_b32_e32 v49, 0x7fffffff, v23
	;;#ASMSTART
	v_max3_f32 v1, v1, v48, v49

	;;#ASMEND
	v_and_b32_e32 v51, 0x7fffffff, v21
	;;#ASMSTART
	v_max3_f32 v1, v1, v50, v51

	;;#ASMEND
	v_and_b32_e32 v52, 0x7fffffff, v19
	v_and_b32_e32 v53, 0x7fffffff, v18
	;;#ASMSTART
	v_max3_f32 v1, v1, v52, v53

	;;#ASMEND
	v_and_b32_e32 v54, 0x7fffffff, v12
	;; [unrolled: 6-line block ×7, first 2 shown]
	v_and_b32_e32 v65, 0x7fffffff, v6
	v_and_b32_e32 v66, 0x7fffffff, v3
	;; [unrolled: 1-line block ×3, first 2 shown]
	;;#ASMSTART
	v_max3_f32 v1, v1, v64, v65

	;;#ASMEND
	;;#ASMSTART
	v_max3_f32 v38, v1, v66, v67

	;;#ASMEND
	s_cbranch_scc0 .LBB53_10
; %bb.4:
	s_ashr_i32 s11, s18, 31
	s_delay_alu instid0(SALU_CYCLE_1) | instskip(NEXT) | instid1(SALU_CYCLE_1)
	s_lshr_b32 s1, s11, 27
	s_add_i32 s1, s18, s1
	s_delay_alu instid0(SALU_CYCLE_1) | instskip(NEXT) | instid1(SALU_CYCLE_1)
	s_ashr_i32 s1, s1, 5
	s_cmp_lt_i32 s1, 8
	s_cbranch_scc1 .LBB53_11
; %bb.5:
	s_cmp_lt_i32 s1, 16
	s_cbranch_scc1 .LBB53_12
; %bb.6:
	;; [unrolled: 3-line block ×3, first 2 shown]
	v_mov_b32_e32 v1, v38
	s_cmp_eq_u32 s1, 32
	s_cbranch_scc0 .LBB53_9
; %bb.8:
	s_delay_alu instid0(VALU_DEP_1) | instskip(SKIP_1) | instid1(VALU_DEP_1)
	v_mov_b32_dpp v1, v38 quad_perm:[1,0,3,2] row_mask:0xf bank_mask:0xf
	s_mov_b32 s6, 0x76543210
	v_cmp_gt_f32_e32 vcc_lo, v38, v1
	v_cndmask_b32_e32 v1, v1, v38, vcc_lo
	s_delay_alu instid0(VALU_DEP_1) | instskip(NEXT) | instid1(VALU_DEP_1)
	v_mov_b32_dpp v2, v1 quad_perm:[2,3,0,1] row_mask:0xf bank_mask:0xf
	v_cmp_gt_f32_e32 vcc_lo, v1, v2
	v_cndmask_b32_e32 v1, v2, v1, vcc_lo
	s_delay_alu instid0(VALU_DEP_1) | instskip(NEXT) | instid1(VALU_DEP_1)
	v_mov_b32_dpp v2, v1 row_xmask:7 row_mask:0xf bank_mask:0xf
	v_cmp_gt_f32_e32 vcc_lo, v1, v2
	v_cndmask_b32_e32 v1, v2, v1, vcc_lo
	s_delay_alu instid0(VALU_DEP_1) | instskip(NEXT) | instid1(VALU_DEP_1)
	v_mov_b32_dpp v2, v1 row_xmask:15 row_mask:0xf bank_mask:0xf
	v_cmp_gt_f32_e32 vcc_lo, v1, v2
	v_cndmask_b32_e32 v1, v2, v1, vcc_lo
	s_delay_alu instid0(VALU_DEP_1) | instskip(NEXT) | instid1(VALU_DEP_1)
	v_permlanex16_b32 v2, v1, s6, 0xfedcba98 op_sel:[1,1]
	v_cmp_gt_f32_e32 vcc_lo, v1, v2
	v_cndmask_b32_e32 v1, v2, v1, vcc_lo
.LBB53_9:
	s_mov_b32 s6, 0
	s_branch .LBB53_14
.LBB53_10:
	s_mov_b32 s1, 0
                                        ; implicit-def: $vgpr30
                                        ; implicit-def: $vgpr1_vgpr2
	s_and_b32 vcc_lo, exec_lo, s31
	s_cbranch_vccnz .LBB53_38
	s_branch .LBB53_41
.LBB53_11:
                                        ; implicit-def: $vgpr1
	s_branch .LBB53_21
.LBB53_12:
                                        ; implicit-def: $vgpr1
	s_branch .LBB53_18
.LBB53_13:
	s_mov_b32 s6, -1
                                        ; implicit-def: $vgpr1
.LBB53_14:
	s_delay_alu instid0(SALU_CYCLE_1)
	s_and_not1_b32 vcc_lo, exec_lo, s6
	s_cbranch_vccnz .LBB53_17
; %bb.15:
	v_mov_b32_e32 v1, v38
	s_cmp_eq_u32 s1, 16
	s_cbranch_scc0 .LBB53_17
; %bb.16:
	s_delay_alu instid0(VALU_DEP_1) | instskip(NEXT) | instid1(VALU_DEP_1)
	v_mov_b32_dpp v1, v38 quad_perm:[1,0,3,2] row_mask:0xf bank_mask:0xf
	v_cmp_gt_f32_e32 vcc_lo, v38, v1
	v_cndmask_b32_e32 v1, v1, v38, vcc_lo
	s_delay_alu instid0(VALU_DEP_1) | instskip(NEXT) | instid1(VALU_DEP_1)
	v_mov_b32_dpp v2, v1 quad_perm:[2,3,0,1] row_mask:0xf bank_mask:0xf
	v_cmp_gt_f32_e32 vcc_lo, v1, v2
	v_cndmask_b32_e32 v1, v2, v1, vcc_lo
	s_delay_alu instid0(VALU_DEP_1) | instskip(NEXT) | instid1(VALU_DEP_1)
	v_mov_b32_dpp v2, v1 row_half_mirror row_mask:0xf bank_mask:0xf
	v_cmp_gt_f32_e32 vcc_lo, v1, v2
	v_cndmask_b32_e32 v1, v2, v1, vcc_lo
	s_delay_alu instid0(VALU_DEP_1) | instskip(NEXT) | instid1(VALU_DEP_1)
	v_mov_b32_dpp v2, v1 row_mirror row_mask:0xf bank_mask:0xf
	v_cmp_gt_f32_e32 vcc_lo, v1, v2
	v_cndmask_b32_e32 v1, v2, v1, vcc_lo
.LBB53_17:
	s_cbranch_execnz .LBB53_20
.LBB53_18:
	v_mov_b32_e32 v1, v38
	s_cmp_eq_u32 s1, 8
	s_cbranch_scc0 .LBB53_20
; %bb.19:
	s_delay_alu instid0(VALU_DEP_1) | instskip(NEXT) | instid1(VALU_DEP_1)
	v_mov_b32_dpp v1, v38 quad_perm:[1,0,3,2] row_mask:0xf bank_mask:0xf
	v_cmp_gt_f32_e32 vcc_lo, v38, v1
	v_cndmask_b32_e32 v1, v1, v38, vcc_lo
	s_delay_alu instid0(VALU_DEP_1) | instskip(NEXT) | instid1(VALU_DEP_1)
	v_mov_b32_dpp v2, v1 quad_perm:[2,3,0,1] row_mask:0xf bank_mask:0xf
	v_cmp_gt_f32_e32 vcc_lo, v1, v2
	v_cndmask_b32_e32 v1, v2, v1, vcc_lo
	s_delay_alu instid0(VALU_DEP_1) | instskip(NEXT) | instid1(VALU_DEP_1)
	v_mov_b32_dpp v2, v1 row_half_mirror row_mask:0xf bank_mask:0xf
	v_cmp_gt_f32_e32 vcc_lo, v1, v2
	v_cndmask_b32_e32 v1, v2, v1, vcc_lo
.LBB53_20:
	s_cbranch_execnz .LBB53_28
.LBB53_21:
	s_cmp_lt_i32 s1, 4
	s_cbranch_scc1 .LBB53_24
; %bb.22:
	v_mov_b32_e32 v1, v38
	s_cmp_eq_u32 s1, 4
	s_cbranch_scc0 .LBB53_25
; %bb.23:
	s_delay_alu instid0(VALU_DEP_1) | instskip(NEXT) | instid1(VALU_DEP_1)
	v_mov_b32_dpp v1, v38 quad_perm:[1,0,3,2] row_mask:0xf bank_mask:0xf
	v_cmp_gt_f32_e32 vcc_lo, v38, v1
	v_cndmask_b32_e32 v1, v1, v38, vcc_lo
	s_delay_alu instid0(VALU_DEP_1) | instskip(NEXT) | instid1(VALU_DEP_1)
	v_mov_b32_dpp v2, v1 quad_perm:[2,3,0,1] row_mask:0xf bank_mask:0xf
	v_cmp_gt_f32_e32 vcc_lo, v1, v2
	v_cndmask_b32_e32 v1, v2, v1, vcc_lo
	s_cbranch_execz .LBB53_26
	s_branch .LBB53_28
.LBB53_24:
                                        ; implicit-def: $vgpr1
	s_branch .LBB53_26
.LBB53_25:
	s_cbranch_execnz .LBB53_28
.LBB53_26:
	v_mov_b32_e32 v1, v38
	s_cmp_lg_u32 s1, 2
	s_cbranch_scc1 .LBB53_28
; %bb.27:
	s_delay_alu instid0(VALU_DEP_1) | instskip(NEXT) | instid1(VALU_DEP_1)
	v_mov_b32_dpp v1, v38 quad_perm:[1,0,3,2] row_mask:0xf bank_mask:0xf
	v_cmp_gt_f32_e32 vcc_lo, v38, v1
	v_cndmask_b32_e32 v1, v1, v38, vcc_lo
.LBB53_28:
	v_cvt_f32_u32_e32 v2, s1
	s_sub_i32 s6, 0, s1
	s_mov_b32 s31, 0
	s_delay_alu instid0(VALU_DEP_1) | instskip(SKIP_2) | instid1(VALU_DEP_1)
	v_rcp_iflag_f32_e32 v2, v2
	s_waitcnt_depctr 0xfff
	v_mul_f32_e32 v2, 0x4f7ffffe, v2
	v_cvt_u32_f32_e32 v2, v2
	s_delay_alu instid0(VALU_DEP_1) | instskip(NEXT) | instid1(VALU_DEP_1)
	v_mul_lo_u32 v39, s6, v2
	v_mul_hi_u32 v39, v2, v39
	s_delay_alu instid0(VALU_DEP_1) | instskip(NEXT) | instid1(VALU_DEP_1)
	v_add_nc_u32_e32 v2, v2, v39
	v_mul_hi_u32 v2, v0, v2
	s_delay_alu instid0(VALU_DEP_1) | instskip(SKIP_1) | instid1(VALU_DEP_2)
	v_mul_lo_u32 v39, v2, s1
	v_add_nc_u32_e32 v40, 1, v2
	v_sub_nc_u32_e32 v39, v0, v39
	s_delay_alu instid0(VALU_DEP_1) | instskip(SKIP_1) | instid1(VALU_DEP_2)
	v_subrev_nc_u32_e32 v41, s1, v39
	v_cmp_le_u32_e32 vcc_lo, s1, v39
	v_dual_cndmask_b32 v39, v39, v41 :: v_dual_cndmask_b32 v2, v2, v40
	s_delay_alu instid0(VALU_DEP_1) | instskip(NEXT) | instid1(VALU_DEP_2)
	v_cmp_le_u32_e32 vcc_lo, s1, v39
	v_add_nc_u32_e32 v40, 1, v2
	s_delay_alu instid0(VALU_DEP_1) | instskip(SKIP_2) | instid1(VALU_DEP_3)
	v_cndmask_b32_e32 v39, v2, v40, vcc_lo
	v_cmp_gt_u32_e32 vcc_lo, s13, v30
	v_mul_f32_e32 v30, 0x3c010204, v1
	v_mul_lo_u32 v2, v39, s1
	s_delay_alu instid0(VALU_DEP_1) | instskip(NEXT) | instid1(VALU_DEP_1)
	v_sub_nc_u32_e32 v2, v0, v2
	v_cmp_eq_u32_e64 s1, 0, v2
                                        ; implicit-def: $vgpr1_vgpr2
	s_delay_alu instid0(VALU_DEP_1) | instskip(SKIP_2) | instid1(SALU_CYCLE_1)
	s_and_b32 s6, s1, vcc_lo
	s_mov_b32 s1, 0
	s_and_saveexec_b32 s7, s6
	s_xor_b32 s16, exec_lo, s7
	s_cbranch_execz .LBB53_37
; %bb.29:
	s_bitcmp0_b32 s19, 0
	s_mov_b32 s10, 0
	s_cbranch_scc0 .LBB53_34
; %bb.30:
	s_ashr_i32 s1, s13, 31
	s_mul_hi_u32 s7, s13, s2
	s_mul_i32 s1, s1, s2
	s_mul_i32 s6, s13, s2
	s_add_i32 s7, s7, s1
	s_mov_b32 s19, s11
	s_delay_alu instid0(SALU_CYCLE_1) | instskip(NEXT) | instid1(SALU_CYCLE_1)
	s_or_b64 s[14:15], s[6:7], s[18:19]
	s_mov_b32 s11, s15
	s_delay_alu instid0(SALU_CYCLE_1)
	s_cmp_lg_u64 s[10:11], 0
	s_cbranch_scc0 .LBB53_45
; %bb.31:
	s_add_u32 s14, s18, s19
	s_mov_b32 s10, s19
	s_mov_b32 s11, s19
	s_addc_u32 s15, s19, s19
	s_delay_alu instid0(SALU_CYCLE_1) | instskip(NEXT) | instid1(SALU_CYCLE_1)
	s_xor_b64 s[14:15], s[14:15], s[10:11]
	v_cvt_f32_u32_e32 v1, s14
	v_cvt_f32_u32_e32 v2, s15
	s_sub_u32 s20, 0, s14
	s_subb_u32 s21, 0, s15
	s_delay_alu instid0(VALU_DEP_1) | instskip(NEXT) | instid1(VALU_DEP_1)
	v_fmamk_f32 v1, v2, 0x4f800000, v1
	v_rcp_f32_e32 v1, v1
	s_waitcnt_depctr 0xfff
	v_mul_f32_e32 v1, 0x5f7ffffc, v1
	s_delay_alu instid0(VALU_DEP_1) | instskip(NEXT) | instid1(VALU_DEP_1)
	v_mul_f32_e32 v2, 0x2f800000, v1
	v_trunc_f32_e32 v2, v2
	s_delay_alu instid0(VALU_DEP_1) | instskip(SKIP_1) | instid1(VALU_DEP_2)
	v_fmamk_f32 v1, v2, 0xcf800000, v1
	v_cvt_u32_f32_e32 v2, v2
	v_cvt_u32_f32_e32 v1, v1
	s_delay_alu instid0(VALU_DEP_2) | instskip(NEXT) | instid1(VALU_DEP_2)
	v_readfirstlane_b32 s1, v2
	v_readfirstlane_b32 s19, v1
	s_delay_alu instid0(VALU_DEP_2) | instskip(NEXT) | instid1(VALU_DEP_1)
	s_mul_i32 s22, s20, s1
	s_mul_hi_u32 s24, s20, s19
	s_mul_i32 s23, s21, s19
	s_add_i32 s22, s24, s22
	s_mul_i32 s25, s20, s19
	s_add_i32 s22, s22, s23
	s_mul_hi_u32 s24, s19, s25
	s_mul_hi_u32 s26, s1, s25
	s_mul_i32 s23, s1, s25
	s_mul_hi_u32 s25, s19, s22
	s_mul_i32 s19, s19, s22
	s_mul_hi_u32 s27, s1, s22
	s_add_u32 s19, s24, s19
	s_addc_u32 s24, 0, s25
	s_add_u32 s19, s19, s23
	s_mul_i32 s22, s1, s22
	s_addc_u32 s19, s24, s26
	s_addc_u32 s23, s27, 0
	s_add_u32 s19, s19, s22
	s_addc_u32 s22, 0, s23
	v_add_co_u32 v1, s19, v1, s19
	s_delay_alu instid0(VALU_DEP_1) | instskip(SKIP_1) | instid1(VALU_DEP_1)
	s_cmp_lg_u32 s19, 0
	s_addc_u32 s1, s1, s22
	v_readfirstlane_b32 s19, v1
	s_mul_i32 s22, s20, s1
	s_delay_alu instid0(VALU_DEP_1)
	s_mul_hi_u32 s23, s20, s19
	s_mul_i32 s21, s21, s19
	s_add_i32 s22, s23, s22
	s_mul_i32 s20, s20, s19
	s_add_i32 s22, s22, s21
	s_mul_hi_u32 s23, s1, s20
	s_mul_i32 s24, s1, s20
	s_mul_hi_u32 s20, s19, s20
	s_mul_hi_u32 s25, s19, s22
	s_mul_i32 s19, s19, s22
	s_mul_hi_u32 s21, s1, s22
	s_add_u32 s19, s20, s19
	s_addc_u32 s20, 0, s25
	s_add_u32 s19, s19, s24
	s_mul_i32 s22, s1, s22
	s_addc_u32 s19, s20, s23
	s_addc_u32 s20, s21, 0
	s_add_u32 s19, s19, s22
	s_addc_u32 s20, 0, s20
	v_add_co_u32 v1, s19, v1, s19
	s_delay_alu instid0(VALU_DEP_1) | instskip(SKIP_2) | instid1(SALU_CYCLE_1)
	s_cmp_lg_u32 s19, 0
	s_addc_u32 s1, s1, s20
	s_ashr_i32 s20, s7, 31
	s_add_u32 s22, s6, s20
	s_addc_u32 s23, s7, s20
	v_readfirstlane_b32 s7, v1
	s_mov_b32 s21, s20
	s_delay_alu instid0(SALU_CYCLE_1) | instskip(NEXT) | instid1(SALU_CYCLE_1)
	s_xor_b64 s[22:23], s[22:23], s[20:21]
	s_mul_i32 s24, s22, s1
	s_delay_alu instid0(VALU_DEP_1)
	s_mul_hi_u32 s25, s22, s7
	s_mul_hi_u32 s19, s22, s1
	;; [unrolled: 1-line block ×3, first 2 shown]
	s_mul_i32 s7, s23, s7
	s_add_u32 s24, s25, s24
	s_addc_u32 s19, 0, s19
	s_mul_hi_u32 s26, s23, s1
	s_add_u32 s7, s24, s7
	s_mul_i32 s1, s23, s1
	s_addc_u32 s7, s19, s27
	s_addc_u32 s19, s26, 0
	s_add_u32 s7, s7, s1
	s_addc_u32 s19, 0, s19
	s_mul_i32 s26, s14, s7
	s_mul_hi_u32 s1, s14, s7
	s_mul_i32 s25, s14, s19
	v_sub_co_u32 v1, s22, s22, s26
	s_mul_i32 s24, s15, s7
	s_add_i32 s1, s1, s25
	s_delay_alu instid0(SALU_CYCLE_1) | instskip(NEXT) | instid1(VALU_DEP_1)
	s_add_i32 s1, s1, s24
	v_sub_co_u32 v2, s25, v1, s14
	s_sub_i32 s24, s23, s1
	s_cmp_lg_u32 s22, 0
	s_subb_u32 s24, s24, s15
	s_cmp_lg_u32 s25, 0
	v_cmp_le_u32_e32 vcc_lo, s14, v2
	s_subb_u32 s24, s24, 0
	s_delay_alu instid0(SALU_CYCLE_1)
	s_cmp_ge_u32 s24, s15
	v_cndmask_b32_e64 v2, 0, -1, vcc_lo
	s_cselect_b32 s25, -1, 0
	s_cmp_eq_u32 s24, s15
	s_cselect_b32 vcc_lo, -1, 0
	s_add_u32 s24, s7, 1
	v_cndmask_b32_e32 v2, s25, v2, vcc_lo
	s_addc_u32 s25, s19, 0
	s_add_u32 s26, s7, 2
	s_addc_u32 s27, s19, 0
	s_cmp_lg_u32 s22, 0
	v_cmp_le_u32_e32 vcc_lo, s14, v1
	s_subb_u32 s1, s23, s1
	v_mov_b32_e32 v40, s26
	s_cmp_ge_u32 s1, s15
	v_cndmask_b32_e64 v1, 0, -1, vcc_lo
	s_cselect_b32 s14, -1, 0
	s_cmp_eq_u32 s1, s15
	v_cmp_ne_u32_e32 vcc_lo, 0, v2
	v_mov_b32_e32 v2, s27
	s_cselect_b32 s1, -1, 0
	s_xor_b64 s[10:11], s[20:21], s[10:11]
	v_cndmask_b32_e64 v1, s14, v1, s1
	v_cndmask_b32_e32 v40, s24, v40, vcc_lo
	v_cndmask_b32_e32 v2, s25, v2, vcc_lo
	s_delay_alu instid0(VALU_DEP_3) | instskip(NEXT) | instid1(VALU_DEP_2)
	v_cmp_ne_u32_e32 vcc_lo, 0, v1
	v_cndmask_b32_e32 v1, s19, v2, vcc_lo
	s_delay_alu instid0(VALU_DEP_4) | instskip(NEXT) | instid1(VALU_DEP_2)
	v_cndmask_b32_e32 v2, s7, v40, vcc_lo
	v_xor_b32_e32 v40, s11, v1
	s_delay_alu instid0(VALU_DEP_2) | instskip(NEXT) | instid1(VALU_DEP_1)
	v_xor_b32_e32 v2, s10, v2
	v_sub_co_u32 v1, vcc_lo, v2, s10
	s_delay_alu instid0(VALU_DEP_3)
	v_subrev_co_ci_u32_e32 v2, vcc_lo, s11, v40, vcc_lo
	s_cbranch_execnz .LBB53_33
.LBB53_32:
	v_cvt_f32_u32_e32 v1, s18
	s_sub_i32 s7, 0, s18
	s_delay_alu instid0(VALU_DEP_1) | instskip(SKIP_2) | instid1(VALU_DEP_1)
	v_rcp_iflag_f32_e32 v1, v1
	s_waitcnt_depctr 0xfff
	v_mul_f32_e32 v1, 0x4f7ffffe, v1
	v_cvt_u32_f32_e32 v1, v1
	s_delay_alu instid0(VALU_DEP_1) | instskip(NEXT) | instid1(VALU_DEP_1)
	v_readfirstlane_b32 s1, v1
	s_mul_i32 s7, s7, s1
	s_delay_alu instid0(SALU_CYCLE_1) | instskip(NEXT) | instid1(SALU_CYCLE_1)
	s_mul_hi_u32 s7, s1, s7
	s_add_i32 s1, s1, s7
	s_delay_alu instid0(SALU_CYCLE_1) | instskip(NEXT) | instid1(SALU_CYCLE_1)
	s_mul_hi_u32 s1, s6, s1
	s_mul_i32 s7, s1, s18
	s_delay_alu instid0(SALU_CYCLE_1)
	s_sub_i32 s6, s6, s7
	s_add_i32 s7, s1, 1
	s_sub_i32 s10, s6, s18
	s_cmp_ge_u32 s6, s18
	s_cselect_b32 s1, s7, s1
	s_cselect_b32 s6, s10, s6
	s_add_i32 s10, s1, 1
	s_cmp_ge_u32 s6, s18
	s_mov_b32 s7, 0
	s_cselect_b32 s6, s10, s1
	s_delay_alu instid0(SALU_CYCLE_1)
	v_dual_mov_b32 v1, s6 :: v_dual_mov_b32 v2, s7
.LBB53_33:
	s_delay_alu instid0(VALU_DEP_1) | instskip(NEXT) | instid1(VALU_DEP_2)
	v_add_co_u32 v1, vcc_lo, v1, v39
	v_add_co_ci_u32_e32 v2, vcc_lo, 0, v2, vcc_lo
	s_branch .LBB53_36
.LBB53_34:
                                        ; implicit-def: $vgpr1_vgpr2
	s_cbranch_execz .LBB53_36
; %bb.35:
	v_mul_lo_u32 v1, v39, s12
	s_delay_alu instid0(VALU_DEP_1) | instskip(SKIP_1) | instid1(VALU_DEP_2)
	v_ashrrev_i32_e32 v2, 31, v1
	v_add_co_u32 v1, vcc_lo, v1, s2
	v_add_co_ci_u32_e32 v2, vcc_lo, 0, v2, vcc_lo
.LBB53_36:
	s_mov_b32 s1, exec_lo
.LBB53_37:
	s_or_b32 exec_lo, exec_lo, s16
	s_delay_alu instid0(SALU_CYCLE_1)
	s_and_b32 vcc_lo, exec_lo, s31
	s_cbranch_vccz .LBB53_41
.LBB53_38:
	v_mov_b32_dpp v1, v38 quad_perm:[1,0,3,2] row_mask:0xf bank_mask:0xf
	s_delay_alu instid0(VALU_DEP_1) | instskip(SKIP_1) | instid1(VALU_DEP_1)
	v_cmp_gt_f32_e32 vcc_lo, v38, v1
	v_cndmask_b32_e32 v1, v1, v38, vcc_lo
	v_mov_b32_dpp v2, v1 quad_perm:[2,3,0,1] row_mask:0xf bank_mask:0xf
	s_delay_alu instid0(VALU_DEP_1) | instskip(SKIP_1) | instid1(VALU_DEP_1)
	v_cmp_gt_f32_e32 vcc_lo, v1, v2
	v_cndmask_b32_e32 v1, v2, v1, vcc_lo
	v_mov_b32_dpp v2, v1 row_xmask:7 row_mask:0xf bank_mask:0xf
	s_delay_alu instid0(VALU_DEP_1) | instskip(SKIP_1) | instid1(VALU_DEP_1)
	v_cmp_gt_f32_e32 vcc_lo, v1, v2
	v_cndmask_b32_e32 v1, v2, v1, vcc_lo
	v_mov_b32_dpp v2, v1 row_xmask:15 row_mask:0xf bank_mask:0xf
	s_delay_alu instid0(VALU_DEP_1)
	v_cmp_gt_f32_e32 vcc_lo, v1, v2
	s_and_saveexec_b32 s1, s0
	s_cbranch_execz .LBB53_40
; %bb.39:
	v_cndmask_b32_e32 v1, v2, v1, vcc_lo
	v_lshrrev_b32_e32 v2, 3, v0
	s_mov_b32 s0, 0x76543210
	s_delay_alu instid0(VALU_DEP_1) | instskip(NEXT) | instid1(VALU_DEP_3)
	v_and_b32_e32 v2, 0x7c, v2
	v_permlanex16_b32 v30, v1, s0, 0xfedcba98 op_sel:[1,1]
	s_delay_alu instid0(VALU_DEP_1)
	v_cmp_gt_f32_e32 vcc_lo, v1, v30
	v_cndmask_b32_e32 v1, v30, v1, vcc_lo
	ds_store_b32 v2, v1
.LBB53_40:
	s_or_b32 exec_lo, exec_lo, s1
	s_waitcnt lgkmcnt(0)
	s_barrier
	buffer_gl0_inv
	ds_load_b32 v1, v17
	v_cmp_eq_u32_e64 s1, 0, v0
	s_waitcnt lgkmcnt(0)
	v_mov_b32_dpp v2, v1 quad_perm:[1,0,3,2] row_mask:0xf bank_mask:0xf
	s_delay_alu instid0(VALU_DEP_1) | instskip(SKIP_1) | instid1(VALU_DEP_1)
	v_cmp_gt_f32_e32 vcc_lo, v1, v2
	v_cndmask_b32_e32 v1, v2, v1, vcc_lo
	v_mov_b32_dpp v2, v1 quad_perm:[2,3,0,1] row_mask:0xf bank_mask:0xf
	s_delay_alu instid0(VALU_DEP_1) | instskip(SKIP_1) | instid1(VALU_DEP_1)
	v_cmp_gt_f32_e32 vcc_lo, v1, v2
	v_cndmask_b32_e32 v1, v2, v1, vcc_lo
	v_mov_b32_dpp v2, v1 row_xmask:7 row_mask:0xf bank_mask:0xf
	s_delay_alu instid0(VALU_DEP_1) | instskip(SKIP_1) | instid1(VALU_DEP_1)
	v_cmp_gt_f32_e32 vcc_lo, v1, v2
	v_cndmask_b32_e32 v1, v2, v1, vcc_lo
	v_dual_mul_f32 v30, 0x3c010204, v1 :: v_dual_mov_b32 v1, s2
	v_mov_b32_e32 v2, s3
.LBB53_41:
	s_and_saveexec_b32 s0, s1
	s_cbranch_execz .LBB53_43
; %bb.42:
	s_delay_alu instid0(VALU_DEP_1) | instskip(NEXT) | instid1(VALU_DEP_1)
	v_lshlrev_b64 v[0:1], 2, v[1:2]
	v_add_co_u32 v0, vcc_lo, s8, v0
	s_delay_alu instid0(VALU_DEP_2)
	v_add_co_ci_u32_e32 v1, vcc_lo, s9, v1, vcc_lo
	global_store_b32 v[0:1], v30, off
.LBB53_43:
	s_or_b32 exec_lo, exec_lo, s0
	;;#ASMSTART
	v_rcp_f32 v2, v30
	;;#ASMEND
	v_mul_f32_e32 v30, v2, v34
	v_mul_f32_e32 v0, v2, v37
	;; [unrolled: 1-line block ×4, first 2 shown]
	s_add_i32 s0, s13, 3
	v_cvt_i32_f32_e32 v30, v30
	v_mul_f32_e32 v1, v2, v36
	v_cvt_i32_f32_e32 v0, v0
	v_cvt_i32_f32_e32 v13, v13
	v_mul_f32_e32 v22, v2, v22
	v_and_b32_e32 v30, 0xff, v30
	v_cvt_i32_f32_e32 v1, v1
	v_lshlrev_b16 v0, 8, v0
	v_and_b32_e32 v13, 0xff, v13
	v_cvt_i32_f32_e32 v22, v22
	v_mul_f32_e32 v31, v2, v31
	v_and_b32_e32 v1, 0xff, v1
	v_cvt_i32_f32_e32 v9, v9
	v_mul_f32_e32 v14, v2, v14
	v_and_b32_e32 v22, 0xff, v22
	v_cvt_i32_f32_e32 v31, v31
	v_or_b32_e32 v0, v1, v0
	v_and_b32_e32 v9, 0xff, v9
	v_mul_f32_e32 v33, v2, v33
	s_ashr_i32 s3, s0, 31
	s_ashr_i32 s1, s17, 31
	v_and_b32_e32 v0, 0xffff, v0
	s_lshr_b32 s3, s3, 30
	v_cvt_i32_f32_e32 v33, v33
	v_mul_f32_e32 v17, v2, v35
	v_cvt_i32_f32_e32 v14, v14
	s_mul_hi_u32 s6, s17, s2
	s_add_i32 s0, s0, s3
	s_mul_i32 s1, s1, s2
	v_cvt_i32_f32_e32 v17, v17
	s_mul_i32 s7, s17, s2
	s_and_b32 s2, s0, -4
	s_add_i32 s6, s6, s1
	s_add_u32 s0, s4, s7
	v_lshlrev_b16 v17, 8, v17
	v_lshlrev_b16 v14, 8, v14
	v_mul_f32_e32 v5, v2, v5
	s_addc_u32 s1, s5, s6
	s_mov_b32 s3, -1
	v_or_b32_e32 v1, v30, v17
	v_mul_f32_e32 v32, v2, v32
	v_dual_mul_f32 v17, v2, v28 :: v_dual_and_b32 v30, 0xff, v33
	s_and_b32 s1, s1, 0xffff
	s_delay_alu instid0(VALU_DEP_3) | instskip(NEXT) | instid1(VALU_DEP_3)
	v_lshlrev_b32_e32 v1, 16, v1
	v_cvt_i32_f32_e32 v32, v32
	v_or_b32_e32 v13, v13, v14
	v_cvt_i32_f32_e32 v5, v5
	v_mul_f32_e32 v16, v2, v16
	v_or_b32_e32 v1, v0, v1
	v_lshlrev_b16 v28, 8, v32
	v_mul_f32_e32 v0, v2, v26
	v_dual_mul_f32 v26, v2, v27 :: v_dual_and_b32 v5, 0xff, v5
	v_cvt_i32_f32_e32 v16, v16
	s_delay_alu instid0(VALU_DEP_4) | instskip(SKIP_1) | instid1(VALU_DEP_4)
	v_or_b32_e32 v28, v30, v28
	v_mul_f32_e32 v6, v2, v6
	v_cvt_i32_f32_e32 v26, v26
	v_mul_f32_e32 v12, v2, v12
	v_lshlrev_b16 v16, 8, v16
	v_and_b32_e32 v27, 0xffff, v28
	v_and_b32_e32 v28, 0xff, v31
	v_cvt_i32_f32_e32 v17, v17
	v_lshlrev_b16 v26, 8, v26
	v_cvt_i32_f32_e32 v6, v6
	v_mul_f32_e32 v8, v2, v8
	v_mul_f32_e32 v4, v2, v4
	v_lshlrev_b16 v17, 8, v17
	s_movk_i32 s4, 0x100
	v_lshlrev_b16 v6, 8, v6
	v_mul_f32_e32 v15, v2, v15
	v_lshlrev_b32_e32 v13, 16, v13
	v_or_b32_e32 v17, v28, v17
	v_cvt_i32_f32_e32 v4, v4
	v_or_b32_e32 v5, v5, v6
	v_mul_f32_e32 v10, v2, v10
	v_cvt_i32_f32_e32 v15, v15
	v_lshlrev_b32_e32 v17, 16, v17
	v_cvt_i32_f32_e32 v0, v0
	v_and_b32_e32 v5, 0xffff, v5
	v_mul_f32_e32 v23, v2, v23
	v_dual_mul_f32 v24, v2, v24 :: v_dual_and_b32 v15, 0xff, v15
	s_delay_alu instid0(VALU_DEP_4) | instskip(SKIP_1) | instid1(VALU_DEP_4)
	v_and_b32_e32 v0, 0xff, v0
	v_cvt_i32_f32_e32 v10, v10
	v_cvt_i32_f32_e32 v23, v23
	s_delay_alu instid0(VALU_DEP_4)
	v_cvt_i32_f32_e32 v24, v24
	v_mul_f32_e32 v21, v2, v21
	v_or_b32_e32 v0, v0, v26
	v_lshlrev_b16 v4, 8, v4
	v_lshlrev_b16 v23, 8, v23
	v_and_b32_e32 v24, 0xff, v24
	v_or_b32_e32 v15, v15, v16
	v_mul_f32_e32 v20, v2, v20
	v_cvt_i32_f32_e32 v21, v21
	v_or_b32_e32 v22, v22, v23
	v_and_b32_e32 v23, 0xffff, v0
	v_or_b32_e32 v0, v27, v17
	v_mul_f32_e32 v11, v2, v11
	v_lshlrev_b16 v21, 8, v21
	v_dual_mul_f32 v7, v2, v7 :: v_dual_and_b32 v22, 0xffff, v22
	buffer_store_b64 v[0:1], v29, s[0:3], 0 offen
	v_mul_f32_e32 v0, v2, v19
	v_cvt_i32_f32_e32 v11, v11
	;;#ASMSTART
	s_nop 0
	;;#ASMEND
	s_delay_alu instid0(VALU_DEP_2) | instskip(SKIP_1) | instid1(VALU_DEP_3)
	v_cvt_i32_f32_e32 v0, v0
	v_mul_f32_e32 v1, v2, v18
	v_lshlrev_b16 v11, 8, v11
	s_delay_alu instid0(VALU_DEP_3) | instskip(NEXT) | instid1(VALU_DEP_3)
	v_and_b32_e32 v0, 0xff, v0
	v_cvt_i32_f32_e32 v1, v1
	s_delay_alu instid0(VALU_DEP_1) | instskip(NEXT) | instid1(VALU_DEP_1)
	v_lshlrev_b16 v1, 8, v1
	v_or_b32_e32 v0, v0, v1
	v_and_b32_e32 v1, 0xffff, v15
	v_cvt_i32_f32_e32 v20, v20
	v_mul_f32_e32 v25, v2, v25
	v_mul_f32_e32 v2, v2, v3
	v_cvt_i32_f32_e32 v3, v7
	v_cvt_i32_f32_e32 v7, v8
	v_and_b32_e32 v20, 0xff, v20
	v_cvt_i32_f32_e32 v25, v25
	v_cvt_i32_f32_e32 v2, v2
	v_lshlrev_b16 v8, 8, v10
	v_and_b32_e32 v0, 0xffff, v0
	v_or_b32_e32 v20, v20, v21
	v_lshlrev_b16 v25, 8, v25
	v_or_b32_e32 v1, v1, v13
	v_and_b32_e32 v3, 0xff, v3
	v_cvt_i32_f32_e32 v12, v12
	v_lshlrev_b32_e32 v20, 16, v20
	v_or_b32_e32 v21, v24, v25
	v_and_b32_e32 v2, 0xff, v2
	v_lshlrev_b16 v7, 8, v7
	v_and_b32_e32 v12, 0xff, v12
	s_delay_alu instid0(VALU_DEP_4) | instskip(NEXT) | instid1(VALU_DEP_4)
	v_lshlrev_b32_e32 v24, 16, v21
	v_or_b32_e32 v2, v2, v4
	v_or_b32_e32 v4, v9, v8
	s_delay_alu instid0(VALU_DEP_4)
	v_or_b32_e32 v10, v12, v11
	v_or_b32_e32 v3, v3, v7
	;; [unrolled: 1-line block ×3, first 2 shown]
	v_lshlrev_b32_e32 v2, 16, v2
	v_and_b32_e32 v4, 0xffff, v4
	v_lshlrev_b32_e32 v6, 16, v10
	v_lshlrev_b32_e32 v7, 16, v3
	v_or_b32_e32 v20, v23, v24
	v_or_b32_e32 v3, v5, v2
	s_delay_alu instid0(VALU_DEP_4) | instskip(NEXT) | instid1(VALU_DEP_4)
	v_or_b32_e32 v0, v0, v6
	v_or_b32_e32 v2, v4, v7
	buffer_store_b64 v[20:21], v29, s[0:3], s4 offen
	s_movk_i32 s4, 0x200
	;;#ASMSTART
	s_nop 0
	;;#ASMEND
	buffer_store_b64 v[0:1], v29, s[0:3], s4 offen
	s_movk_i32 s4, 0x300
	;;#ASMSTART
	s_nop 0
	;;#ASMEND
	buffer_store_b64 v[2:3], v29, s[0:3], s4 offen
	;;#ASMSTART
	s_nop 0
	;;#ASMEND
.LBB53_44:
	s_nop 0
	s_sendmsg sendmsg(MSG_DEALLOC_VGPRS)
	s_endpgm
.LBB53_45:
                                        ; implicit-def: $vgpr1_vgpr2
	s_branch .LBB53_32
	.section	.rodata,"a",@progbits
	.p2align	6, 0x0
	.amdhsa_kernel _ZN5aiter24add_rmsnorm_quant_kernelIDF16_aLi256ELi32ELb1ELb1ELb1ELi1EEEvPT0_PT_PfS4_S4_S4_diiiiiiib
		.amdhsa_group_segment_fixed_size 64
		.amdhsa_private_segment_fixed_size 0
		.amdhsa_kernarg_size 88
		.amdhsa_user_sgpr_count 15
		.amdhsa_user_sgpr_dispatch_ptr 0
		.amdhsa_user_sgpr_queue_ptr 0
		.amdhsa_user_sgpr_kernarg_segment_ptr 1
		.amdhsa_user_sgpr_dispatch_id 0
		.amdhsa_user_sgpr_private_segment_size 0
		.amdhsa_wavefront_size32 1
		.amdhsa_uses_dynamic_stack 0
		.amdhsa_enable_private_segment 0
		.amdhsa_system_sgpr_workgroup_id_x 1
		.amdhsa_system_sgpr_workgroup_id_y 0
		.amdhsa_system_sgpr_workgroup_id_z 0
		.amdhsa_system_sgpr_workgroup_info 0
		.amdhsa_system_vgpr_workitem_id 0
		.amdhsa_next_free_vgpr 87
		.amdhsa_next_free_sgpr 40
		.amdhsa_reserve_vcc 1
		.amdhsa_float_round_mode_32 0
		.amdhsa_float_round_mode_16_64 0
		.amdhsa_float_denorm_mode_32 3
		.amdhsa_float_denorm_mode_16_64 3
		.amdhsa_dx10_clamp 1
		.amdhsa_ieee_mode 1
		.amdhsa_fp16_overflow 0
		.amdhsa_workgroup_processor_mode 1
		.amdhsa_memory_ordered 1
		.amdhsa_forward_progress 0
		.amdhsa_shared_vgpr_count 0
		.amdhsa_exception_fp_ieee_invalid_op 0
		.amdhsa_exception_fp_denorm_src 0
		.amdhsa_exception_fp_ieee_div_zero 0
		.amdhsa_exception_fp_ieee_overflow 0
		.amdhsa_exception_fp_ieee_underflow 0
		.amdhsa_exception_fp_ieee_inexact 0
		.amdhsa_exception_int_div_zero 0
	.end_amdhsa_kernel
	.section	.text._ZN5aiter24add_rmsnorm_quant_kernelIDF16_aLi256ELi32ELb1ELb1ELb1ELi1EEEvPT0_PT_PfS4_S4_S4_diiiiiiib,"axG",@progbits,_ZN5aiter24add_rmsnorm_quant_kernelIDF16_aLi256ELi32ELb1ELb1ELb1ELi1EEEvPT0_PT_PfS4_S4_S4_diiiiiiib,comdat
.Lfunc_end53:
	.size	_ZN5aiter24add_rmsnorm_quant_kernelIDF16_aLi256ELi32ELb1ELb1ELb1ELi1EEEvPT0_PT_PfS4_S4_S4_diiiiiiib, .Lfunc_end53-_ZN5aiter24add_rmsnorm_quant_kernelIDF16_aLi256ELi32ELb1ELb1ELb1ELi1EEEvPT0_PT_PfS4_S4_S4_diiiiiiib
                                        ; -- End function
	.section	.AMDGPU.csdata,"",@progbits
; Kernel info:
; codeLenInByte = 5764
; NumSgprs: 42
; NumVgprs: 87
; ScratchSize: 0
; MemoryBound: 0
; FloatMode: 240
; IeeeMode: 1
; LDSByteSize: 64 bytes/workgroup (compile time only)
; SGPRBlocks: 5
; VGPRBlocks: 10
; NumSGPRsForWavesPerEU: 42
; NumVGPRsForWavesPerEU: 87
; Occupancy: 16
; WaveLimiterHint : 0
; COMPUTE_PGM_RSRC2:SCRATCH_EN: 0
; COMPUTE_PGM_RSRC2:USER_SGPR: 15
; COMPUTE_PGM_RSRC2:TRAP_HANDLER: 0
; COMPUTE_PGM_RSRC2:TGID_X_EN: 1
; COMPUTE_PGM_RSRC2:TGID_Y_EN: 0
; COMPUTE_PGM_RSRC2:TGID_Z_EN: 0
; COMPUTE_PGM_RSRC2:TIDIG_COMP_CNT: 0
	.section	.text._ZN5aiter24add_rmsnorm_quant_kernelItaLi256ELi32ELb1ELb1ELb1ELi1EEEvPT0_PT_PfS4_S4_S4_diiiiiiib,"axG",@progbits,_ZN5aiter24add_rmsnorm_quant_kernelItaLi256ELi32ELb1ELb1ELb1ELi1EEEvPT0_PT_PfS4_S4_S4_diiiiiiib,comdat
	.protected	_ZN5aiter24add_rmsnorm_quant_kernelItaLi256ELi32ELb1ELb1ELb1ELi1EEEvPT0_PT_PfS4_S4_S4_diiiiiiib ; -- Begin function _ZN5aiter24add_rmsnorm_quant_kernelItaLi256ELi32ELb1ELb1ELb1ELi1EEEvPT0_PT_PfS4_S4_S4_diiiiiiib
	.globl	_ZN5aiter24add_rmsnorm_quant_kernelItaLi256ELi32ELb1ELb1ELb1ELi1EEEvPT0_PT_PfS4_S4_S4_diiiiiiib
	.p2align	8
	.type	_ZN5aiter24add_rmsnorm_quant_kernelItaLi256ELi32ELb1ELb1ELb1ELi1EEEvPT0_PT_PfS4_S4_S4_diiiiiiib,@function
_ZN5aiter24add_rmsnorm_quant_kernelItaLi256ELi32ELb1ELb1ELb1ELi1EEEvPT0_PT_PfS4_S4_S4_diiiiiiib: ; @_ZN5aiter24add_rmsnorm_quant_kernelItaLi256ELi32ELb1ELb1ELb1ELi1EEEvPT0_PT_PfS4_S4_S4_diiiiiiib
; %bb.0:
	s_mov_b32 s2, s15
	s_load_b256 s[12:19], s[0:1], 0x38
	s_mov_b32 s3, 0
	s_waitcnt lgkmcnt(0)
	s_ashr_i32 s5, s12, 31
	s_mov_b32 s4, s12
	s_delay_alu instid0(SALU_CYCLE_1) | instskip(NEXT) | instid1(VALU_DEP_1)
	v_cmp_ge_i64_e64 s4, s[2:3], s[4:5]
	s_and_b32 vcc_lo, exec_lo, s4
	s_cbranch_vccnz .LBB54_44
; %bb.1:
	s_load_b256 s[4:11], s[0:1], 0x0
	s_ashr_i32 s20, s14, 31
	s_mul_hi_u32 s21, s14, s2
	s_mul_i32 s22, s20, s2
	s_mul_i32 s20, s14, s2
	s_add_i32 s21, s21, s22
	v_lshlrev_b32_e32 v22, 5, v0
	s_lshl_b64 s[20:21], s[20:21], 1
	v_lshlrev_b32_e32 v1, 3, v0
	s_mov_b32 s31, -1
	s_delay_alu instid0(VALU_DEP_2) | instskip(SKIP_1) | instid1(VALU_DEP_1)
	v_and_b32_e32 v2, 0x7c00, v22
	s_mov_b32 s39, s31
	v_and_or_b32 v21, 0xf8, v1, v2
	s_waitcnt lgkmcnt(0)
	s_add_u32 s28, s10, s20
	s_addc_u32 s10, s11, s21
	s_load_b256 s[20:27], s[0:1], 0x20
	s_add_i32 s11, s13, 1
	s_waitcnt lgkmcnt(0)
	s_mul_hi_u32 s26, s15, s2
	s_lshr_b32 s14, s11, 31
	v_lshlrev_b32_e32 v23, 1, v21
	s_add_i32 s11, s11, s14
	s_mul_i32 s14, s15, s2
	s_lshl_b32 s11, s11, 1
	s_and_b32 s29, s10, 0xffff
	s_and_b32 s30, s11, -4
	s_ashr_i32 s11, s15, 31
	s_movk_i32 s0, 0x200
	s_mul_i32 s11, s11, s2
	s_movk_i32 s1, 0x400
	s_add_i32 s15, s26, s11
	s_movk_i32 s10, 0x600
	s_lshl_b64 s[14:15], s[14:15], 1
	s_clause 0x3
	buffer_load_b128 v[24:27], v23, s[28:31], 0 offen glc slc
	buffer_load_b128 v[28:31], v23, s[28:31], s0 offen glc slc
	;; [unrolled: 1-line block ×4, first 2 shown]
	s_and_b32 s37, s23, 0xffff
	s_add_u32 s28, s20, s14
	s_addc_u32 s11, s21, s15
	s_mov_b32 s36, s22
	s_and_b32 s29, s11, 0xffff
	s_clause 0x3
	buffer_load_b128 v[40:43], v23, s[28:31], 0 offen glc slc
	buffer_load_b128 v[44:47], v23, s[28:31], s0 offen glc slc
	;; [unrolled: 1-line block ×4, first 2 shown]
	s_mov_b32 s38, s30
	s_ashr_i32 s11, s16, 31
	s_mul_hi_u32 s15, s16, s2
	s_mul_i32 s11, s11, s2
	s_mul_i32 s14, s16, s2
	s_add_i32 s15, s15, s11
	s_delay_alu instid0(SALU_CYCLE_1) | instskip(NEXT) | instid1(SALU_CYCLE_1)
	s_lshl_b64 s[14:15], s[14:15], 1
	s_add_u32 s28, s6, s14
	s_addc_u32 s6, s7, s15
	s_delay_alu instid0(SALU_CYCLE_1)
	s_and_b32 s29, s6, 0xffff
	s_waitcnt vmcnt(7)
	v_lshrrev_b32_e32 v52, 16, v24
	v_lshrrev_b32_e32 v54, 16, v26
	v_and_b32_e32 v55, 0xffff, v26
	s_waitcnt vmcnt(5)
	v_lshrrev_b32_e32 v68, 16, v33
	v_and_b32_e32 v69, 0xffff, v33
	v_and_b32_e32 v24, 0xffff, v24
	v_lshrrev_b32_e32 v56, 16, v27
	s_waitcnt vmcnt(3)
	v_lshrrev_b32_e32 v26, 16, v40
	v_and_b32_e32 v33, 0xffff, v43
	v_lshrrev_b32_e32 v74, 16, v36
	v_and_b32_e32 v75, 0xffff, v36
	s_waitcnt vmcnt(2)
	v_and_b32_e32 v36, 0xffff, v45
	v_cvt_f32_u32_e32 v26, v26
	v_cvt_f32_u32_e32 v33, v33
	v_and_b32_e32 v57, 0xffff, v27
	v_cvt_f32_u32_e32 v27, v52
	v_lshrrev_b32_e32 v60, 16, v29
	v_lshrrev_b32_e32 v80, 16, v39
	v_cvt_f32_u32_e32 v36, v36
	v_and_b32_e32 v61, 0xffff, v29
	v_cvt_f32_u32_e32 v29, v24
	v_add_f32_e32 v24, v27, v26
	v_and_b32_e32 v52, 0xffff, v39
	v_and_b32_e32 v39, 0xffff, v46
	v_lshrrev_b32_e32 v58, 16, v28
	v_lshrrev_b32_e32 v53, 16, v25
	v_mul_f32_e32 v81, v24, v24
	v_and_b32_e32 v25, 0xffff, v25
	v_cvt_f32_u32_e32 v39, v39
	v_and_b32_e32 v59, 0xffff, v28
	v_and_b32_e32 v28, 0xffff, v40
	v_lshrrev_b32_e32 v27, 16, v41
	v_cvt_f32_u32_e32 v26, v25
	v_and_b32_e32 v40, 0xffff, v47
	v_lshrrev_b32_e32 v62, 16, v30
	v_cvt_f32_u32_e32 v28, v28
	v_cvt_f32_u32_e32 v27, v27
	v_lshrrev_b32_e32 v64, 16, v31
	v_cvt_f32_u32_e32 v40, v40
	v_and_b32_e32 v63, 0xffff, v30
	v_add_f32_e32 v25, v29, v28
	v_cvt_f32_u32_e32 v28, v53
	v_and_b32_e32 v65, 0xffff, v31
	v_lshrrev_b32_e32 v70, 16, v34
	v_and_b32_e32 v71, 0xffff, v34
	v_and_b32_e32 v29, 0xffff, v42
	v_dual_add_f32 v27, v28, v27 :: v_dual_and_b32 v30, 0xffff, v41
	v_lshrrev_b32_e32 v31, 16, v42
	v_lshrrev_b32_e32 v34, 16, v43
	s_waitcnt vmcnt(1)
	v_and_b32_e32 v43, 0xffff, v48
	v_lshrrev_b32_e32 v66, 16, v32
	v_cvt_f32_u32_e32 v30, v30
	v_cvt_f32_u32_e32 v29, v29
	;; [unrolled: 1-line block ×4, first 2 shown]
	s_delay_alu instid0(VALU_DEP_4)
	v_dual_add_f32 v26, v26, v30 :: v_dual_and_b32 v67, 0xffff, v32
	s_clause 0x3
	buffer_load_b128 v[13:16], v23, s[36:39], 0 offen
	buffer_load_b128 v[9:12], v23, s[36:39], s0 offen
	;; [unrolled: 1-line block ×4, first 2 shown]
	v_cvt_f32_u32_e32 v30, v55
	v_cvt_f32_u32_e32 v32, v54
	v_lshrrev_b32_e32 v72, 16, v35
	v_and_b32_e32 v73, 0xffff, v35
	v_fmac_f32_e32 v81, v25, v25
	v_add_f32_e32 v28, v30, v29
	v_cvt_f32_u32_e32 v30, v57
	v_dual_add_f32 v29, v32, v31 :: v_dual_and_b32 v32, 0xffff, v44
	v_cvt_f32_u32_e32 v31, v56
	v_cvt_f32_u32_e32 v34, v34
	v_lshrrev_b32_e32 v35, 16, v44
	v_lshrrev_b32_e32 v76, 16, v37
	v_and_b32_e32 v77, 0xffff, v37
	v_lshrrev_b32_e32 v78, 16, v38
	v_and_b32_e32 v79, 0xffff, v38
	v_fmac_f32_e32 v81, v26, v26
	v_add_f32_e32 v30, v30, v33
	v_cvt_f32_u32_e32 v33, v59
	v_cvt_f32_u32_e32 v32, v32
	v_add_f32_e32 v31, v31, v34
	v_cvt_f32_u32_e32 v34, v58
	v_cvt_f32_u32_e32 v35, v35
	;; [unrolled: 1-line block ×3, first 2 shown]
	v_lshrrev_b32_e32 v38, 16, v45
	v_dual_fmac_f32 v81, v27, v27 :: v_dual_add_f32 v32, v33, v32
	s_delay_alu instid0(VALU_DEP_4) | instskip(SKIP_1) | instid1(VALU_DEP_4)
	v_add_f32_e32 v33, v34, v35
	v_cvt_f32_u32_e32 v35, v60
	v_cvt_f32_u32_e32 v38, v38
	v_add_f32_e32 v34, v37, v36
	v_cvt_f32_u32_e32 v36, v63
	v_lshrrev_b32_e32 v37, 16, v46
	v_lshrrev_b32_e32 v41, 16, v47
	v_fmac_f32_e32 v81, v28, v28
	v_add_f32_e32 v35, v35, v38
	v_cvt_f32_u32_e32 v38, v62
	v_cvt_f32_u32_e32 v37, v37
	v_add_f32_e32 v36, v36, v39
	v_cvt_f32_u32_e32 v39, v65
	v_cvt_f32_u32_e32 v42, v64
	;; [unrolled: 1-line block ×3, first 2 shown]
	v_dual_add_f32 v37, v38, v37 :: v_dual_and_b32 v46, 0xffff, v50
	s_delay_alu instid0(VALU_DEP_4) | instskip(SKIP_1) | instid1(VALU_DEP_4)
	v_add_f32_e32 v38, v39, v40
	v_lshrrev_b32_e32 v44, 16, v48
	v_add_f32_e32 v39, v42, v41
	v_and_b32_e32 v42, 0xffff, v49
	v_fmac_f32_e32 v81, v29, v29
	v_lshrrev_b32_e32 v48, 16, v50
	s_waitcnt vmcnt(4)
	v_and_b32_e32 v50, 0xffff, v17
	v_cvt_f32_u32_e32 v40, v67
	v_cvt_f32_u32_e32 v41, v66
	v_fmac_f32_e32 v81, v30, v30
	v_cvt_f32_u32_e32 v44, v44
	v_lshrrev_b32_e32 v45, 16, v49
	v_add_f32_e32 v40, v40, v43
	v_cvt_f32_u32_e32 v43, v69
	v_fmac_f32_e32 v81, v31, v31
	v_cvt_f32_u32_e32 v42, v42
	v_add_f32_e32 v41, v41, v44
	v_cvt_f32_u32_e32 v44, v68
	v_cvt_f32_u32_e32 v45, v45
	s_delay_alu instid0(VALU_DEP_4) | instskip(SKIP_2) | instid1(VALU_DEP_4)
	v_dual_fmac_f32 v81, v32, v32 :: v_dual_add_f32 v42, v43, v42
	v_cvt_f32_u32_e32 v47, v71
	v_cvt_f32_u32_e32 v46, v46
	v_add_f32_e32 v43, v44, v45
	s_delay_alu instid0(VALU_DEP_4)
	v_fmac_f32_e32 v81, v33, v33
	v_cvt_f32_u32_e32 v45, v70
	v_and_b32_e32 v49, 0xffff, v51
	v_cvt_f32_u32_e32 v48, v48
	v_add_f32_e32 v44, v47, v46
	v_fmac_f32_e32 v81, v34, v34
	v_cvt_f32_u32_e32 v46, v73
	v_lshrrev_b32_e32 v47, 16, v51
	v_cvt_f32_u32_e32 v49, v49
	v_add_f32_e32 v45, v45, v48
	v_fmac_f32_e32 v81, v35, v35
	v_cvt_f32_u32_e32 v48, v72
	v_cvt_f32_u32_e32 v47, v47
	v_add_f32_e32 v46, v46, v49
	v_cvt_f32_u32_e32 v49, v75
	v_fmac_f32_e32 v81, v36, v36
	v_lshrrev_b32_e32 v17, 16, v17
	v_cvt_f32_u32_e32 v50, v50
	v_add_f32_e32 v47, v48, v47
	v_cvt_f32_u32_e32 v51, v74
	v_fmac_f32_e32 v81, v37, v37
	v_and_b32_e32 v53, 0xffff, v18
	v_cvt_f32_u32_e32 v17, v17
	v_add_f32_e32 v48, v49, v50
	v_cvt_f32_u32_e32 v49, v77
	v_fmac_f32_e32 v81, v38, v38
	v_lshrrev_b32_e32 v50, 16, v18
	v_cvt_f32_u32_e32 v53, v53
	v_add_f32_e32 v18, v51, v17
	v_cvt_f32_u32_e32 v17, v76
	v_fmac_f32_e32 v81, v39, v39
	v_and_b32_e32 v51, 0xffff, v19
	;; [unrolled: 10-line block ×3, first 2 shown]
	v_cvt_f32_u32_e32 v54, v54
	v_add_f32_e32 v50, v53, v51
	v_cvt_f32_u32_e32 v51, v52
	v_fmac_f32_e32 v81, v42, v42
	v_lshrrev_b32_e32 v52, 16, v20
	v_cvt_f32_u32_e32 v53, v55
	v_add_f32_e32 v20, v17, v54
	v_cvt_f32_u32_e32 v17, v80
	v_fmac_f32_e32 v81, v43, v43
	v_cvt_f32_u32_e32 v52, v52
	v_add_f32_e32 v51, v51, v53
	v_and_b32_e32 v69, 31, v0
	v_perm_b32 v56, v31, v30, 0x7060302
	v_fmac_f32_e32 v81, v44, v44
	v_add_f32_e32 v52, v17, v52
	v_perm_b32 v55, v29, v28, 0x7060302
	v_perm_b32 v54, v27, v26, 0x7060302
	v_perm_b32 v53, v24, v25, 0x7060302
	v_fmac_f32_e32 v81, v45, v45
	v_perm_b32 v60, v39, v38, 0x7060302
	v_perm_b32 v59, v37, v36, 0x7060302
	v_perm_b32 v58, v35, v34, 0x7060302
	v_perm_b32 v57, v33, v32, 0x7060302
	v_fmac_f32_e32 v81, v46, v46
	v_perm_b32 v64, v47, v46, 0x7060302
	;; [unrolled: 5-line block ×3, first 2 shown]
	v_perm_b32 v66, v19, v49, 0x7060302
	v_perm_b32 v65, v18, v48, 0x7060302
	buffer_store_b128 v[53:56], v23, s[28:31], 0 offen glc slc
	v_fmac_f32_e32 v81, v48, v48
	;;#ASMSTART
	s_nop 0
	;;#ASMEND
	buffer_store_b128 v[57:60], v23, s[28:31], s0 offen glc slc
	v_cmp_eq_u32_e64 s0, 31, v69
	;;#ASMSTART
	s_nop 0
	;;#ASMEND
	v_fmac_f32_e32 v81, v18, v18
	s_delay_alu instid0(VALU_DEP_1) | instskip(NEXT) | instid1(VALU_DEP_1)
	v_fmac_f32_e32 v81, v49, v49
	v_fmac_f32_e32 v81, v19, v19
	s_delay_alu instid0(VALU_DEP_1) | instskip(NEXT) | instid1(VALU_DEP_1)
	v_fmac_f32_e32 v81, v50, v50
	v_fmac_f32_e32 v81, v20, v20
	s_delay_alu instid0(VALU_DEP_1) | instskip(NEXT) | instid1(VALU_DEP_1)
	v_fmac_f32_e32 v81, v51, v51
	v_fmac_f32_e32 v81, v52, v52
	s_delay_alu instid0(VALU_DEP_1) | instskip(NEXT) | instid1(VALU_DEP_1)
	v_mov_b32_dpp v17, v81 quad_perm:[1,0,3,2] row_mask:0xf bank_mask:0xf
	v_add_f32_e32 v17, v81, v17
	s_delay_alu instid0(VALU_DEP_1) | instskip(NEXT) | instid1(VALU_DEP_1)
	v_mov_b32_dpp v61, v17 quad_perm:[2,3,0,1] row_mask:0xf bank_mask:0xf
	v_add_f32_e32 v17, v17, v61
	v_perm_b32 v61, v41, v40, 0x7060302
	s_delay_alu instid0(VALU_DEP_2)
	v_mov_b32_dpp v70, v17 row_xmask:7 row_mask:0xf bank_mask:0xf
	buffer_store_b128 v[61:64], v23, s[28:31], s1 offen glc slc
	;;#ASMSTART
	s_nop 0
	;;#ASMEND
	buffer_store_b128 v[65:68], v23, s[28:31], s10 offen glc slc
	;;#ASMSTART
	s_nop 0
	;;#ASMEND
	v_add_f32_e32 v17, v17, v70
	s_delay_alu instid0(VALU_DEP_1)
	v_mov_b32_dpp v53, v17 row_xmask:15 row_mask:0xf bank_mask:0xf
	s_and_saveexec_b32 s1, s0
	s_cbranch_execz .LBB54_3
; %bb.2:
	s_delay_alu instid0(VALU_DEP_1) | instskip(SKIP_2) | instid1(VALU_DEP_2)
	v_add_f32_e32 v17, v17, v53
	s_mov_b32 s6, 0x76543210
	v_lshrrev_b32_e32 v23, 3, v0
	v_permlanex16_b32 v53, v17, s6, 0xfedcba98 op_sel:[1,1]
	s_delay_alu instid0(VALU_DEP_2) | instskip(NEXT) | instid1(VALU_DEP_2)
	v_and_b32_e32 v23, 0x7c, v23
	v_add_f32_e32 v17, v17, v53
	ds_store_b32 v23, v17 offset:32
.LBB54_3:
	s_or_b32 exec_lo, exec_lo, s1
	v_and_b32_e32 v17, 7, v0
	s_waitcnt vmcnt(0) lgkmcnt(0)
	s_waitcnt_vscnt null, 0x0
	s_barrier
	buffer_gl0_inv
	v_cvt_f32_i32_e32 v54, s13
	v_lshlrev_b32_e32 v17, 2, v17
	s_cmp_lg_u32 s18, 0
	v_and_b32_e32 v60, 0xffff, v12
	v_lshrrev_b32_e32 v12, 16, v12
	ds_load_b32 v23, v17 offset:32
	v_cvt_f32_u32_e32 v60, v60
	v_cvt_f32_u32_e32 v12, v12
	s_waitcnt lgkmcnt(0)
	v_mov_b32_dpp v53, v23 quad_perm:[1,0,3,2] row_mask:0xf bank_mask:0xf
	s_delay_alu instid0(VALU_DEP_1) | instskip(NEXT) | instid1(VALU_DEP_1)
	v_add_f32_e32 v23, v23, v53
	v_mov_b32_dpp v53, v23 quad_perm:[2,3,0,1] row_mask:0xf bank_mask:0xf
	s_delay_alu instid0(VALU_DEP_1) | instskip(NEXT) | instid1(VALU_DEP_1)
	v_add_f32_e32 v23, v23, v53
	v_mov_b32_dpp v53, v23 row_xmask:7 row_mask:0xf bank_mask:0xf
	s_delay_alu instid0(VALU_DEP_1) | instskip(NEXT) | instid1(VALU_DEP_1)
	v_add_f32_e32 v23, v23, v53
	v_div_scale_f32 v53, null, v54, v54, v23
	v_div_scale_f32 v57, vcc_lo, v23, v54, v23
	s_delay_alu instid0(VALU_DEP_2) | instskip(SKIP_2) | instid1(VALU_DEP_1)
	v_rcp_f32_e32 v55, v53
	s_waitcnt_depctr 0xfff
	v_fma_f32 v56, -v53, v55, 1.0
	v_fmac_f32_e32 v55, v56, v55
	s_delay_alu instid0(VALU_DEP_1) | instskip(NEXT) | instid1(VALU_DEP_1)
	v_mul_f32_e32 v56, v57, v55
	v_fma_f32 v58, -v53, v56, v57
	s_delay_alu instid0(VALU_DEP_1) | instskip(SKIP_2) | instid1(VALU_DEP_3)
	v_fmac_f32_e32 v56, v58, v55
	v_and_b32_e32 v58, 0xffff, v10
	v_lshrrev_b32_e32 v10, 16, v10
	v_fma_f32 v53, -v53, v56, v57
	s_delay_alu instid0(VALU_DEP_3) | instskip(NEXT) | instid1(VALU_DEP_3)
	v_cvt_f32_u32_e32 v58, v58
	v_cvt_f32_u32_e32 v10, v10
	s_delay_alu instid0(VALU_DEP_3) | instskip(SKIP_2) | instid1(VALU_DEP_3)
	v_div_fmas_f32 v53, v53, v55, v56
	v_and_b32_e32 v56, 0xffff, v16
	v_lshrrev_b32_e32 v16, 16, v16
	v_div_fixup_f32 v23, v53, v54, v23
	s_delay_alu instid0(VALU_DEP_3) | instskip(NEXT) | instid1(VALU_DEP_3)
	v_cvt_f32_u32_e32 v56, v56
	v_cvt_f32_u32_e32 v16, v16
	s_delay_alu instid0(VALU_DEP_3) | instskip(NEXT) | instid1(VALU_DEP_1)
	v_cvt_f64_f32_e32 v[53:54], v23
	v_add_f64 v[53:54], v[53:54], s[24:25]
	s_delay_alu instid0(VALU_DEP_1) | instskip(SKIP_2) | instid1(VALU_DEP_2)
	v_cvt_f32_f64_e32 v53, v[53:54]
	v_and_b32_e32 v54, 0xffff, v15
	v_lshrrev_b32_e32 v15, 16, v15
	v_cvt_f32_u32_e32 v54, v54
	s_delay_alu instid0(VALU_DEP_2) | instskip(SKIP_4) | instid1(VALU_DEP_4)
	v_cvt_f32_u32_e32 v15, v15
	v_mul_f32_e32 v70, 0x4b800000, v53
	v_cmp_gt_f32_e32 vcc_lo, 0x800000, v53
	v_and_b32_e32 v64, 0xffff, v8
	v_lshrrev_b32_e32 v8, 16, v8
	v_cndmask_b32_e32 v53, v53, v70, vcc_lo
	s_delay_alu instid0(VALU_DEP_3) | instskip(NEXT) | instid1(VALU_DEP_3)
	v_cvt_f32_u32_e32 v64, v64
	v_cvt_f32_u32_e32 v8, v8
	s_delay_alu instid0(VALU_DEP_3) | instskip(SKIP_4) | instid1(VALU_DEP_3)
	v_rsq_f32_e32 v53, v53
	s_waitcnt_depctr 0xfff
	v_mul_f32_e32 v70, 0x45800000, v53
	v_and_b32_e32 v68, 0xffff, v4
	v_lshrrev_b32_e32 v4, 16, v4
	v_cndmask_b32_e32 v53, v53, v70, vcc_lo
	v_and_b32_e32 v23, 0xffff, v13
	v_lshrrev_b32_e32 v13, 16, v13
	v_and_b32_e32 v55, 0xffff, v14
	v_lshrrev_b32_e32 v14, 16, v14
	v_mul_f32_e32 v24, v24, v53
	v_dual_mul_f32 v72, v53, v32 :: v_dual_and_b32 v57, 0xffff, v9
	v_dual_mul_f32 v25, v25, v53 :: v_dual_and_b32 v62, 0xffff, v6
	v_lshrrev_b32_e32 v9, 16, v9
	v_dual_mul_f32 v76, v53, v36 :: v_dual_and_b32 v65, 0xffff, v1
	v_lshrrev_b32_e32 v1, 16, v1
	v_mul_f32_e32 v70, v53, v30
	v_cvt_f32_u32_e32 v23, v23
	v_dual_mul_f32 v26, v26, v53 :: v_dual_and_b32 v59, 0xffff, v11
	v_dual_mul_f32 v28, v28, v53 :: v_dual_and_b32 v63, 0xffff, v7
	v_lshrrev_b32_e32 v7, 16, v7
	v_dual_mul_f32 v27, v27, v53 :: v_dual_and_b32 v66, 0xffff, v2
	v_lshrrev_b32_e32 v2, 16, v2
	v_cvt_f32_u32_e32 v13, v13
	v_lshrrev_b32_e32 v11, 16, v11
	v_lshrrev_b32_e32 v6, 16, v6
	v_dual_mul_f32 v38, v53, v38 :: v_dual_and_b32 v67, 0xffff, v3
	v_lshrrev_b32_e32 v3, 16, v3
	v_cvt_f32_u32_e32 v55, v55
	v_cvt_f32_u32_e32 v14, v14
	;; [unrolled: 1-line block ×3, first 2 shown]
	v_dual_mul_f32 v74, v53, v34 :: v_dual_and_b32 v61, 0xffff, v5
	v_lshrrev_b32_e32 v5, 16, v5
	v_cvt_f32_u32_e32 v62, v62
	v_dual_mul_f32 v29, v29, v53 :: v_dual_mul_f32 v30, v27, v14
	v_dual_mul_f32 v71, v31, v53 :: v_dual_mul_f32 v42, v53, v42
	v_mul_f32_e32 v39, v53, v39
	v_cvt_f32_u32_e32 v9, v9
	v_cvt_f32_u32_e32 v1, v1
	v_dual_mul_f32 v73, v53, v33 :: v_dual_mul_f32 v36, v28, v54
	v_mul_f32_e32 v75, v53, v35
	v_mul_f32_e32 v78, v53, v18
	;; [unrolled: 1-line block ×3, first 2 shown]
	v_cvt_f32_u32_e32 v59, v59
	v_cvt_f32_u32_e32 v7, v7
	;; [unrolled: 1-line block ×4, first 2 shown]
	v_dual_mul_f32 v43, v53, v43 :: v_dual_mul_f32 v32, v24, v13
	v_dual_mul_f32 v45, v53, v45 :: v_dual_mul_f32 v24, v76, v59
	;; [unrolled: 1-line block ×3, first 2 shown]
	v_mul_f32_e32 v49, v53, v49
	v_mul_f32_e32 v79, v53, v19
	v_cvt_f32_u32_e32 v11, v11
	v_cvt_f32_u32_e32 v6, v6
	;; [unrolled: 1-line block ×5, first 2 shown]
	v_dual_mul_f32 v77, v53, v37 :: v_dual_mul_f32 v34, v70, v56
	v_dual_mul_f32 v44, v53, v44 :: v_dual_mul_f32 v31, v26, v55
	v_mul_f32_e32 v80, v53, v20
	v_dual_mul_f32 v51, v53, v51 :: v_dual_mul_f32 v14, v47, v8
	v_dual_mov_b32 v69, 0x2edbe6ff :: v_dual_mul_f32 v40, v53, v40
	v_cvt_f32_u32_e32 v61, v61
	v_cvt_f32_u32_e32 v5, v5
	;; [unrolled: 1-line block ×3, first 2 shown]
	v_dual_mul_f32 v41, v53, v41 :: v_dual_mul_f32 v26, v74, v58
	s_delay_alu instid0(VALU_DEP_4)
	v_dual_mul_f32 v50, v53, v50 :: v_dual_mul_f32 v19, v40, v61
	v_dual_mul_f32 v23, v39, v12 :: v_dual_mul_f32 v12, v42, v62
	;; [unrolled: 1-line block ×5, first 2 shown]
	v_mul_f32_e32 v29, v73, v9
	v_mul_f32_e32 v10, v78, v1
	v_and_b32_e32 v1, 0x7fffffff, v33
	v_cvt_f32_u32_e32 v65, v65
	v_mul_f32_e32 v20, v38, v60
	v_mul_f32_e32 v16, v45, v7
	v_dual_mul_f32 v7, v49, v66 :: v_dual_and_b32 v2, 0x7fffffff, v32
	;;#ASMSTART
	v_max3_f32 v1, v69, v1, v2

	;;#ASMEND
	v_cvt_f32_u32_e32 v4, v4
	v_dual_mul_f32 v52, v53, v52 :: v_dual_mul_f32 v15, v44, v63
	v_mul_f32_e32 v25, v77, v11
	v_dual_mul_f32 v11, v43, v6 :: v_dual_mul_f32 v6, v80, v3
	s_delay_alu instid0(VALU_DEP_3)
	v_mul_f32_e32 v4, v52, v4
	v_dual_mul_f32 v3, v51, v68 :: v_dual_and_b32 v38, 0x7fffffff, v31
	v_and_b32_e32 v39, 0x7fffffff, v30
	;;#ASMSTART
	v_max3_f32 v1, v1, v38, v39

	;;#ASMEND
	v_dual_mul_f32 v18, v41, v5 :: v_dual_mul_f32 v13, v46, v64
	v_dual_mul_f32 v5, v50, v67 :: v_dual_and_b32 v40, 0x7fffffff, v36
	v_and_b32_e32 v41, 0x7fffffff, v37
	;;#ASMSTART
	v_max3_f32 v1, v1, v40, v41

	;;#ASMEND
	v_and_b32_e32 v42, 0x7fffffff, v34
	v_and_b32_e32 v43, 0x7fffffff, v35
	;;#ASMSTART
	v_max3_f32 v1, v1, v42, v43

	;;#ASMEND
	v_and_b32_e32 v44, 0x7fffffff, v28
	;; [unrolled: 6-line block ×3, first 2 shown]
	v_and_b32_e32 v47, 0x7fffffff, v27
	;;#ASMSTART
	v_max3_f32 v1, v1, v46, v47

	;;#ASMEND
	v_dual_mul_f32 v9, v48, v65 :: v_dual_and_b32 v48, 0x7fffffff, v24
	v_and_b32_e32 v49, 0x7fffffff, v25
	;;#ASMSTART
	v_max3_f32 v1, v1, v48, v49

	;;#ASMEND
	v_and_b32_e32 v50, 0x7fffffff, v20
	v_and_b32_e32 v51, 0x7fffffff, v23
	;;#ASMSTART
	v_max3_f32 v1, v1, v50, v51

	;;#ASMEND
	v_and_b32_e32 v52, 0x7fffffff, v19
	;; [unrolled: 6-line block ×8, first 2 shown]
	v_and_b32_e32 v65, 0x7fffffff, v6
	v_and_b32_e32 v66, 0x7fffffff, v3
	;; [unrolled: 1-line block ×3, first 2 shown]
	;;#ASMSTART
	v_max3_f32 v1, v1, v64, v65

	;;#ASMEND
	;;#ASMSTART
	v_max3_f32 v38, v1, v66, v67

	;;#ASMEND
	s_cbranch_scc0 .LBB54_10
; %bb.4:
	s_ashr_i32 s11, s18, 31
	s_delay_alu instid0(SALU_CYCLE_1) | instskip(NEXT) | instid1(SALU_CYCLE_1)
	s_lshr_b32 s1, s11, 27
	s_add_i32 s1, s18, s1
	s_delay_alu instid0(SALU_CYCLE_1) | instskip(NEXT) | instid1(SALU_CYCLE_1)
	s_ashr_i32 s1, s1, 5
	s_cmp_lt_i32 s1, 8
	s_cbranch_scc1 .LBB54_11
; %bb.5:
	s_cmp_lt_i32 s1, 16
	s_cbranch_scc1 .LBB54_12
; %bb.6:
	;; [unrolled: 3-line block ×3, first 2 shown]
	v_mov_b32_e32 v1, v38
	s_cmp_eq_u32 s1, 32
	s_cbranch_scc0 .LBB54_9
; %bb.8:
	s_delay_alu instid0(VALU_DEP_1) | instskip(SKIP_1) | instid1(VALU_DEP_1)
	v_mov_b32_dpp v1, v38 quad_perm:[1,0,3,2] row_mask:0xf bank_mask:0xf
	s_mov_b32 s6, 0x76543210
	v_cmp_gt_f32_e32 vcc_lo, v38, v1
	v_cndmask_b32_e32 v1, v1, v38, vcc_lo
	s_delay_alu instid0(VALU_DEP_1) | instskip(NEXT) | instid1(VALU_DEP_1)
	v_mov_b32_dpp v2, v1 quad_perm:[2,3,0,1] row_mask:0xf bank_mask:0xf
	v_cmp_gt_f32_e32 vcc_lo, v1, v2
	v_cndmask_b32_e32 v1, v2, v1, vcc_lo
	s_delay_alu instid0(VALU_DEP_1) | instskip(NEXT) | instid1(VALU_DEP_1)
	v_mov_b32_dpp v2, v1 row_xmask:7 row_mask:0xf bank_mask:0xf
	v_cmp_gt_f32_e32 vcc_lo, v1, v2
	v_cndmask_b32_e32 v1, v2, v1, vcc_lo
	s_delay_alu instid0(VALU_DEP_1) | instskip(NEXT) | instid1(VALU_DEP_1)
	v_mov_b32_dpp v2, v1 row_xmask:15 row_mask:0xf bank_mask:0xf
	v_cmp_gt_f32_e32 vcc_lo, v1, v2
	v_cndmask_b32_e32 v1, v2, v1, vcc_lo
	s_delay_alu instid0(VALU_DEP_1) | instskip(NEXT) | instid1(VALU_DEP_1)
	v_permlanex16_b32 v2, v1, s6, 0xfedcba98 op_sel:[1,1]
	v_cmp_gt_f32_e32 vcc_lo, v1, v2
	v_cndmask_b32_e32 v1, v2, v1, vcc_lo
.LBB54_9:
	s_mov_b32 s6, 0
	s_branch .LBB54_14
.LBB54_10:
	s_mov_b32 s1, 0
                                        ; implicit-def: $vgpr22
                                        ; implicit-def: $vgpr1_vgpr2
	s_and_b32 vcc_lo, exec_lo, s31
	s_cbranch_vccnz .LBB54_38
	s_branch .LBB54_41
.LBB54_11:
                                        ; implicit-def: $vgpr1
	s_branch .LBB54_21
.LBB54_12:
                                        ; implicit-def: $vgpr1
	s_branch .LBB54_18
.LBB54_13:
	s_mov_b32 s6, -1
                                        ; implicit-def: $vgpr1
.LBB54_14:
	s_delay_alu instid0(SALU_CYCLE_1)
	s_and_not1_b32 vcc_lo, exec_lo, s6
	s_cbranch_vccnz .LBB54_17
; %bb.15:
	v_mov_b32_e32 v1, v38
	s_cmp_eq_u32 s1, 16
	s_cbranch_scc0 .LBB54_17
; %bb.16:
	s_delay_alu instid0(VALU_DEP_1) | instskip(NEXT) | instid1(VALU_DEP_1)
	v_mov_b32_dpp v1, v38 quad_perm:[1,0,3,2] row_mask:0xf bank_mask:0xf
	v_cmp_gt_f32_e32 vcc_lo, v38, v1
	v_cndmask_b32_e32 v1, v1, v38, vcc_lo
	s_delay_alu instid0(VALU_DEP_1) | instskip(NEXT) | instid1(VALU_DEP_1)
	v_mov_b32_dpp v2, v1 quad_perm:[2,3,0,1] row_mask:0xf bank_mask:0xf
	v_cmp_gt_f32_e32 vcc_lo, v1, v2
	v_cndmask_b32_e32 v1, v2, v1, vcc_lo
	s_delay_alu instid0(VALU_DEP_1) | instskip(NEXT) | instid1(VALU_DEP_1)
	v_mov_b32_dpp v2, v1 row_half_mirror row_mask:0xf bank_mask:0xf
	v_cmp_gt_f32_e32 vcc_lo, v1, v2
	v_cndmask_b32_e32 v1, v2, v1, vcc_lo
	s_delay_alu instid0(VALU_DEP_1) | instskip(NEXT) | instid1(VALU_DEP_1)
	v_mov_b32_dpp v2, v1 row_mirror row_mask:0xf bank_mask:0xf
	v_cmp_gt_f32_e32 vcc_lo, v1, v2
	v_cndmask_b32_e32 v1, v2, v1, vcc_lo
.LBB54_17:
	s_cbranch_execnz .LBB54_20
.LBB54_18:
	v_mov_b32_e32 v1, v38
	s_cmp_eq_u32 s1, 8
	s_cbranch_scc0 .LBB54_20
; %bb.19:
	s_delay_alu instid0(VALU_DEP_1) | instskip(NEXT) | instid1(VALU_DEP_1)
	v_mov_b32_dpp v1, v38 quad_perm:[1,0,3,2] row_mask:0xf bank_mask:0xf
	v_cmp_gt_f32_e32 vcc_lo, v38, v1
	v_cndmask_b32_e32 v1, v1, v38, vcc_lo
	s_delay_alu instid0(VALU_DEP_1) | instskip(NEXT) | instid1(VALU_DEP_1)
	v_mov_b32_dpp v2, v1 quad_perm:[2,3,0,1] row_mask:0xf bank_mask:0xf
	v_cmp_gt_f32_e32 vcc_lo, v1, v2
	v_cndmask_b32_e32 v1, v2, v1, vcc_lo
	s_delay_alu instid0(VALU_DEP_1) | instskip(NEXT) | instid1(VALU_DEP_1)
	v_mov_b32_dpp v2, v1 row_half_mirror row_mask:0xf bank_mask:0xf
	v_cmp_gt_f32_e32 vcc_lo, v1, v2
	v_cndmask_b32_e32 v1, v2, v1, vcc_lo
.LBB54_20:
	s_cbranch_execnz .LBB54_28
.LBB54_21:
	s_cmp_lt_i32 s1, 4
	s_cbranch_scc1 .LBB54_24
; %bb.22:
	v_mov_b32_e32 v1, v38
	s_cmp_eq_u32 s1, 4
	s_cbranch_scc0 .LBB54_25
; %bb.23:
	s_delay_alu instid0(VALU_DEP_1) | instskip(NEXT) | instid1(VALU_DEP_1)
	v_mov_b32_dpp v1, v38 quad_perm:[1,0,3,2] row_mask:0xf bank_mask:0xf
	v_cmp_gt_f32_e32 vcc_lo, v38, v1
	v_cndmask_b32_e32 v1, v1, v38, vcc_lo
	s_delay_alu instid0(VALU_DEP_1) | instskip(NEXT) | instid1(VALU_DEP_1)
	v_mov_b32_dpp v2, v1 quad_perm:[2,3,0,1] row_mask:0xf bank_mask:0xf
	v_cmp_gt_f32_e32 vcc_lo, v1, v2
	v_cndmask_b32_e32 v1, v2, v1, vcc_lo
	s_cbranch_execz .LBB54_26
	s_branch .LBB54_28
.LBB54_24:
                                        ; implicit-def: $vgpr1
	s_branch .LBB54_26
.LBB54_25:
	s_cbranch_execnz .LBB54_28
.LBB54_26:
	v_mov_b32_e32 v1, v38
	s_cmp_lg_u32 s1, 2
	s_cbranch_scc1 .LBB54_28
; %bb.27:
	s_delay_alu instid0(VALU_DEP_1) | instskip(NEXT) | instid1(VALU_DEP_1)
	v_mov_b32_dpp v1, v38 quad_perm:[1,0,3,2] row_mask:0xf bank_mask:0xf
	v_cmp_gt_f32_e32 vcc_lo, v38, v1
	v_cndmask_b32_e32 v1, v1, v38, vcc_lo
.LBB54_28:
	v_cvt_f32_u32_e32 v2, s1
	s_sub_i32 s6, 0, s1
	s_mov_b32 s31, 0
	s_delay_alu instid0(VALU_DEP_1) | instskip(SKIP_2) | instid1(VALU_DEP_1)
	v_rcp_iflag_f32_e32 v2, v2
	s_waitcnt_depctr 0xfff
	v_mul_f32_e32 v2, 0x4f7ffffe, v2
	v_cvt_u32_f32_e32 v2, v2
	s_delay_alu instid0(VALU_DEP_1) | instskip(NEXT) | instid1(VALU_DEP_1)
	v_mul_lo_u32 v39, s6, v2
	v_mul_hi_u32 v39, v2, v39
	s_delay_alu instid0(VALU_DEP_1) | instskip(NEXT) | instid1(VALU_DEP_1)
	v_add_nc_u32_e32 v2, v2, v39
	v_mul_hi_u32 v2, v0, v2
	s_delay_alu instid0(VALU_DEP_1) | instskip(SKIP_1) | instid1(VALU_DEP_2)
	v_mul_lo_u32 v39, v2, s1
	v_add_nc_u32_e32 v40, 1, v2
	v_sub_nc_u32_e32 v39, v0, v39
	s_delay_alu instid0(VALU_DEP_1) | instskip(SKIP_1) | instid1(VALU_DEP_2)
	v_subrev_nc_u32_e32 v41, s1, v39
	v_cmp_le_u32_e32 vcc_lo, s1, v39
	v_dual_cndmask_b32 v39, v39, v41 :: v_dual_cndmask_b32 v2, v2, v40
	s_delay_alu instid0(VALU_DEP_1) | instskip(NEXT) | instid1(VALU_DEP_2)
	v_cmp_le_u32_e32 vcc_lo, s1, v39
	v_add_nc_u32_e32 v40, 1, v2
	s_delay_alu instid0(VALU_DEP_1) | instskip(SKIP_2) | instid1(VALU_DEP_3)
	v_cndmask_b32_e32 v39, v2, v40, vcc_lo
	v_cmp_gt_u32_e32 vcc_lo, s13, v22
	v_mul_f32_e32 v22, 0x3c010204, v1
	v_mul_lo_u32 v2, v39, s1
	s_delay_alu instid0(VALU_DEP_1) | instskip(NEXT) | instid1(VALU_DEP_1)
	v_sub_nc_u32_e32 v2, v0, v2
	v_cmp_eq_u32_e64 s1, 0, v2
                                        ; implicit-def: $vgpr1_vgpr2
	s_delay_alu instid0(VALU_DEP_1) | instskip(SKIP_2) | instid1(SALU_CYCLE_1)
	s_and_b32 s6, s1, vcc_lo
	s_mov_b32 s1, 0
	s_and_saveexec_b32 s7, s6
	s_xor_b32 s16, exec_lo, s7
	s_cbranch_execz .LBB54_37
; %bb.29:
	s_bitcmp0_b32 s19, 0
	s_mov_b32 s10, 0
	s_cbranch_scc0 .LBB54_34
; %bb.30:
	s_ashr_i32 s1, s13, 31
	s_mul_hi_u32 s7, s13, s2
	s_mul_i32 s1, s1, s2
	s_mul_i32 s6, s13, s2
	s_add_i32 s7, s7, s1
	s_mov_b32 s19, s11
	s_delay_alu instid0(SALU_CYCLE_1) | instskip(NEXT) | instid1(SALU_CYCLE_1)
	s_or_b64 s[14:15], s[6:7], s[18:19]
	s_mov_b32 s11, s15
	s_delay_alu instid0(SALU_CYCLE_1)
	s_cmp_lg_u64 s[10:11], 0
	s_cbranch_scc0 .LBB54_45
; %bb.31:
	s_add_u32 s14, s18, s19
	s_mov_b32 s10, s19
	s_mov_b32 s11, s19
	s_addc_u32 s15, s19, s19
	s_delay_alu instid0(SALU_CYCLE_1) | instskip(NEXT) | instid1(SALU_CYCLE_1)
	s_xor_b64 s[14:15], s[14:15], s[10:11]
	v_cvt_f32_u32_e32 v1, s14
	v_cvt_f32_u32_e32 v2, s15
	s_sub_u32 s20, 0, s14
	s_subb_u32 s21, 0, s15
	s_delay_alu instid0(VALU_DEP_1) | instskip(NEXT) | instid1(VALU_DEP_1)
	v_fmamk_f32 v1, v2, 0x4f800000, v1
	v_rcp_f32_e32 v1, v1
	s_waitcnt_depctr 0xfff
	v_mul_f32_e32 v1, 0x5f7ffffc, v1
	s_delay_alu instid0(VALU_DEP_1) | instskip(NEXT) | instid1(VALU_DEP_1)
	v_mul_f32_e32 v2, 0x2f800000, v1
	v_trunc_f32_e32 v2, v2
	s_delay_alu instid0(VALU_DEP_1) | instskip(SKIP_1) | instid1(VALU_DEP_2)
	v_fmamk_f32 v1, v2, 0xcf800000, v1
	v_cvt_u32_f32_e32 v2, v2
	v_cvt_u32_f32_e32 v1, v1
	s_delay_alu instid0(VALU_DEP_2) | instskip(NEXT) | instid1(VALU_DEP_2)
	v_readfirstlane_b32 s1, v2
	v_readfirstlane_b32 s19, v1
	s_delay_alu instid0(VALU_DEP_2) | instskip(NEXT) | instid1(VALU_DEP_1)
	s_mul_i32 s22, s20, s1
	s_mul_hi_u32 s24, s20, s19
	s_mul_i32 s23, s21, s19
	s_add_i32 s22, s24, s22
	s_mul_i32 s25, s20, s19
	s_add_i32 s22, s22, s23
	s_mul_hi_u32 s24, s19, s25
	s_mul_hi_u32 s26, s1, s25
	s_mul_i32 s23, s1, s25
	s_mul_hi_u32 s25, s19, s22
	s_mul_i32 s19, s19, s22
	s_mul_hi_u32 s27, s1, s22
	s_add_u32 s19, s24, s19
	s_addc_u32 s24, 0, s25
	s_add_u32 s19, s19, s23
	s_mul_i32 s22, s1, s22
	s_addc_u32 s19, s24, s26
	s_addc_u32 s23, s27, 0
	s_add_u32 s19, s19, s22
	s_addc_u32 s22, 0, s23
	v_add_co_u32 v1, s19, v1, s19
	s_delay_alu instid0(VALU_DEP_1) | instskip(SKIP_1) | instid1(VALU_DEP_1)
	s_cmp_lg_u32 s19, 0
	s_addc_u32 s1, s1, s22
	v_readfirstlane_b32 s19, v1
	s_mul_i32 s22, s20, s1
	s_delay_alu instid0(VALU_DEP_1)
	s_mul_hi_u32 s23, s20, s19
	s_mul_i32 s21, s21, s19
	s_add_i32 s22, s23, s22
	s_mul_i32 s20, s20, s19
	s_add_i32 s22, s22, s21
	s_mul_hi_u32 s23, s1, s20
	s_mul_i32 s24, s1, s20
	s_mul_hi_u32 s20, s19, s20
	s_mul_hi_u32 s25, s19, s22
	s_mul_i32 s19, s19, s22
	s_mul_hi_u32 s21, s1, s22
	s_add_u32 s19, s20, s19
	s_addc_u32 s20, 0, s25
	s_add_u32 s19, s19, s24
	s_mul_i32 s22, s1, s22
	s_addc_u32 s19, s20, s23
	s_addc_u32 s20, s21, 0
	s_add_u32 s19, s19, s22
	s_addc_u32 s20, 0, s20
	v_add_co_u32 v1, s19, v1, s19
	s_delay_alu instid0(VALU_DEP_1) | instskip(SKIP_2) | instid1(SALU_CYCLE_1)
	s_cmp_lg_u32 s19, 0
	s_addc_u32 s1, s1, s20
	s_ashr_i32 s20, s7, 31
	s_add_u32 s22, s6, s20
	s_addc_u32 s23, s7, s20
	v_readfirstlane_b32 s7, v1
	s_mov_b32 s21, s20
	s_delay_alu instid0(SALU_CYCLE_1) | instskip(NEXT) | instid1(SALU_CYCLE_1)
	s_xor_b64 s[22:23], s[22:23], s[20:21]
	s_mul_i32 s24, s22, s1
	s_delay_alu instid0(VALU_DEP_1)
	s_mul_hi_u32 s25, s22, s7
	s_mul_hi_u32 s19, s22, s1
	;; [unrolled: 1-line block ×3, first 2 shown]
	s_mul_i32 s7, s23, s7
	s_add_u32 s24, s25, s24
	s_addc_u32 s19, 0, s19
	s_mul_hi_u32 s26, s23, s1
	s_add_u32 s7, s24, s7
	s_mul_i32 s1, s23, s1
	s_addc_u32 s7, s19, s27
	s_addc_u32 s19, s26, 0
	s_add_u32 s7, s7, s1
	s_addc_u32 s19, 0, s19
	s_mul_i32 s26, s14, s7
	s_mul_hi_u32 s1, s14, s7
	s_mul_i32 s25, s14, s19
	v_sub_co_u32 v1, s22, s22, s26
	s_mul_i32 s24, s15, s7
	s_add_i32 s1, s1, s25
	s_delay_alu instid0(SALU_CYCLE_1) | instskip(NEXT) | instid1(VALU_DEP_1)
	s_add_i32 s1, s1, s24
	v_sub_co_u32 v2, s25, v1, s14
	s_sub_i32 s24, s23, s1
	s_cmp_lg_u32 s22, 0
	s_subb_u32 s24, s24, s15
	s_cmp_lg_u32 s25, 0
	v_cmp_le_u32_e32 vcc_lo, s14, v2
	s_subb_u32 s24, s24, 0
	s_delay_alu instid0(SALU_CYCLE_1)
	s_cmp_ge_u32 s24, s15
	v_cndmask_b32_e64 v2, 0, -1, vcc_lo
	s_cselect_b32 s25, -1, 0
	s_cmp_eq_u32 s24, s15
	s_cselect_b32 vcc_lo, -1, 0
	s_add_u32 s24, s7, 1
	v_cndmask_b32_e32 v2, s25, v2, vcc_lo
	s_addc_u32 s25, s19, 0
	s_add_u32 s26, s7, 2
	s_addc_u32 s27, s19, 0
	s_cmp_lg_u32 s22, 0
	v_cmp_le_u32_e32 vcc_lo, s14, v1
	s_subb_u32 s1, s23, s1
	v_mov_b32_e32 v40, s26
	s_cmp_ge_u32 s1, s15
	v_cndmask_b32_e64 v1, 0, -1, vcc_lo
	s_cselect_b32 s14, -1, 0
	s_cmp_eq_u32 s1, s15
	v_cmp_ne_u32_e32 vcc_lo, 0, v2
	v_mov_b32_e32 v2, s27
	s_cselect_b32 s1, -1, 0
	s_xor_b64 s[10:11], s[20:21], s[10:11]
	v_cndmask_b32_e64 v1, s14, v1, s1
	v_cndmask_b32_e32 v40, s24, v40, vcc_lo
	v_cndmask_b32_e32 v2, s25, v2, vcc_lo
	s_delay_alu instid0(VALU_DEP_3) | instskip(NEXT) | instid1(VALU_DEP_2)
	v_cmp_ne_u32_e32 vcc_lo, 0, v1
	v_cndmask_b32_e32 v1, s19, v2, vcc_lo
	s_delay_alu instid0(VALU_DEP_4) | instskip(NEXT) | instid1(VALU_DEP_2)
	v_cndmask_b32_e32 v2, s7, v40, vcc_lo
	v_xor_b32_e32 v40, s11, v1
	s_delay_alu instid0(VALU_DEP_2) | instskip(NEXT) | instid1(VALU_DEP_1)
	v_xor_b32_e32 v2, s10, v2
	v_sub_co_u32 v1, vcc_lo, v2, s10
	s_delay_alu instid0(VALU_DEP_3)
	v_subrev_co_ci_u32_e32 v2, vcc_lo, s11, v40, vcc_lo
	s_cbranch_execnz .LBB54_33
.LBB54_32:
	v_cvt_f32_u32_e32 v1, s18
	s_sub_i32 s7, 0, s18
	s_delay_alu instid0(VALU_DEP_1) | instskip(SKIP_2) | instid1(VALU_DEP_1)
	v_rcp_iflag_f32_e32 v1, v1
	s_waitcnt_depctr 0xfff
	v_mul_f32_e32 v1, 0x4f7ffffe, v1
	v_cvt_u32_f32_e32 v1, v1
	s_delay_alu instid0(VALU_DEP_1) | instskip(NEXT) | instid1(VALU_DEP_1)
	v_readfirstlane_b32 s1, v1
	s_mul_i32 s7, s7, s1
	s_delay_alu instid0(SALU_CYCLE_1) | instskip(NEXT) | instid1(SALU_CYCLE_1)
	s_mul_hi_u32 s7, s1, s7
	s_add_i32 s1, s1, s7
	s_delay_alu instid0(SALU_CYCLE_1) | instskip(NEXT) | instid1(SALU_CYCLE_1)
	s_mul_hi_u32 s1, s6, s1
	s_mul_i32 s7, s1, s18
	s_delay_alu instid0(SALU_CYCLE_1)
	s_sub_i32 s6, s6, s7
	s_add_i32 s7, s1, 1
	s_sub_i32 s10, s6, s18
	s_cmp_ge_u32 s6, s18
	s_cselect_b32 s1, s7, s1
	s_cselect_b32 s6, s10, s6
	s_add_i32 s10, s1, 1
	s_cmp_ge_u32 s6, s18
	s_mov_b32 s7, 0
	s_cselect_b32 s6, s10, s1
	s_delay_alu instid0(SALU_CYCLE_1)
	v_dual_mov_b32 v1, s6 :: v_dual_mov_b32 v2, s7
.LBB54_33:
	s_delay_alu instid0(VALU_DEP_1) | instskip(NEXT) | instid1(VALU_DEP_2)
	v_add_co_u32 v1, vcc_lo, v1, v39
	v_add_co_ci_u32_e32 v2, vcc_lo, 0, v2, vcc_lo
	s_branch .LBB54_36
.LBB54_34:
                                        ; implicit-def: $vgpr1_vgpr2
	s_cbranch_execz .LBB54_36
; %bb.35:
	v_mul_lo_u32 v1, v39, s12
	s_delay_alu instid0(VALU_DEP_1) | instskip(SKIP_1) | instid1(VALU_DEP_2)
	v_ashrrev_i32_e32 v2, 31, v1
	v_add_co_u32 v1, vcc_lo, v1, s2
	v_add_co_ci_u32_e32 v2, vcc_lo, 0, v2, vcc_lo
.LBB54_36:
	s_mov_b32 s1, exec_lo
.LBB54_37:
	s_or_b32 exec_lo, exec_lo, s16
	s_delay_alu instid0(SALU_CYCLE_1)
	s_and_b32 vcc_lo, exec_lo, s31
	s_cbranch_vccz .LBB54_41
.LBB54_38:
	v_mov_b32_dpp v1, v38 quad_perm:[1,0,3,2] row_mask:0xf bank_mask:0xf
	s_delay_alu instid0(VALU_DEP_1) | instskip(SKIP_1) | instid1(VALU_DEP_1)
	v_cmp_gt_f32_e32 vcc_lo, v38, v1
	v_cndmask_b32_e32 v1, v1, v38, vcc_lo
	v_mov_b32_dpp v2, v1 quad_perm:[2,3,0,1] row_mask:0xf bank_mask:0xf
	s_delay_alu instid0(VALU_DEP_1) | instskip(SKIP_1) | instid1(VALU_DEP_1)
	v_cmp_gt_f32_e32 vcc_lo, v1, v2
	v_cndmask_b32_e32 v1, v2, v1, vcc_lo
	v_mov_b32_dpp v2, v1 row_xmask:7 row_mask:0xf bank_mask:0xf
	s_delay_alu instid0(VALU_DEP_1) | instskip(SKIP_1) | instid1(VALU_DEP_1)
	v_cmp_gt_f32_e32 vcc_lo, v1, v2
	v_cndmask_b32_e32 v1, v2, v1, vcc_lo
	v_mov_b32_dpp v2, v1 row_xmask:15 row_mask:0xf bank_mask:0xf
	s_delay_alu instid0(VALU_DEP_1)
	v_cmp_gt_f32_e32 vcc_lo, v1, v2
	s_and_saveexec_b32 s1, s0
	s_cbranch_execz .LBB54_40
; %bb.39:
	v_cndmask_b32_e32 v1, v2, v1, vcc_lo
	v_lshrrev_b32_e32 v2, 3, v0
	s_mov_b32 s0, 0x76543210
	s_delay_alu instid0(VALU_DEP_1) | instskip(NEXT) | instid1(VALU_DEP_3)
	v_and_b32_e32 v2, 0x7c, v2
	v_permlanex16_b32 v22, v1, s0, 0xfedcba98 op_sel:[1,1]
	s_delay_alu instid0(VALU_DEP_1)
	v_cmp_gt_f32_e32 vcc_lo, v1, v22
	v_cndmask_b32_e32 v1, v22, v1, vcc_lo
	ds_store_b32 v2, v1
.LBB54_40:
	s_or_b32 exec_lo, exec_lo, s1
	s_waitcnt lgkmcnt(0)
	s_barrier
	buffer_gl0_inv
	ds_load_b32 v1, v17
	v_cmp_eq_u32_e64 s1, 0, v0
	s_waitcnt lgkmcnt(0)
	v_mov_b32_dpp v2, v1 quad_perm:[1,0,3,2] row_mask:0xf bank_mask:0xf
	s_delay_alu instid0(VALU_DEP_1) | instskip(SKIP_1) | instid1(VALU_DEP_1)
	v_cmp_gt_f32_e32 vcc_lo, v1, v2
	v_cndmask_b32_e32 v1, v2, v1, vcc_lo
	v_mov_b32_dpp v2, v1 quad_perm:[2,3,0,1] row_mask:0xf bank_mask:0xf
	s_delay_alu instid0(VALU_DEP_1) | instskip(SKIP_1) | instid1(VALU_DEP_1)
	v_cmp_gt_f32_e32 vcc_lo, v1, v2
	v_cndmask_b32_e32 v1, v2, v1, vcc_lo
	v_mov_b32_dpp v2, v1 row_xmask:7 row_mask:0xf bank_mask:0xf
	s_delay_alu instid0(VALU_DEP_1) | instskip(SKIP_1) | instid1(VALU_DEP_1)
	v_cmp_gt_f32_e32 vcc_lo, v1, v2
	v_cndmask_b32_e32 v1, v2, v1, vcc_lo
	v_dual_mul_f32 v22, 0x3c010204, v1 :: v_dual_mov_b32 v1, s2
	v_mov_b32_e32 v2, s3
.LBB54_41:
	s_and_saveexec_b32 s0, s1
	s_cbranch_execz .LBB54_43
; %bb.42:
	s_delay_alu instid0(VALU_DEP_1) | instskip(NEXT) | instid1(VALU_DEP_1)
	v_lshlrev_b64 v[0:1], 2, v[1:2]
	v_add_co_u32 v0, vcc_lo, s8, v0
	s_delay_alu instid0(VALU_DEP_2)
	v_add_co_ci_u32_e32 v1, vcc_lo, s9, v1, vcc_lo
	global_store_b32 v[0:1], v22, off
.LBB54_43:
	s_or_b32 exec_lo, exec_lo, s0
	;;#ASMSTART
	v_rcp_f32 v2, v22
	;;#ASMEND
	v_mul_f32_e32 v22, v2, v34
	v_mul_f32_e32 v31, v2, v31
	;; [unrolled: 1-line block ×4, first 2 shown]
	s_add_i32 s0, s13, 3
	v_cvt_i32_f32_e32 v22, v22
	v_mul_f32_e32 v1, v2, v36
	v_cvt_i32_f32_e32 v31, v31
	v_mul_f32_e32 v0, v2, v37
	v_cvt_i32_f32_e32 v13, v13
	v_and_b32_e32 v22, 0xff, v22
	v_cvt_i32_f32_e32 v1, v1
	v_mul_f32_e32 v24, v2, v24
	v_cvt_i32_f32_e32 v0, v0
	v_and_b32_e32 v13, 0xff, v13
	s_ashr_i32 s3, s0, 31
	v_and_b32_e32 v1, 0xff, v1
	v_cvt_i32_f32_e32 v24, v24
	v_lshlrev_b16 v0, 8, v0
	s_ashr_i32 s1, s17, 31
	s_lshr_b32 s3, s3, 30
	v_cvt_i32_f32_e32 v14, v14
	s_mul_hi_u32 s6, s17, s2
	v_or_b32_e32 v0, v1, v0
	v_mul_f32_e32 v33, v2, v33
	s_add_i32 s0, s0, s3
	s_mul_i32 s1, s1, s2
	s_mul_i32 s7, s17, s2
	v_and_b32_e32 v0, 0xffff, v0
	v_cvt_i32_f32_e32 v33, v33
	v_mul_f32_e32 v17, v2, v35
	s_and_b32 s2, s0, -4
	s_add_i32 s6, s6, s1
	s_add_u32 s0, s4, s7
	v_lshlrev_b16 v14, 8, v14
	v_cvt_i32_f32_e32 v17, v17
	s_addc_u32 s1, s5, s6
	s_mov_b32 s3, -1
	s_and_b32 s1, s1, 0xffff
	v_and_b32_e32 v24, 0xff, v24
	v_lshlrev_b16 v17, 8, v17
	v_or_b32_e32 v13, v13, v14
	v_mul_f32_e32 v5, v2, v5
	v_mul_f32_e32 v6, v2, v6
	v_mul_f32_e32 v12, v2, v12
	v_or_b32_e32 v1, v22, v17
	v_mul_f32_e32 v17, v2, v30
	v_mul_f32_e32 v32, v2, v32
	v_and_b32_e32 v30, 0xff, v33
	v_cvt_i32_f32_e32 v5, v5
	v_lshlrev_b32_e32 v1, 16, v1
	v_cvt_i32_f32_e32 v17, v17
	v_cvt_i32_f32_e32 v32, v32
	s_delay_alu instid0(VALU_DEP_4) | instskip(NEXT) | instid1(VALU_DEP_4)
	v_dual_mul_f32 v16, v2, v16 :: v_dual_and_b32 v5, 0xff, v5
	v_or_b32_e32 v1, v0, v1
	v_mul_f32_e32 v0, v2, v28
	v_mul_f32_e32 v28, v2, v29
	v_lshlrev_b16 v17, 8, v17
	v_and_b32_e32 v29, 0xff, v31
	v_lshlrev_b16 v22, 8, v32
	v_cvt_i32_f32_e32 v16, v16
	v_cvt_i32_f32_e32 v28, v28
	;; [unrolled: 1-line block ×3, first 2 shown]
	v_or_b32_e32 v17, v29, v17
	v_or_b32_e32 v22, v30, v22
	v_lshlrev_b16 v16, 8, v16
	v_lshlrev_b16 v28, 8, v28
	;; [unrolled: 1-line block ×3, first 2 shown]
	v_lshlrev_b32_e32 v17, 16, v17
	v_cvt_i32_f32_e32 v0, v0
	v_dual_mul_f32 v25, v2, v25 :: v_dual_and_b32 v22, 0xffff, v22
	v_mul_f32_e32 v7, v2, v7
	v_mul_f32_e32 v8, v2, v8
	s_delay_alu instid0(VALU_DEP_4) | instskip(NEXT) | instid1(VALU_DEP_4)
	v_and_b32_e32 v0, 0xff, v0
	v_cvt_i32_f32_e32 v25, v25
	v_mul_f32_e32 v4, v2, v4
	v_or_b32_e32 v5, v5, v6
	v_lshlrev_b32_e32 v13, 16, v13
	v_or_b32_e32 v0, v0, v28
	v_lshlrev_b16 v25, 8, v25
	s_delay_alu instid0(VALU_DEP_4) | instskip(SKIP_2) | instid1(VALU_DEP_3)
	v_dual_mul_f32 v10, v2, v10 :: v_dual_and_b32 v5, 0xffff, v5
	v_cvt_i32_f32_e32 v4, v4
	s_movk_i32 s4, 0x100
	v_or_b32_e32 v24, v24, v25
	v_and_b32_e32 v25, 0xffff, v0
	v_or_b32_e32 v0, v22, v17
	v_cvt_i32_f32_e32 v10, v10
	v_lshlrev_b16 v4, 8, v4
	v_dual_mul_f32 v11, v2, v11 :: v_dual_and_b32 v24, 0xffff, v24
	buffer_store_b64 v[0:1], v21, s[0:3], 0 offen
	v_mul_f32_e32 v1, v2, v18
	v_mul_f32_e32 v0, v2, v19
	;;#ASMSTART
	s_nop 0
	;;#ASMEND
	v_mul_f32_e32 v9, v2, v9
	v_cvt_i32_f32_e32 v11, v11
	v_cvt_i32_f32_e32 v1, v1
	;; [unrolled: 1-line block ×3, first 2 shown]
	v_mul_f32_e32 v15, v2, v15
	v_cvt_i32_f32_e32 v9, v9
	v_lshlrev_b16 v11, 8, v11
	v_lshlrev_b16 v1, 8, v1
	v_and_b32_e32 v0, 0xff, v0
	v_cvt_i32_f32_e32 v15, v15
	v_dual_mul_f32 v26, v2, v26 :: v_dual_and_b32 v9, 0xff, v9
	s_delay_alu instid0(VALU_DEP_3) | instskip(NEXT) | instid1(VALU_DEP_3)
	v_or_b32_e32 v0, v0, v1
	v_and_b32_e32 v15, 0xff, v15
	s_delay_alu instid0(VALU_DEP_3) | instskip(NEXT) | instid1(VALU_DEP_3)
	v_cvt_i32_f32_e32 v26, v26
	v_dual_mul_f32 v23, v2, v23 :: v_dual_and_b32 v0, 0xffff, v0
	s_delay_alu instid0(VALU_DEP_3) | instskip(NEXT) | instid1(VALU_DEP_3)
	v_or_b32_e32 v15, v15, v16
	v_and_b32_e32 v26, 0xff, v26
	v_mul_f32_e32 v20, v2, v20
	s_delay_alu instid0(VALU_DEP_4) | instskip(NEXT) | instid1(VALU_DEP_4)
	v_cvt_i32_f32_e32 v23, v23
	v_and_b32_e32 v1, 0xffff, v15
	s_delay_alu instid0(VALU_DEP_3) | instskip(SKIP_1) | instid1(VALU_DEP_4)
	v_cvt_i32_f32_e32 v20, v20
	v_mul_f32_e32 v27, v2, v27
	v_lshlrev_b16 v23, 8, v23
	v_mul_f32_e32 v2, v2, v3
	v_or_b32_e32 v1, v1, v13
	v_and_b32_e32 v20, 0xff, v20
	v_cvt_i32_f32_e32 v27, v27
	s_delay_alu instid0(VALU_DEP_4) | instskip(NEXT) | instid1(VALU_DEP_3)
	v_cvt_i32_f32_e32 v2, v2
	v_or_b32_e32 v20, v20, v23
	s_delay_alu instid0(VALU_DEP_3) | instskip(NEXT) | instid1(VALU_DEP_3)
	v_lshlrev_b16 v27, 8, v27
	v_and_b32_e32 v2, 0xff, v2
	v_cvt_i32_f32_e32 v3, v7
	s_delay_alu instid0(VALU_DEP_4) | instskip(NEXT) | instid1(VALU_DEP_4)
	v_lshlrev_b32_e32 v20, 16, v20
	v_or_b32_e32 v23, v26, v27
	v_cvt_i32_f32_e32 v7, v8
	v_lshlrev_b16 v8, 8, v10
	v_and_b32_e32 v3, 0xff, v3
	v_cvt_i32_f32_e32 v12, v12
	v_lshlrev_b32_e32 v26, 16, v23
	v_lshlrev_b16 v7, 8, v7
	v_or_b32_e32 v2, v2, v4
	v_or_b32_e32 v4, v9, v8
	v_and_b32_e32 v12, 0xff, v12
	v_or_b32_e32 v23, v24, v20
	v_or_b32_e32 v3, v3, v7
	v_lshlrev_b32_e32 v2, 16, v2
	v_and_b32_e32 v4, 0xffff, v4
	v_or_b32_e32 v10, v12, v11
	v_or_b32_e32 v22, v25, v26
	v_lshlrev_b32_e32 v7, 16, v3
	v_or_b32_e32 v3, v5, v2
	s_delay_alu instid0(VALU_DEP_4)
	v_lshlrev_b32_e32 v6, 16, v10
	buffer_store_b64 v[22:23], v21, s[0:3], s4 offen
	v_or_b32_e32 v2, v4, v7
	s_movk_i32 s4, 0x200
	;;#ASMSTART
	s_nop 0
	;;#ASMEND
	v_or_b32_e32 v0, v0, v6
	buffer_store_b64 v[0:1], v21, s[0:3], s4 offen
	s_movk_i32 s4, 0x300
	;;#ASMSTART
	s_nop 0
	;;#ASMEND
	buffer_store_b64 v[2:3], v21, s[0:3], s4 offen
	;;#ASMSTART
	s_nop 0
	;;#ASMEND
.LBB54_44:
	s_nop 0
	s_sendmsg sendmsg(MSG_DEALLOC_VGPRS)
	s_endpgm
.LBB54_45:
                                        ; implicit-def: $vgpr1_vgpr2
	s_branch .LBB54_32
	.section	.rodata,"a",@progbits
	.p2align	6, 0x0
	.amdhsa_kernel _ZN5aiter24add_rmsnorm_quant_kernelItaLi256ELi32ELb1ELb1ELb1ELi1EEEvPT0_PT_PfS4_S4_S4_diiiiiiib
		.amdhsa_group_segment_fixed_size 64
		.amdhsa_private_segment_fixed_size 0
		.amdhsa_kernarg_size 88
		.amdhsa_user_sgpr_count 15
		.amdhsa_user_sgpr_dispatch_ptr 0
		.amdhsa_user_sgpr_queue_ptr 0
		.amdhsa_user_sgpr_kernarg_segment_ptr 1
		.amdhsa_user_sgpr_dispatch_id 0
		.amdhsa_user_sgpr_private_segment_size 0
		.amdhsa_wavefront_size32 1
		.amdhsa_uses_dynamic_stack 0
		.amdhsa_enable_private_segment 0
		.amdhsa_system_sgpr_workgroup_id_x 1
		.amdhsa_system_sgpr_workgroup_id_y 0
		.amdhsa_system_sgpr_workgroup_id_z 0
		.amdhsa_system_sgpr_workgroup_info 0
		.amdhsa_system_vgpr_workitem_id 0
		.amdhsa_next_free_vgpr 82
		.amdhsa_next_free_sgpr 40
		.amdhsa_reserve_vcc 1
		.amdhsa_float_round_mode_32 0
		.amdhsa_float_round_mode_16_64 0
		.amdhsa_float_denorm_mode_32 3
		.amdhsa_float_denorm_mode_16_64 3
		.amdhsa_dx10_clamp 1
		.amdhsa_ieee_mode 1
		.amdhsa_fp16_overflow 0
		.amdhsa_workgroup_processor_mode 1
		.amdhsa_memory_ordered 1
		.amdhsa_forward_progress 0
		.amdhsa_shared_vgpr_count 0
		.amdhsa_exception_fp_ieee_invalid_op 0
		.amdhsa_exception_fp_denorm_src 0
		.amdhsa_exception_fp_ieee_div_zero 0
		.amdhsa_exception_fp_ieee_overflow 0
		.amdhsa_exception_fp_ieee_underflow 0
		.amdhsa_exception_fp_ieee_inexact 0
		.amdhsa_exception_int_div_zero 0
	.end_amdhsa_kernel
	.section	.text._ZN5aiter24add_rmsnorm_quant_kernelItaLi256ELi32ELb1ELb1ELb1ELi1EEEvPT0_PT_PfS4_S4_S4_diiiiiiib,"axG",@progbits,_ZN5aiter24add_rmsnorm_quant_kernelItaLi256ELi32ELb1ELb1ELb1ELi1EEEvPT0_PT_PfS4_S4_S4_diiiiiiib,comdat
.Lfunc_end54:
	.size	_ZN5aiter24add_rmsnorm_quant_kernelItaLi256ELi32ELb1ELb1ELb1ELi1EEEvPT0_PT_PfS4_S4_S4_diiiiiiib, .Lfunc_end54-_ZN5aiter24add_rmsnorm_quant_kernelItaLi256ELi32ELb1ELb1ELb1ELi1EEEvPT0_PT_PfS4_S4_S4_diiiiiiib
                                        ; -- End function
	.section	.AMDGPU.csdata,"",@progbits
; Kernel info:
; codeLenInByte = 6120
; NumSgprs: 42
; NumVgprs: 82
; ScratchSize: 0
; MemoryBound: 0
; FloatMode: 240
; IeeeMode: 1
; LDSByteSize: 64 bytes/workgroup (compile time only)
; SGPRBlocks: 5
; VGPRBlocks: 10
; NumSGPRsForWavesPerEU: 42
; NumVGPRsForWavesPerEU: 82
; Occupancy: 16
; WaveLimiterHint : 0
; COMPUTE_PGM_RSRC2:SCRATCH_EN: 0
; COMPUTE_PGM_RSRC2:USER_SGPR: 15
; COMPUTE_PGM_RSRC2:TRAP_HANDLER: 0
; COMPUTE_PGM_RSRC2:TGID_X_EN: 1
; COMPUTE_PGM_RSRC2:TGID_Y_EN: 0
; COMPUTE_PGM_RSRC2:TGID_Z_EN: 0
; COMPUTE_PGM_RSRC2:TIDIG_COMP_CNT: 0
	.section	.text._ZN5aiter24add_rmsnorm_quant_kernelIDF16_aLi256ELi32ELb1ELb1ELb0ELi1EEEvPT0_PT_PfS4_S4_S4_diiiiiiib,"axG",@progbits,_ZN5aiter24add_rmsnorm_quant_kernelIDF16_aLi256ELi32ELb1ELb1ELb0ELi1EEEvPT0_PT_PfS4_S4_S4_diiiiiiib,comdat
	.protected	_ZN5aiter24add_rmsnorm_quant_kernelIDF16_aLi256ELi32ELb1ELb1ELb0ELi1EEEvPT0_PT_PfS4_S4_S4_diiiiiiib ; -- Begin function _ZN5aiter24add_rmsnorm_quant_kernelIDF16_aLi256ELi32ELb1ELb1ELb0ELi1EEEvPT0_PT_PfS4_S4_S4_diiiiiiib
	.globl	_ZN5aiter24add_rmsnorm_quant_kernelIDF16_aLi256ELi32ELb1ELb1ELb0ELi1EEEvPT0_PT_PfS4_S4_S4_diiiiiiib
	.p2align	8
	.type	_ZN5aiter24add_rmsnorm_quant_kernelIDF16_aLi256ELi32ELb1ELb1ELb0ELi1EEEvPT0_PT_PfS4_S4_S4_diiiiiiib,@function
_ZN5aiter24add_rmsnorm_quant_kernelIDF16_aLi256ELi32ELb1ELb1ELb0ELi1EEEvPT0_PT_PfS4_S4_S4_diiiiiiib: ; @_ZN5aiter24add_rmsnorm_quant_kernelIDF16_aLi256ELi32ELb1ELb1ELb0ELi1EEEvPT0_PT_PfS4_S4_S4_diiiiiiib
; %bb.0:
	s_mov_b32 s2, s15
	s_load_b256 s[12:19], s[0:1], 0x38
	s_mov_b32 s3, 0
	s_waitcnt lgkmcnt(0)
	s_ashr_i32 s5, s12, 31
	s_mov_b32 s4, s12
	s_delay_alu instid0(SALU_CYCLE_1) | instskip(NEXT) | instid1(VALU_DEP_1)
	v_cmp_ge_i64_e64 s4, s[2:3], s[4:5]
	s_and_b32 vcc_lo, exec_lo, s4
	s_cbranch_vccnz .LBB55_44
; %bb.1:
	s_clause 0x1
	s_load_b256 s[4:11], s[0:1], 0x0
	s_load_b256 s[20:27], s[0:1], 0x20
	s_ashr_i32 s0, s14, 31
	s_mul_hi_u32 s1, s14, s2
	s_waitcnt lgkmcnt(0)
	s_mul_i32 s26, s0, s2
	s_mul_i32 s0, s14, s2
	s_add_i32 s1, s1, s26
	v_lshlrev_b32_e32 v29, 6, v0
	s_lshl_b64 s[0:1], s[0:1], 1
	s_mov_b32 s31, -1
	s_delay_alu instid0(SALU_CYCLE_1)
	s_mov_b32 s39, s31
	s_add_u32 s28, s10, s0
	s_addc_u32 s0, s11, s1
	s_add_i32 s1, s13, 1
	s_mul_hi_u32 s11, s15, s2
	s_lshr_b32 s10, s1, 31
	s_and_b32 s29, s0, 0xffff
	s_add_i32 s1, s1, s10
	s_ashr_i32 s10, s15, 31
	s_lshl_b32 s1, s1, 1
	s_mul_i32 s10, s10, s2
	s_and_b32 s30, s1, -4
	s_mul_i32 s0, s15, s2
	s_add_i32 s1, s11, s10
	s_and_b32 s37, s23, 0xffff
	s_lshl_b64 s[0:1], s[0:1], 1
	s_clause 0x3
	buffer_load_b128 v[30:33], v29, s[28:31], 0 offen
	buffer_load_b128 v[34:37], v29, s[28:31], 16 offen
	;; [unrolled: 1-line block ×4, first 2 shown]
	s_add_u32 s28, s20, s0
	s_addc_u32 s0, s21, s1
	s_mov_b32 s36, s22
	s_and_b32 s29, s0, 0xffff
	s_clause 0x3
	buffer_load_b128 v[42:45], v29, s[28:31], 0 offen
	buffer_load_b128 v[46:49], v29, s[28:31], 16 offen
	;; [unrolled: 1-line block ×4, first 2 shown]
	s_mov_b32 s38, s30
	s_ashr_i32 s0, s16, 31
	s_mul_hi_u32 s1, s16, s2
	s_mul_i32 s10, s0, s2
	s_mul_i32 s0, s16, s2
	s_add_i32 s1, s1, s10
	s_delay_alu instid0(SALU_CYCLE_1) | instskip(NEXT) | instid1(SALU_CYCLE_1)
	s_lshl_b64 s[0:1], s[0:1], 1
	s_add_u32 s28, s6, s0
	s_addc_u32 s0, s7, s1
	s_delay_alu instid0(SALU_CYCLE_1)
	s_and_b32 s29, s0, 0xffff
	s_waitcnt vmcnt(6)
	v_cvt_f32_f16_e32 v57, v34
	v_cvt_f32_f16_e32 v50, v30
	v_lshrrev_b32_e32 v30, 16, v30
	v_cvt_f32_f16_e32 v51, v31
	v_lshrrev_b32_e32 v52, 16, v31
	s_waitcnt vmcnt(3)
	v_lshrrev_b32_e32 v31, 16, v42
	v_cvt_f32_f16_e32 v53, v32
	v_cvt_f32_f16_e32 v30, v30
	v_lshrrev_b32_e32 v54, 16, v32
	v_lshrrev_b32_e32 v58, 16, v34
	v_cvt_f32_f16_e32 v31, v31
	v_cvt_f32_f16_e32 v32, v42
	v_lshrrev_b32_e32 v34, 16, v43
	v_cvt_f32_f16_e32 v55, v33
	v_lshrrev_b32_e32 v56, 16, v33
	v_add_f32_e32 v30, v30, v31
	s_clause 0x3
	buffer_load_b128 v[13:16], v29, s[36:39], 0 offen
	buffer_load_b128 v[9:12], v29, s[36:39], 16 offen
	;; [unrolled: 1-line block ×4, first 2 shown]
	v_cvt_f32_f16_e32 v59, v35
	v_lshrrev_b32_e32 v60, 16, v35
	v_cvt_f32_f16_e32 v63, v37
	v_lshrrev_b32_e32 v64, 16, v37
	v_cvt_f32_f16_e32 v33, v43
	v_add_f32_e32 v31, v50, v32
	v_cvt_f32_f16_e32 v43, v40
	v_cvt_f32_f16_e32 v35, v52
	v_cvt_f32_f16_e32 v34, v34
	v_add_f32_e32 v32, v51, v33
	v_lshrrev_b32_e32 v50, 16, v40
	v_lshrrev_b32_e32 v37, 16, v44
	s_waitcnt vmcnt(6)
	v_lshrrev_b32_e32 v40, 16, v46
	v_cvt_f32_f16_e32 v65, v38
	v_lshrrev_b32_e32 v66, 16, v38
	v_lshrrev_b32_e32 v38, 16, v45
	v_cvt_f32_f16_e32 v37, v37
	v_cvt_f32_f16_e32 v40, v40
	v_add_f32_e32 v33, v35, v34
	v_cvt_f32_f16_e32 v35, v54
	v_dual_mul_f32 v69, v30, v30 :: v_dual_and_b32 v68, 31, v0
	v_cvt_f32_f16_e32 v61, v36
	v_lshrrev_b32_e32 v62, 16, v36
	v_cvt_f32_f16_e32 v67, v39
	v_lshrrev_b32_e32 v42, 16, v39
	v_cvt_f32_f16_e32 v36, v44
	v_add_f32_e32 v35, v35, v37
	v_cvt_f32_f16_e32 v37, v56
	v_cvt_f32_f16_e32 v38, v38
	;; [unrolled: 1-line block ×3, first 2 shown]
	v_dual_fmac_f32 v69, v31, v31 :: v_dual_add_f32 v34, v53, v36
	v_cvt_f32_f16_e32 v36, v45
	v_cvt_f32_f16_e32 v45, v25
	v_lshrrev_b32_e32 v51, 16, v25
	v_cvt_f32_f16_e32 v42, v42
	v_add_f32_e32 v25, v37, v38
	v_cvt_f32_f16_e32 v38, v58
	v_add_f32_e32 v37, v57, v39
	v_cvt_f32_f16_e32 v39, v47
	v_lshrrev_b32_e32 v47, 16, v47
	v_fmac_f32_e32 v69, v32, v32
	v_cvt_f32_f16_e32 v46, v26
	v_lshrrev_b32_e32 v52, 16, v26
	v_add_f32_e32 v26, v38, v40
	v_add_f32_e32 v38, v59, v39
	v_cvt_f32_f16_e32 v40, v60
	v_cvt_f32_f16_e32 v47, v47
	;; [unrolled: 1-line block ×3, first 2 shown]
	v_lshrrev_b32_e32 v48, 16, v48
	v_cvt_f32_f16_e32 v53, v27
	v_lshrrev_b32_e32 v54, 16, v27
	v_cvt_f32_f16_e32 v56, v49
	;; [unrolled: 2-line block ×3, first 2 shown]
	s_waitcnt vmcnt(4)
	v_cvt_f32_f16_e32 v60, v17
	v_add_f32_e32 v27, v40, v47
	v_cvt_f32_f16_e32 v40, v62
	v_dual_fmac_f32 v69, v33, v33 :: v_dual_add_f32 v36, v55, v36
	v_cvt_f32_f16_e32 v47, v28
	v_lshrrev_b32_e32 v55, 16, v28
	s_delay_alu instid0(VALU_DEP_4)
	v_add_f32_e32 v28, v40, v48
	v_cvt_f32_f16_e32 v48, v64
	v_cvt_f32_f16_e32 v49, v49
	v_dual_fmac_f32 v69, v34, v34 :: v_dual_add_f32 v40, v63, v56
	v_cvt_f32_f16_e32 v56, v21
	v_lshrrev_b32_e32 v58, 16, v21
	s_delay_alu instid0(VALU_DEP_4)
	v_add_f32_e32 v21, v48, v49
	v_lshrrev_b32_e32 v49, 16, v22
	v_cvt_f32_f16_e32 v44, v41
	v_lshrrev_b32_e32 v41, 16, v41
	v_cvt_f32_f16_e32 v57, v66
	v_cvt_f32_f16_e32 v48, v22
	;; [unrolled: 1-line block ×3, first 2 shown]
	v_lshrrev_b32_e32 v59, 16, v23
	v_cvt_f32_f16_e32 v49, v49
	v_dual_fmac_f32 v69, v35, v35 :: v_dual_add_f32 v22, v65, v56
	v_cvt_f32_f16_e32 v50, v50
	v_cvt_f32_f16_e32 v56, v23
	v_add_f32_e32 v23, v57, v58
	v_cvt_f32_f16_e32 v57, v41
	v_cvt_f32_f16_e32 v58, v24
	v_add_f32_e32 v41, v67, v48
	v_lshrrev_b32_e32 v48, 16, v24
	v_add_f32_e32 v24, v42, v49
	v_cvt_f32_f16_e32 v49, v52
	v_cvt_f32_f16_e32 v52, v59
	v_add_f32_e32 v42, v43, v56
	v_cvt_f32_f16_e32 v56, v18
	v_cvt_f32_f16_e32 v54, v54
	v_lshrrev_b32_e32 v17, 16, v17
	v_add_f32_e32 v43, v50, v52
	v_cvt_f32_f16_e32 v50, v19
	v_fmac_f32_e32 v69, v36, v36
	v_lshrrev_b32_e32 v52, 16, v19
	v_dual_add_f32 v19, v44, v58 :: v_dual_add_f32 v44, v45, v60
	s_delay_alu instid0(VALU_DEP_4) | instskip(NEXT) | instid1(VALU_DEP_3)
	v_dual_add_f32 v45, v46, v56 :: v_dual_add_f32 v46, v53, v50
	v_cvt_f32_f16_e32 v52, v52
	v_fmac_f32_e32 v69, v25, v25
	v_cvt_f32_f16_e32 v48, v48
	v_cvt_f32_f16_e32 v51, v51
	;; [unrolled: 1-line block ×3, first 2 shown]
	s_delay_alu instid0(VALU_DEP_4)
	v_dual_add_f32 v50, v54, v52 :: v_dual_fmac_f32 v69, v37, v37
	v_lshrrev_b32_e32 v59, 16, v20
	v_add_f32_e32 v20, v57, v48
	v_cvt_f32_f16_e32 v17, v17
	v_add_f32_e32 v39, v61, v39
	v_fmac_f32_e32 v69, v26, v26
	v_lshrrev_b32_e32 v18, 16, v18
	v_cvt_f32_f16_e32 v55, v55
	v_add_f32_e32 v48, v51, v17
	v_cvt_f32_f16_e32 v53, v59
	v_fmac_f32_e32 v69, v38, v38
	v_cvt_f32_f16_e32 v18, v18
	v_add_f32_e32 v47, v47, v58
	v_cvt_f16_f32_e32 v17, v31
	v_add_f32_e32 v51, v55, v53
	v_fmac_f32_e32 v69, v27, v27
	v_add_f32_e32 v49, v49, v18
	v_cvt_f16_f32_e32 v52, v30
	v_cvt_f16_f32_e32 v58, v36
	;; [unrolled: 1-line block ×3, first 2 shown]
	v_fmac_f32_e32 v69, v39, v39
	v_cvt_f16_f32_e32 v55, v25
	v_pack_b32_f16 v52, v17, v52
	v_cvt_f16_f32_e32 v74, v28
	v_cvt_f16_f32_e32 v56, v32
	v_fmac_f32_e32 v69, v28, v28
	v_pack_b32_f16 v55, v58, v55
	v_cvt_f16_f32_e32 v57, v34
	v_pack_b32_f16 v58, v18, v74
	v_cvt_f16_f32_e32 v60, v37
	v_fmac_f32_e32 v69, v40, v40
	v_cvt_f16_f32_e32 v61, v38
	v_cvt_f16_f32_e32 v59, v40
	v_cvt_f16_f32_e32 v64, v22
	v_cvt_f16_f32_e32 v65, v41
	v_fmac_f32_e32 v69, v21, v21
	v_cvt_f16_f32_e32 v62, v42
	v_cvt_f16_f32_e32 v63, v19
	v_cvt_f16_f32_e32 v70, v44
	;; [unrolled: 5-line block ×6, first 2 shown]
	v_pack_b32_f16 v54, v57, v54
	v_fmac_f32_e32 v69, v42, v42
	v_pack_b32_f16 v53, v56, v53
	v_pack_b32_f16 v59, v59, v75
	v_pack_b32_f16 v57, v61, v73
	v_pack_b32_f16 v56, v60, v72
	v_fmac_f32_e32 v69, v43, v43
	v_pack_b32_f16 v63, v63, v79
	v_pack_b32_f16 v62, v62, v78
	v_pack_b32_f16 v61, v65, v77
	v_pack_b32_f16 v60, v64, v76
	v_fmac_f32_e32 v69, v19, v19
	v_pack_b32_f16 v67, v67, v84
	v_pack_b32_f16 v66, v66, v83
	v_pack_b32_f16 v65, v71, v82
	v_pack_b32_f16 v64, v70, v81
	v_fmac_f32_e32 v69, v20, v20
	v_cmp_eq_u32_e64 s0, 31, v68
	buffer_store_b128 v[52:55], v29, s[28:31], 0 offen
	;;#ASMSTART
	s_nop 0
	;;#ASMEND
	buffer_store_b128 v[56:59], v29, s[28:31], 16 offen
	v_fmac_f32_e32 v69, v44, v44
	;;#ASMSTART
	s_nop 0
	;;#ASMEND
	buffer_store_b128 v[60:63], v29, s[28:31], 32 offen
	;;#ASMSTART
	s_nop 0
	;;#ASMEND
	buffer_store_b128 v[64:67], v29, s[28:31], 48 offen
	v_fmac_f32_e32 v69, v48, v48
	;;#ASMSTART
	s_nop 0
	;;#ASMEND
	s_delay_alu instid0(VALU_DEP_1) | instskip(NEXT) | instid1(VALU_DEP_1)
	v_fmac_f32_e32 v69, v45, v45
	v_fmac_f32_e32 v69, v49, v49
	s_delay_alu instid0(VALU_DEP_1) | instskip(NEXT) | instid1(VALU_DEP_1)
	v_fmac_f32_e32 v69, v46, v46
	v_fmac_f32_e32 v69, v50, v50
	;; [unrolled: 3-line block ×3, first 2 shown]
	s_delay_alu instid0(VALU_DEP_1) | instskip(NEXT) | instid1(VALU_DEP_1)
	v_mov_b32_dpp v80, v69 quad_perm:[1,0,3,2] row_mask:0xf bank_mask:0xf
	v_add_f32_e32 v69, v69, v80
	s_delay_alu instid0(VALU_DEP_1) | instskip(NEXT) | instid1(VALU_DEP_1)
	v_mov_b32_dpp v17, v69 quad_perm:[2,3,0,1] row_mask:0xf bank_mask:0xf
	v_add_f32_e32 v17, v69, v17
	s_delay_alu instid0(VALU_DEP_1) | instskip(NEXT) | instid1(VALU_DEP_1)
	v_mov_b32_dpp v18, v17 row_xmask:7 row_mask:0xf bank_mask:0xf
	v_add_f32_e32 v17, v17, v18
	s_delay_alu instid0(VALU_DEP_1)
	v_mov_b32_dpp v18, v17 row_xmask:15 row_mask:0xf bank_mask:0xf
	s_and_saveexec_b32 s1, s0
	s_cbranch_execz .LBB55_3
; %bb.2:
	s_delay_alu instid0(VALU_DEP_1) | instskip(SKIP_2) | instid1(VALU_DEP_2)
	v_add_f32_e32 v17, v17, v18
	s_mov_b32 s6, 0x76543210
	v_lshrrev_b32_e32 v18, 3, v0
	v_permlanex16_b32 v29, v17, s6, 0xfedcba98 op_sel:[1,1]
	s_delay_alu instid0(VALU_DEP_1)
	v_dual_add_f32 v17, v17, v29 :: v_dual_and_b32 v18, 0x7c, v18
	ds_store_b32 v18, v17 offset:32
.LBB55_3:
	s_or_b32 exec_lo, exec_lo, s1
	v_and_b32_e32 v17, 7, v0
	s_waitcnt vmcnt(0) lgkmcnt(0)
	s_waitcnt_vscnt null, 0x0
	s_barrier
	buffer_gl0_inv
	v_cvt_f32_i32_e32 v52, s13
	v_lshlrev_b32_e32 v18, 2, v17
	v_cvt_f32_f16_e32 v67, v4
	v_lshrrev_b32_e32 v4, 16, v4
	v_cvt_f32_f16_e32 v57, v10
	v_lshrrev_b32_e32 v10, 16, v10
	ds_load_b32 v17, v18 offset:32
	v_cvt_f32_f16_e32 v59, v12
	v_lshrrev_b32_e32 v12, 16, v12
	v_cvt_f32_f16_e32 v70, v4
	v_cvt_f32_f16_e32 v58, v11
	v_lshrrev_b32_e32 v11, 16, v11
	v_cvt_f32_f16_e32 v61, v6
	v_lshrrev_b32_e32 v6, 16, v6
	;; [unrolled: 2-line block ×5, first 2 shown]
	v_cvt_f32_f16_e32 v10, v10
	v_cvt_f32_f16_e32 v12, v12
	;; [unrolled: 1-line block ×3, first 2 shown]
	v_lshrrev_b32_e32 v8, 16, v8
	v_cvt_f32_f16_e32 v60, v5
	v_lshrrev_b32_e32 v5, 16, v5
	s_waitcnt lgkmcnt(0)
	v_mov_b32_dpp v29, v17 quad_perm:[1,0,3,2] row_mask:0xf bank_mask:0xf
	v_cvt_f32_f16_e32 v11, v11
	v_cvt_f32_f16_e32 v6, v6
	;; [unrolled: 1-line block ×4, first 2 shown]
	v_dual_add_f32 v17, v17, v29 :: v_dual_mov_b32 v68, 0x2edbe6ff
	v_cvt_f32_f16_e32 v2, v2
	v_cvt_f32_f16_e32 v8, v8
	;; [unrolled: 1-line block ×3, first 2 shown]
	s_delay_alu instid0(VALU_DEP_4) | instskip(SKIP_1) | instid1(VALU_DEP_1)
	v_mov_b32_dpp v29, v17 quad_perm:[2,3,0,1] row_mask:0xf bank_mask:0xf
	s_cmp_lg_u32 s18, 0
	v_add_f32_e32 v17, v17, v29
	s_delay_alu instid0(VALU_DEP_1) | instskip(NEXT) | instid1(VALU_DEP_1)
	v_mov_b32_dpp v29, v17 row_xmask:7 row_mask:0xf bank_mask:0xf
	v_add_f32_e32 v17, v17, v29
	s_delay_alu instid0(VALU_DEP_1) | instskip(SKIP_1) | instid1(VALU_DEP_2)
	v_div_scale_f32 v29, null, v52, v52, v17
	v_div_scale_f32 v55, vcc_lo, v17, v52, v17
	v_rcp_f32_e32 v53, v29
	s_waitcnt_depctr 0xfff
	v_fma_f32 v54, -v29, v53, 1.0
	s_delay_alu instid0(VALU_DEP_1) | instskip(NEXT) | instid1(VALU_DEP_1)
	v_fmac_f32_e32 v53, v54, v53
	v_mul_f32_e32 v54, v55, v53
	s_delay_alu instid0(VALU_DEP_1) | instskip(NEXT) | instid1(VALU_DEP_1)
	v_fma_f32 v56, -v29, v54, v55
	v_fmac_f32_e32 v54, v56, v53
	v_cvt_f32_f16_e32 v56, v9
	v_lshrrev_b32_e32 v9, 16, v9
	s_delay_alu instid0(VALU_DEP_3) | instskip(SKIP_2) | instid1(VALU_DEP_4)
	v_fma_f32 v29, -v29, v54, v55
	v_cvt_f32_f16_e32 v55, v16
	v_lshrrev_b32_e32 v16, 16, v16
	v_cvt_f32_f16_e32 v9, v9
	s_delay_alu instid0(VALU_DEP_4) | instskip(SKIP_3) | instid1(VALU_DEP_4)
	v_div_fmas_f32 v29, v29, v53, v54
	v_cvt_f32_f16_e32 v54, v15
	v_lshrrev_b32_e32 v15, 16, v15
	v_cvt_f32_f16_e32 v16, v16
	v_div_fixup_f32 v17, v29, v52, v17
	s_delay_alu instid0(VALU_DEP_3) | instskip(NEXT) | instid1(VALU_DEP_2)
	v_cvt_f32_f16_e32 v15, v15
	v_cvt_f64_f32_e32 v[52:53], v17
	v_lshlrev_b32_e32 v17, 5, v0
	s_delay_alu instid0(VALU_DEP_2) | instskip(NEXT) | instid1(VALU_DEP_1)
	v_add_f64 v[52:53], v[52:53], s[24:25]
	v_cvt_f32_f64_e32 v29, v[52:53]
	v_cvt_f32_f16_e32 v52, v13
	v_lshrrev_b32_e32 v13, 16, v13
	v_cvt_f32_f16_e32 v53, v14
	v_lshrrev_b32_e32 v14, 16, v14
	s_delay_alu instid0(VALU_DEP_3) | instskip(NEXT) | instid1(VALU_DEP_2)
	v_cvt_f32_f16_e32 v13, v13
	v_cvt_f32_f16_e32 v14, v14
	v_mul_f32_e32 v65, 0x4b800000, v29
	v_cmp_gt_f32_e32 vcc_lo, 0x800000, v29
	s_delay_alu instid0(VALU_DEP_2) | instskip(SKIP_2) | instid1(VALU_DEP_3)
	v_cndmask_b32_e32 v29, v29, v65, vcc_lo
	v_cvt_f32_f16_e32 v65, v3
	v_lshrrev_b32_e32 v3, 16, v3
	v_rsq_f32_e32 v29, v29
	s_waitcnt_depctr 0xfff
	v_mul_f32_e32 v69, 0x45800000, v29
	s_delay_alu instid0(VALU_DEP_1) | instskip(SKIP_1) | instid1(VALU_DEP_2)
	v_cndmask_b32_e32 v29, v29, v69, vcc_lo
	v_cvt_f32_f16_e32 v69, v3
	v_mul_f32_e32 v4, v30, v29
	v_mul_f32_e32 v30, v32, v29
	v_dual_mul_f32 v72, v29, v36 :: v_dual_mul_f32 v3, v31, v29
	v_mul_f32_e32 v31, v33, v29
	s_delay_alu instid0(VALU_DEP_2)
	v_dual_mul_f32 v33, v30, v53 :: v_dual_mul_f32 v30, v72, v55
	v_mul_f32_e32 v27, v29, v27
	v_dual_mul_f32 v39, v29, v39 :: v_dual_mul_f32 v32, v34, v29
	v_mul_f32_e32 v43, v29, v43
	;; [unrolled: 2-line block ×3, first 2 shown]
	v_mul_f32_e32 v28, v29, v28
	v_mul_f32_e32 v25, v25, v29
	;; [unrolled: 1-line block ×5, first 2 shown]
	v_dual_mul_f32 v37, v29, v37 :: v_dual_mul_f32 v36, v3, v52
	v_mul_f32_e32 v38, v29, v38
	v_dual_mul_f32 v74, v29, v22 :: v_dual_mul_f32 v35, v4, v13
	v_mul_f32_e32 v22, v27, v10
	v_dual_mul_f32 v34, v31, v14 :: v_dual_mul_f32 v49, v29, v49
	v_dual_mul_f32 v78, v29, v20 :: v_dual_mul_f32 v27, v39, v58
	;; [unrolled: 1-line block ×3, first 2 shown]
	v_mul_f32_e32 v31, v71, v15
	v_mul_f32_e32 v75, v29, v23
	v_dual_mul_f32 v42, v29, v42 :: v_dual_mul_f32 v21, v38, v57
	v_dual_mul_f32 v77, v29, v19 :: v_dual_mul_f32 v26, v26, v9
	v_mul_f32_e32 v45, v29, v45
	v_dual_mul_f32 v46, v29, v46 :: v_dual_mul_f32 v19, v74, v60
	v_dual_mul_f32 v47, v29, v47 :: v_dual_mul_f32 v20, v75, v5
	v_mul_f32_e32 v28, v28, v11
	v_dual_mul_f32 v23, v40, v59 :: v_dual_mul_f32 v50, v29, v50
	v_mul_f32_e32 v9, v44, v64
	v_mul_f32_e32 v15, v76, v6
	v_dual_mul_f32 v51, v29, v51 :: v_dual_mul_f32 v10, v48, v1
	v_mul_f32_e32 v41, v29, v41
	v_dual_mul_f32 v29, v25, v16 :: v_dual_mul_f32 v14, v43, v7
	v_dual_mul_f32 v25, v37, v56 :: v_dual_and_b32 v40, 0x7fffffff, v31
	v_and_b32_e32 v1, 0x7fffffff, v36
	v_and_b32_e32 v38, 0x7fffffff, v34
	v_dual_mul_f32 v4, v49, v2 :: v_dual_mul_f32 v7, v46, v65
	v_and_b32_e32 v2, 0x7fffffff, v35
	;;#ASMSTART
	v_max3_f32 v1, v68, v1, v2

	;;#ASMEND
	v_dual_mul_f32 v24, v73, v12 :: v_dual_and_b32 v37, 0x7fffffff, v33
	;;#ASMSTART
	v_max3_f32 v1, v1, v37, v38

	;;#ASMEND
	v_and_b32_e32 v39, 0x7fffffff, v32
	;;#ASMSTART
	v_max3_f32 v1, v1, v39, v40

	;;#ASMEND
	v_mul_f32_e32 v13, v42, v62
	v_mul_f32_e32 v12, v78, v8
	v_dual_mul_f32 v8, v50, v69 :: v_dual_mul_f32 v11, v77, v63
	v_and_b32_e32 v42, 0x7fffffff, v29
	v_mul_f32_e32 v6, v51, v70
	v_dual_mul_f32 v16, v41, v61 :: v_dual_and_b32 v41, 0x7fffffff, v30
	;;#ASMSTART
	v_max3_f32 v1, v1, v41, v42

	;;#ASMEND
	v_dual_mul_f32 v5, v47, v67 :: v_dual_and_b32 v44, 0x7fffffff, v26
	v_and_b32_e32 v43, 0x7fffffff, v25
	;;#ASMSTART
	v_max3_f32 v1, v1, v43, v44

	;;#ASMEND
	v_dual_mul_f32 v3, v45, v66 :: v_dual_and_b32 v48, 0x7fffffff, v28
	v_and_b32_e32 v45, 0x7fffffff, v21
	v_and_b32_e32 v46, 0x7fffffff, v22
	;;#ASMSTART
	v_max3_f32 v1, v1, v45, v46

	;;#ASMEND
	v_and_b32_e32 v47, 0x7fffffff, v27
	;;#ASMSTART
	v_max3_f32 v1, v1, v47, v48

	;;#ASMEND
	v_and_b32_e32 v49, 0x7fffffff, v23
	v_and_b32_e32 v50, 0x7fffffff, v24
	;;#ASMSTART
	v_max3_f32 v1, v1, v49, v50

	;;#ASMEND
	v_and_b32_e32 v51, 0x7fffffff, v19
	;; [unrolled: 6-line block ×8, first 2 shown]
	v_and_b32_e32 v64, 0x7fffffff, v8
	v_and_b32_e32 v65, 0x7fffffff, v5
	;; [unrolled: 1-line block ×3, first 2 shown]
	;;#ASMSTART
	v_max3_f32 v1, v1, v63, v64

	;;#ASMEND
	;;#ASMSTART
	v_max3_f32 v37, v1, v65, v66

	;;#ASMEND
	s_cbranch_scc0 .LBB55_10
; %bb.4:
	s_ashr_i32 s11, s18, 31
	s_delay_alu instid0(SALU_CYCLE_1) | instskip(NEXT) | instid1(SALU_CYCLE_1)
	s_lshr_b32 s1, s11, 27
	s_add_i32 s1, s18, s1
	s_delay_alu instid0(SALU_CYCLE_1) | instskip(NEXT) | instid1(SALU_CYCLE_1)
	s_ashr_i32 s1, s1, 5
	s_cmp_lt_i32 s1, 8
	s_cbranch_scc1 .LBB55_11
; %bb.5:
	s_cmp_lt_i32 s1, 16
	s_cbranch_scc1 .LBB55_12
; %bb.6:
	;; [unrolled: 3-line block ×3, first 2 shown]
	v_mov_b32_e32 v1, v37
	s_cmp_eq_u32 s1, 32
	s_cbranch_scc0 .LBB55_9
; %bb.8:
	s_delay_alu instid0(VALU_DEP_1) | instskip(SKIP_1) | instid1(VALU_DEP_1)
	v_mov_b32_dpp v1, v37 quad_perm:[1,0,3,2] row_mask:0xf bank_mask:0xf
	s_mov_b32 s6, 0x76543210
	v_cmp_gt_f32_e32 vcc_lo, v37, v1
	v_cndmask_b32_e32 v1, v1, v37, vcc_lo
	s_delay_alu instid0(VALU_DEP_1) | instskip(NEXT) | instid1(VALU_DEP_1)
	v_mov_b32_dpp v2, v1 quad_perm:[2,3,0,1] row_mask:0xf bank_mask:0xf
	v_cmp_gt_f32_e32 vcc_lo, v1, v2
	v_cndmask_b32_e32 v1, v2, v1, vcc_lo
	s_delay_alu instid0(VALU_DEP_1) | instskip(NEXT) | instid1(VALU_DEP_1)
	v_mov_b32_dpp v2, v1 row_xmask:7 row_mask:0xf bank_mask:0xf
	v_cmp_gt_f32_e32 vcc_lo, v1, v2
	v_cndmask_b32_e32 v1, v2, v1, vcc_lo
	s_delay_alu instid0(VALU_DEP_1) | instskip(NEXT) | instid1(VALU_DEP_1)
	v_mov_b32_dpp v2, v1 row_xmask:15 row_mask:0xf bank_mask:0xf
	v_cmp_gt_f32_e32 vcc_lo, v1, v2
	v_cndmask_b32_e32 v1, v2, v1, vcc_lo
	s_delay_alu instid0(VALU_DEP_1) | instskip(NEXT) | instid1(VALU_DEP_1)
	v_permlanex16_b32 v2, v1, s6, 0xfedcba98 op_sel:[1,1]
	v_cmp_gt_f32_e32 vcc_lo, v1, v2
	v_cndmask_b32_e32 v1, v2, v1, vcc_lo
.LBB55_9:
	s_mov_b32 s6, 0
	s_branch .LBB55_14
.LBB55_10:
	s_mov_b32 s1, 0
                                        ; implicit-def: $vgpr38
                                        ; implicit-def: $vgpr1_vgpr2
	s_and_b32 vcc_lo, exec_lo, s31
	s_cbranch_vccnz .LBB55_38
	s_branch .LBB55_41
.LBB55_11:
                                        ; implicit-def: $vgpr1
	s_branch .LBB55_21
.LBB55_12:
                                        ; implicit-def: $vgpr1
	s_branch .LBB55_18
.LBB55_13:
	s_mov_b32 s6, -1
                                        ; implicit-def: $vgpr1
.LBB55_14:
	s_delay_alu instid0(SALU_CYCLE_1)
	s_and_not1_b32 vcc_lo, exec_lo, s6
	s_cbranch_vccnz .LBB55_17
; %bb.15:
	v_mov_b32_e32 v1, v37
	s_cmp_eq_u32 s1, 16
	s_cbranch_scc0 .LBB55_17
; %bb.16:
	s_delay_alu instid0(VALU_DEP_1) | instskip(NEXT) | instid1(VALU_DEP_1)
	v_mov_b32_dpp v1, v37 quad_perm:[1,0,3,2] row_mask:0xf bank_mask:0xf
	v_cmp_gt_f32_e32 vcc_lo, v37, v1
	v_cndmask_b32_e32 v1, v1, v37, vcc_lo
	s_delay_alu instid0(VALU_DEP_1) | instskip(NEXT) | instid1(VALU_DEP_1)
	v_mov_b32_dpp v2, v1 quad_perm:[2,3,0,1] row_mask:0xf bank_mask:0xf
	v_cmp_gt_f32_e32 vcc_lo, v1, v2
	v_cndmask_b32_e32 v1, v2, v1, vcc_lo
	s_delay_alu instid0(VALU_DEP_1) | instskip(NEXT) | instid1(VALU_DEP_1)
	v_mov_b32_dpp v2, v1 row_half_mirror row_mask:0xf bank_mask:0xf
	v_cmp_gt_f32_e32 vcc_lo, v1, v2
	v_cndmask_b32_e32 v1, v2, v1, vcc_lo
	s_delay_alu instid0(VALU_DEP_1) | instskip(NEXT) | instid1(VALU_DEP_1)
	v_mov_b32_dpp v2, v1 row_mirror row_mask:0xf bank_mask:0xf
	v_cmp_gt_f32_e32 vcc_lo, v1, v2
	v_cndmask_b32_e32 v1, v2, v1, vcc_lo
.LBB55_17:
	s_cbranch_execnz .LBB55_20
.LBB55_18:
	v_mov_b32_e32 v1, v37
	s_cmp_eq_u32 s1, 8
	s_cbranch_scc0 .LBB55_20
; %bb.19:
	s_delay_alu instid0(VALU_DEP_1) | instskip(NEXT) | instid1(VALU_DEP_1)
	v_mov_b32_dpp v1, v37 quad_perm:[1,0,3,2] row_mask:0xf bank_mask:0xf
	v_cmp_gt_f32_e32 vcc_lo, v37, v1
	v_cndmask_b32_e32 v1, v1, v37, vcc_lo
	s_delay_alu instid0(VALU_DEP_1) | instskip(NEXT) | instid1(VALU_DEP_1)
	v_mov_b32_dpp v2, v1 quad_perm:[2,3,0,1] row_mask:0xf bank_mask:0xf
	v_cmp_gt_f32_e32 vcc_lo, v1, v2
	v_cndmask_b32_e32 v1, v2, v1, vcc_lo
	s_delay_alu instid0(VALU_DEP_1) | instskip(NEXT) | instid1(VALU_DEP_1)
	v_mov_b32_dpp v2, v1 row_half_mirror row_mask:0xf bank_mask:0xf
	v_cmp_gt_f32_e32 vcc_lo, v1, v2
	v_cndmask_b32_e32 v1, v2, v1, vcc_lo
.LBB55_20:
	s_cbranch_execnz .LBB55_28
.LBB55_21:
	s_cmp_lt_i32 s1, 4
	s_cbranch_scc1 .LBB55_24
; %bb.22:
	v_mov_b32_e32 v1, v37
	s_cmp_eq_u32 s1, 4
	s_cbranch_scc0 .LBB55_25
; %bb.23:
	s_delay_alu instid0(VALU_DEP_1) | instskip(NEXT) | instid1(VALU_DEP_1)
	v_mov_b32_dpp v1, v37 quad_perm:[1,0,3,2] row_mask:0xf bank_mask:0xf
	v_cmp_gt_f32_e32 vcc_lo, v37, v1
	v_cndmask_b32_e32 v1, v1, v37, vcc_lo
	s_delay_alu instid0(VALU_DEP_1) | instskip(NEXT) | instid1(VALU_DEP_1)
	v_mov_b32_dpp v2, v1 quad_perm:[2,3,0,1] row_mask:0xf bank_mask:0xf
	v_cmp_gt_f32_e32 vcc_lo, v1, v2
	v_cndmask_b32_e32 v1, v2, v1, vcc_lo
	s_cbranch_execz .LBB55_26
	s_branch .LBB55_28
.LBB55_24:
                                        ; implicit-def: $vgpr1
	s_branch .LBB55_26
.LBB55_25:
	s_cbranch_execnz .LBB55_28
.LBB55_26:
	v_mov_b32_e32 v1, v37
	s_cmp_lg_u32 s1, 2
	s_cbranch_scc1 .LBB55_28
; %bb.27:
	s_delay_alu instid0(VALU_DEP_1) | instskip(NEXT) | instid1(VALU_DEP_1)
	v_mov_b32_dpp v1, v37 quad_perm:[1,0,3,2] row_mask:0xf bank_mask:0xf
	v_cmp_gt_f32_e32 vcc_lo, v37, v1
	v_cndmask_b32_e32 v1, v1, v37, vcc_lo
.LBB55_28:
	v_cvt_f32_u32_e32 v2, s1
	s_sub_i32 s6, 0, s1
	s_mov_b32 s31, 0
	s_delay_alu instid0(VALU_DEP_1) | instskip(SKIP_2) | instid1(VALU_DEP_1)
	v_rcp_iflag_f32_e32 v2, v2
	s_waitcnt_depctr 0xfff
	v_mul_f32_e32 v2, 0x4f7ffffe, v2
	v_cvt_u32_f32_e32 v2, v2
	s_delay_alu instid0(VALU_DEP_1) | instskip(NEXT) | instid1(VALU_DEP_1)
	v_mul_lo_u32 v38, s6, v2
	v_mul_hi_u32 v38, v2, v38
	s_delay_alu instid0(VALU_DEP_1) | instskip(NEXT) | instid1(VALU_DEP_1)
	v_add_nc_u32_e32 v2, v2, v38
	v_mul_hi_u32 v2, v0, v2
	s_delay_alu instid0(VALU_DEP_1) | instskip(NEXT) | instid1(VALU_DEP_1)
	v_mul_lo_u32 v38, v2, s1
	v_sub_nc_u32_e32 v38, v0, v38
	s_delay_alu instid0(VALU_DEP_1) | instskip(SKIP_1) | instid1(VALU_DEP_2)
	v_subrev_nc_u32_e32 v40, s1, v38
	v_cmp_le_u32_e32 vcc_lo, s1, v38
	v_dual_cndmask_b32 v38, v38, v40 :: v_dual_add_nc_u32 v39, 1, v2
	s_delay_alu instid0(VALU_DEP_1) | instskip(NEXT) | instid1(VALU_DEP_2)
	v_cndmask_b32_e32 v2, v2, v39, vcc_lo
	v_cmp_le_u32_e32 vcc_lo, s1, v38
	s_delay_alu instid0(VALU_DEP_2) | instskip(NEXT) | instid1(VALU_DEP_1)
	v_dual_mul_f32 v38, 0x3c010204, v1 :: v_dual_add_nc_u32 v39, 1, v2
	v_cndmask_b32_e32 v39, v2, v39, vcc_lo
	v_cmp_gt_u32_e32 vcc_lo, s13, v17
	s_delay_alu instid0(VALU_DEP_2) | instskip(NEXT) | instid1(VALU_DEP_1)
	v_mul_lo_u32 v2, v39, s1
	v_sub_nc_u32_e32 v2, v0, v2
	s_delay_alu instid0(VALU_DEP_1) | instskip(NEXT) | instid1(VALU_DEP_1)
	v_cmp_eq_u32_e64 s1, 0, v2
                                        ; implicit-def: $vgpr1_vgpr2
	s_and_b32 s6, s1, vcc_lo
	s_mov_b32 s1, 0
	s_and_saveexec_b32 s7, s6
	s_delay_alu instid0(SALU_CYCLE_1)
	s_xor_b32 s16, exec_lo, s7
	s_cbranch_execz .LBB55_37
; %bb.29:
	s_bitcmp0_b32 s19, 0
	s_mov_b32 s10, 0
	s_cbranch_scc0 .LBB55_34
; %bb.30:
	s_ashr_i32 s1, s13, 31
	s_mul_hi_u32 s7, s13, s2
	s_mul_i32 s1, s1, s2
	s_mul_i32 s6, s13, s2
	s_add_i32 s7, s7, s1
	s_mov_b32 s19, s11
	s_delay_alu instid0(SALU_CYCLE_1) | instskip(NEXT) | instid1(SALU_CYCLE_1)
	s_or_b64 s[14:15], s[6:7], s[18:19]
	s_mov_b32 s11, s15
	s_delay_alu instid0(SALU_CYCLE_1)
	s_cmp_lg_u64 s[10:11], 0
	s_cbranch_scc0 .LBB55_45
; %bb.31:
	s_add_u32 s14, s18, s19
	s_mov_b32 s10, s19
	s_mov_b32 s11, s19
	s_addc_u32 s15, s19, s19
	s_delay_alu instid0(SALU_CYCLE_1) | instskip(NEXT) | instid1(SALU_CYCLE_1)
	s_xor_b64 s[14:15], s[14:15], s[10:11]
	v_cvt_f32_u32_e32 v1, s14
	v_cvt_f32_u32_e32 v2, s15
	s_sub_u32 s20, 0, s14
	s_subb_u32 s21, 0, s15
	s_delay_alu instid0(VALU_DEP_1) | instskip(NEXT) | instid1(VALU_DEP_1)
	v_fmamk_f32 v1, v2, 0x4f800000, v1
	v_rcp_f32_e32 v1, v1
	s_waitcnt_depctr 0xfff
	v_mul_f32_e32 v1, 0x5f7ffffc, v1
	s_delay_alu instid0(VALU_DEP_1) | instskip(NEXT) | instid1(VALU_DEP_1)
	v_mul_f32_e32 v2, 0x2f800000, v1
	v_trunc_f32_e32 v2, v2
	s_delay_alu instid0(VALU_DEP_1) | instskip(SKIP_1) | instid1(VALU_DEP_2)
	v_fmamk_f32 v1, v2, 0xcf800000, v1
	v_cvt_u32_f32_e32 v2, v2
	v_cvt_u32_f32_e32 v1, v1
	s_delay_alu instid0(VALU_DEP_2) | instskip(NEXT) | instid1(VALU_DEP_2)
	v_readfirstlane_b32 s1, v2
	v_readfirstlane_b32 s19, v1
	s_delay_alu instid0(VALU_DEP_2) | instskip(NEXT) | instid1(VALU_DEP_1)
	s_mul_i32 s22, s20, s1
	s_mul_hi_u32 s24, s20, s19
	s_mul_i32 s23, s21, s19
	s_add_i32 s22, s24, s22
	s_mul_i32 s25, s20, s19
	s_add_i32 s22, s22, s23
	s_mul_hi_u32 s24, s19, s25
	s_mul_hi_u32 s26, s1, s25
	s_mul_i32 s23, s1, s25
	s_mul_hi_u32 s25, s19, s22
	s_mul_i32 s19, s19, s22
	s_mul_hi_u32 s27, s1, s22
	s_add_u32 s19, s24, s19
	s_addc_u32 s24, 0, s25
	s_add_u32 s19, s19, s23
	s_mul_i32 s22, s1, s22
	s_addc_u32 s19, s24, s26
	s_addc_u32 s23, s27, 0
	s_add_u32 s19, s19, s22
	s_addc_u32 s22, 0, s23
	v_add_co_u32 v1, s19, v1, s19
	s_delay_alu instid0(VALU_DEP_1) | instskip(SKIP_1) | instid1(VALU_DEP_1)
	s_cmp_lg_u32 s19, 0
	s_addc_u32 s1, s1, s22
	v_readfirstlane_b32 s19, v1
	s_mul_i32 s22, s20, s1
	s_delay_alu instid0(VALU_DEP_1)
	s_mul_hi_u32 s23, s20, s19
	s_mul_i32 s21, s21, s19
	s_add_i32 s22, s23, s22
	s_mul_i32 s20, s20, s19
	s_add_i32 s22, s22, s21
	s_mul_hi_u32 s23, s1, s20
	s_mul_i32 s24, s1, s20
	s_mul_hi_u32 s20, s19, s20
	s_mul_hi_u32 s25, s19, s22
	s_mul_i32 s19, s19, s22
	s_mul_hi_u32 s21, s1, s22
	s_add_u32 s19, s20, s19
	s_addc_u32 s20, 0, s25
	s_add_u32 s19, s19, s24
	s_mul_i32 s22, s1, s22
	s_addc_u32 s19, s20, s23
	s_addc_u32 s20, s21, 0
	s_add_u32 s19, s19, s22
	s_addc_u32 s20, 0, s20
	v_add_co_u32 v1, s19, v1, s19
	s_delay_alu instid0(VALU_DEP_1) | instskip(SKIP_2) | instid1(SALU_CYCLE_1)
	s_cmp_lg_u32 s19, 0
	s_addc_u32 s1, s1, s20
	s_ashr_i32 s20, s7, 31
	s_add_u32 s22, s6, s20
	s_addc_u32 s23, s7, s20
	v_readfirstlane_b32 s7, v1
	s_mov_b32 s21, s20
	s_delay_alu instid0(SALU_CYCLE_1) | instskip(NEXT) | instid1(SALU_CYCLE_1)
	s_xor_b64 s[22:23], s[22:23], s[20:21]
	s_mul_i32 s24, s22, s1
	s_delay_alu instid0(VALU_DEP_1)
	s_mul_hi_u32 s25, s22, s7
	s_mul_hi_u32 s19, s22, s1
	s_mul_hi_u32 s27, s23, s7
	s_mul_i32 s7, s23, s7
	s_add_u32 s24, s25, s24
	s_addc_u32 s19, 0, s19
	s_mul_hi_u32 s26, s23, s1
	s_add_u32 s7, s24, s7
	s_mul_i32 s1, s23, s1
	s_addc_u32 s7, s19, s27
	s_addc_u32 s19, s26, 0
	s_add_u32 s7, s7, s1
	s_addc_u32 s19, 0, s19
	s_mul_i32 s26, s14, s7
	s_mul_hi_u32 s1, s14, s7
	s_mul_i32 s25, s14, s19
	v_sub_co_u32 v1, s22, s22, s26
	s_mul_i32 s24, s15, s7
	s_add_i32 s1, s1, s25
	s_delay_alu instid0(SALU_CYCLE_1) | instskip(NEXT) | instid1(VALU_DEP_1)
	s_add_i32 s1, s1, s24
	v_sub_co_u32 v2, s25, v1, s14
	s_sub_i32 s24, s23, s1
	s_cmp_lg_u32 s22, 0
	s_subb_u32 s24, s24, s15
	s_cmp_lg_u32 s25, 0
	v_cmp_le_u32_e32 vcc_lo, s14, v2
	s_subb_u32 s24, s24, 0
	s_delay_alu instid0(SALU_CYCLE_1)
	s_cmp_ge_u32 s24, s15
	v_cndmask_b32_e64 v2, 0, -1, vcc_lo
	s_cselect_b32 s25, -1, 0
	s_cmp_eq_u32 s24, s15
	s_cselect_b32 vcc_lo, -1, 0
	s_add_u32 s24, s7, 1
	v_cndmask_b32_e32 v2, s25, v2, vcc_lo
	s_addc_u32 s25, s19, 0
	s_add_u32 s26, s7, 2
	s_addc_u32 s27, s19, 0
	s_cmp_lg_u32 s22, 0
	v_cmp_le_u32_e32 vcc_lo, s14, v1
	s_subb_u32 s1, s23, s1
	v_mov_b32_e32 v40, s26
	s_cmp_ge_u32 s1, s15
	v_cndmask_b32_e64 v1, 0, -1, vcc_lo
	s_cselect_b32 s14, -1, 0
	s_cmp_eq_u32 s1, s15
	v_cmp_ne_u32_e32 vcc_lo, 0, v2
	v_mov_b32_e32 v2, s27
	s_cselect_b32 s1, -1, 0
	s_xor_b64 s[10:11], s[20:21], s[10:11]
	v_cndmask_b32_e64 v1, s14, v1, s1
	v_cndmask_b32_e32 v40, s24, v40, vcc_lo
	v_cndmask_b32_e32 v2, s25, v2, vcc_lo
	s_delay_alu instid0(VALU_DEP_3) | instskip(NEXT) | instid1(VALU_DEP_2)
	v_cmp_ne_u32_e32 vcc_lo, 0, v1
	v_cndmask_b32_e32 v1, s19, v2, vcc_lo
	s_delay_alu instid0(VALU_DEP_4) | instskip(NEXT) | instid1(VALU_DEP_2)
	v_cndmask_b32_e32 v2, s7, v40, vcc_lo
	v_xor_b32_e32 v40, s11, v1
	s_delay_alu instid0(VALU_DEP_2) | instskip(NEXT) | instid1(VALU_DEP_1)
	v_xor_b32_e32 v2, s10, v2
	v_sub_co_u32 v1, vcc_lo, v2, s10
	s_delay_alu instid0(VALU_DEP_3)
	v_subrev_co_ci_u32_e32 v2, vcc_lo, s11, v40, vcc_lo
	s_cbranch_execnz .LBB55_33
.LBB55_32:
	v_cvt_f32_u32_e32 v1, s18
	s_sub_i32 s7, 0, s18
	s_delay_alu instid0(VALU_DEP_1) | instskip(SKIP_2) | instid1(VALU_DEP_1)
	v_rcp_iflag_f32_e32 v1, v1
	s_waitcnt_depctr 0xfff
	v_mul_f32_e32 v1, 0x4f7ffffe, v1
	v_cvt_u32_f32_e32 v1, v1
	s_delay_alu instid0(VALU_DEP_1) | instskip(NEXT) | instid1(VALU_DEP_1)
	v_readfirstlane_b32 s1, v1
	s_mul_i32 s7, s7, s1
	s_delay_alu instid0(SALU_CYCLE_1) | instskip(NEXT) | instid1(SALU_CYCLE_1)
	s_mul_hi_u32 s7, s1, s7
	s_add_i32 s1, s1, s7
	s_delay_alu instid0(SALU_CYCLE_1) | instskip(NEXT) | instid1(SALU_CYCLE_1)
	s_mul_hi_u32 s1, s6, s1
	s_mul_i32 s7, s1, s18
	s_delay_alu instid0(SALU_CYCLE_1)
	s_sub_i32 s6, s6, s7
	s_add_i32 s7, s1, 1
	s_sub_i32 s10, s6, s18
	s_cmp_ge_u32 s6, s18
	s_cselect_b32 s1, s7, s1
	s_cselect_b32 s6, s10, s6
	s_add_i32 s10, s1, 1
	s_cmp_ge_u32 s6, s18
	s_mov_b32 s7, 0
	s_cselect_b32 s6, s10, s1
	s_delay_alu instid0(SALU_CYCLE_1)
	v_dual_mov_b32 v1, s6 :: v_dual_mov_b32 v2, s7
.LBB55_33:
	s_delay_alu instid0(VALU_DEP_1) | instskip(NEXT) | instid1(VALU_DEP_2)
	v_add_co_u32 v1, vcc_lo, v1, v39
	v_add_co_ci_u32_e32 v2, vcc_lo, 0, v2, vcc_lo
	s_branch .LBB55_36
.LBB55_34:
                                        ; implicit-def: $vgpr1_vgpr2
	s_cbranch_execz .LBB55_36
; %bb.35:
	v_mul_lo_u32 v1, v39, s12
	s_delay_alu instid0(VALU_DEP_1) | instskip(SKIP_1) | instid1(VALU_DEP_2)
	v_ashrrev_i32_e32 v2, 31, v1
	v_add_co_u32 v1, vcc_lo, v1, s2
	v_add_co_ci_u32_e32 v2, vcc_lo, 0, v2, vcc_lo
.LBB55_36:
	s_mov_b32 s1, exec_lo
.LBB55_37:
	s_or_b32 exec_lo, exec_lo, s16
	s_delay_alu instid0(SALU_CYCLE_1)
	s_and_b32 vcc_lo, exec_lo, s31
	s_cbranch_vccz .LBB55_41
.LBB55_38:
	v_mov_b32_dpp v1, v37 quad_perm:[1,0,3,2] row_mask:0xf bank_mask:0xf
	s_delay_alu instid0(VALU_DEP_1) | instskip(SKIP_1) | instid1(VALU_DEP_1)
	v_cmp_gt_f32_e32 vcc_lo, v37, v1
	v_cndmask_b32_e32 v1, v1, v37, vcc_lo
	v_mov_b32_dpp v2, v1 quad_perm:[2,3,0,1] row_mask:0xf bank_mask:0xf
	s_delay_alu instid0(VALU_DEP_1) | instskip(SKIP_1) | instid1(VALU_DEP_1)
	v_cmp_gt_f32_e32 vcc_lo, v1, v2
	v_cndmask_b32_e32 v1, v2, v1, vcc_lo
	v_mov_b32_dpp v2, v1 row_xmask:7 row_mask:0xf bank_mask:0xf
	s_delay_alu instid0(VALU_DEP_1) | instskip(SKIP_1) | instid1(VALU_DEP_1)
	v_cmp_gt_f32_e32 vcc_lo, v1, v2
	v_cndmask_b32_e32 v1, v2, v1, vcc_lo
	v_mov_b32_dpp v2, v1 row_xmask:15 row_mask:0xf bank_mask:0xf
	s_delay_alu instid0(VALU_DEP_1)
	v_cmp_gt_f32_e32 vcc_lo, v1, v2
	s_and_saveexec_b32 s1, s0
	s_cbranch_execz .LBB55_40
; %bb.39:
	v_cndmask_b32_e32 v1, v2, v1, vcc_lo
	v_lshrrev_b32_e32 v2, 3, v0
	s_mov_b32 s0, 0x76543210
	s_delay_alu instid0(VALU_DEP_1) | instskip(NEXT) | instid1(VALU_DEP_3)
	v_and_b32_e32 v2, 0x7c, v2
	v_permlanex16_b32 v37, v1, s0, 0xfedcba98 op_sel:[1,1]
	s_delay_alu instid0(VALU_DEP_1)
	v_cmp_gt_f32_e32 vcc_lo, v1, v37
	v_cndmask_b32_e32 v1, v37, v1, vcc_lo
	ds_store_b32 v2, v1
.LBB55_40:
	s_or_b32 exec_lo, exec_lo, s1
	s_waitcnt lgkmcnt(0)
	s_barrier
	buffer_gl0_inv
	ds_load_b32 v1, v18
	v_cmp_eq_u32_e64 s1, 0, v0
	s_waitcnt lgkmcnt(0)
	v_mov_b32_dpp v2, v1 quad_perm:[1,0,3,2] row_mask:0xf bank_mask:0xf
	s_delay_alu instid0(VALU_DEP_1) | instskip(SKIP_1) | instid1(VALU_DEP_1)
	v_cmp_gt_f32_e32 vcc_lo, v1, v2
	v_cndmask_b32_e32 v1, v2, v1, vcc_lo
	v_mov_b32_dpp v2, v1 quad_perm:[2,3,0,1] row_mask:0xf bank_mask:0xf
	s_delay_alu instid0(VALU_DEP_1) | instskip(SKIP_1) | instid1(VALU_DEP_1)
	v_cmp_gt_f32_e32 vcc_lo, v1, v2
	v_cndmask_b32_e32 v1, v2, v1, vcc_lo
	v_mov_b32_dpp v2, v1 row_xmask:7 row_mask:0xf bank_mask:0xf
	s_delay_alu instid0(VALU_DEP_1) | instskip(SKIP_1) | instid1(VALU_DEP_1)
	v_cmp_gt_f32_e32 vcc_lo, v1, v2
	v_cndmask_b32_e32 v1, v2, v1, vcc_lo
	v_dual_mul_f32 v38, 0x3c010204, v1 :: v_dual_mov_b32 v1, s2
	v_mov_b32_e32 v2, s3
.LBB55_41:
	s_and_saveexec_b32 s0, s1
	s_cbranch_execz .LBB55_43
; %bb.42:
	s_delay_alu instid0(VALU_DEP_1) | instskip(NEXT) | instid1(VALU_DEP_1)
	v_lshlrev_b64 v[0:1], 2, v[1:2]
	v_add_co_u32 v0, vcc_lo, s8, v0
	s_delay_alu instid0(VALU_DEP_2)
	v_add_co_ci_u32_e32 v1, vcc_lo, s9, v1, vcc_lo
	global_store_b32 v[0:1], v38, off
.LBB55_43:
	s_or_b32 exec_lo, exec_lo, s0
	;;#ASMSTART
	v_rcp_f32 v0, v38
	;;#ASMEND
	v_mul_f32_e32 v5, v0, v5
	v_mul_f32_e32 v9, v0, v9
	;; [unrolled: 1-line block ×5, first 2 shown]
	v_cvt_i32_f32_e32 v5, v5
	v_mul_f32_e32 v10, v0, v10
	v_cvt_i32_f32_e32 v9, v9
	v_cvt_i32_f32_e32 v6, v6
	;; [unrolled: 1-line block ×3, first 2 shown]
	v_and_b32_e32 v5, 0xff, v5
	v_cvt_i32_f32_e32 v10, v10
	v_mul_f32_e32 v21, v0, v21
	v_dual_mul_f32 v8, v0, v8 :: v_dual_and_b32 v9, 0xff, v9
	v_lshlrev_b16 v6, 8, v6
	s_delay_alu instid0(VALU_DEP_4)
	v_lshlrev_b16 v10, 8, v10
	v_cvt_i32_f32_e32 v27, v27
	v_mul_f32_e32 v18, v0, v33
	v_mul_f32_e32 v31, v0, v31
	v_or_b32_e32 v5, v5, v6
	v_or_b32_e32 v6, v9, v10
	v_and_b32_e32 v10, 0xff, v11
	v_cvt_i32_f32_e32 v21, v21
	v_dual_mul_f32 v28, v0, v28 :: v_dual_and_b32 v27, 0xff, v27
	v_cvt_i32_f32_e32 v31, v31
	v_dual_mul_f32 v25, v0, v25 :: v_dual_and_b32 v6, 0xffff, v6
	s_delay_alu instid0(VALU_DEP_4) | instskip(NEXT) | instid1(VALU_DEP_4)
	v_and_b32_e32 v21, 0xff, v21
	v_cvt_i32_f32_e32 v28, v28
	v_mul_f32_e32 v24, v0, v24
	v_mul_f32_e32 v23, v0, v23
	v_cvt_i32_f32_e32 v25, v25
	v_mul_f32_e32 v2, v0, v35
	v_lshlrev_b16 v28, 8, v28
	v_cvt_i32_f32_e32 v24, v24
	v_cvt_i32_f32_e32 v23, v23
	v_and_b32_e32 v25, 0xff, v25
	v_cvt_i32_f32_e32 v18, v18
	v_or_b32_e32 v27, v27, v28
	v_mul_f32_e32 v32, v0, v32
	v_lshlrev_b16 v28, 8, v31
	v_dual_mul_f32 v30, v0, v30 :: v_dual_and_b32 v23, 0xff, v23
	s_delay_alu instid0(VALU_DEP_4) | instskip(NEXT) | instid1(VALU_DEP_4)
	v_and_b32_e32 v27, 0xffff, v27
	v_cvt_i32_f32_e32 v32, v32
	v_mul_f32_e32 v26, v0, v26
	v_dual_mul_f32 v29, v0, v29 :: v_dual_and_b32 v18, 0xff, v18
	s_delay_alu instid0(VALU_DEP_3) | instskip(NEXT) | instid1(VALU_DEP_3)
	v_dual_mul_f32 v22, v0, v22 :: v_dual_and_b32 v31, 0xff, v32
	v_cvt_i32_f32_e32 v26, v26
	v_lshlrev_b16 v24, 8, v24
	v_cvt_i32_f32_e32 v30, v30
	v_mul_f32_e32 v1, v0, v36
	v_cvt_i32_f32_e32 v29, v29
	v_lshlrev_b16 v26, 8, v26
	v_cvt_i32_f32_e32 v22, v22
	v_and_b32_e32 v30, 0xff, v30
	v_or_b32_e32 v23, v23, v24
	v_cvt_i32_f32_e32 v1, v1
	v_or_b32_e32 v24, v25, v26
	v_mul_f32_e32 v33, v0, v34
	v_cvt_i32_f32_e32 v2, v2
	v_lshlrev_b16 v22, 8, v22
	v_lshlrev_b16 v29, 8, v29
	v_and_b32_e32 v24, 0xffff, v24
	v_cvt_i32_f32_e32 v33, v33
	v_lshlrev_b16 v2, 8, v2
	v_or_b32_e32 v21, v21, v22
	v_or_b32_e32 v22, v31, v28
	;; [unrolled: 1-line block ×3, first 2 shown]
	v_dual_mul_f32 v16, v0, v16 :: v_dual_and_b32 v1, 0xff, v1
	v_lshlrev_b16 v28, 8, v33
	v_mul_f32_e32 v7, v0, v7
	s_delay_alu instid0(VALU_DEP_4) | instskip(NEXT) | instid1(VALU_DEP_4)
	v_lshlrev_b32_e32 v25, 16, v25
	v_or_b32_e32 v1, v1, v2
	v_cvt_i32_f32_e32 v16, v16
	v_or_b32_e32 v2, v18, v28
	v_mul_f32_e32 v18, v0, v19
	v_mul_f32_e32 v13, v0, v13
	v_cvt_i32_f32_e32 v8, v8
	v_cvt_i32_f32_e32 v7, v7
	v_dual_mul_f32 v12, v0, v12 :: v_dual_and_b32 v1, 0xffff, v1
	v_mul_f32_e32 v14, v0, v14
	v_cvt_i32_f32_e32 v18, v18
	v_mul_f32_e32 v15, v0, v15
	v_cvt_i32_f32_e32 v13, v13
	v_mul_f32_e32 v19, v0, v20
	v_lshlrev_b16 v8, 8, v8
	v_and_b32_e32 v7, 0xff, v7
	v_cvt_i32_f32_e32 v12, v12
	v_dual_mul_f32 v4, v0, v4 :: v_dual_lshlrev_b32 v5, 16, v5
	v_mul_f32_e32 v0, v0, v3
	v_cvt_i32_f32_e32 v14, v14
	v_or_b32_e32 v3, v7, v8
	s_delay_alu instid0(VALU_DEP_4)
	v_cvt_i32_f32_e32 v4, v4
	v_and_b32_e32 v8, 0xff, v13
	v_cvt_i32_f32_e32 v19, v19
	v_cvt_i32_f32_e32 v0, v0
	v_lshlrev_b16 v9, 8, v12
	v_and_b32_e32 v12, 0xff, v18
	v_cvt_i32_f32_e32 v15, v15
	v_lshlrev_b16 v4, 8, v4
	v_and_b32_e32 v0, 0xff, v0
	v_lshlrev_b16 v7, 8, v14
	v_lshlrev_b16 v11, 8, v19
	;; [unrolled: 1-line block ×3, first 2 shown]
	v_and_b32_e32 v14, 0xff, v16
	v_or_b32_e32 v0, v0, v4
	v_or_b32_e32 v4, v8, v7
	;; [unrolled: 1-line block ×5, first 2 shown]
	s_add_i32 s0, s13, 3
	s_ashr_i32 s1, s17, 31
	s_ashr_i32 s3, s0, 31
	v_lshlrev_b32_e32 v23, 16, v23
	v_lshlrev_b32_e32 v9, 16, v9
	s_lshr_b32 s3, s3, 30
	v_lshlrev_b32_e32 v21, 16, v21
	v_and_b32_e32 v26, 0xffff, v22
	v_lshlrev_b32_e32 v2, 16, v2
	v_and_b32_e32 v3, 0xffff, v3
	;; [unrolled: 2-line block ×4, first 2 shown]
	s_mul_hi_u32 s6, s17, s2
	s_add_i32 s0, s0, s3
	s_mul_i32 s1, s1, s2
	s_mul_i32 s7, s17, s2
	s_and_b32 s2, s0, -4
	s_add_i32 s6, s6, s1
	s_add_u32 s0, s4, s7
	v_or_b32_e32 v23, v27, v23
	v_or_b32_e32 v22, v24, v21
	;; [unrolled: 1-line block ×8, first 2 shown]
	s_addc_u32 s1, s5, s6
	s_mov_b32 s3, -1
	s_and_b32 s1, s1, 0xffff
	buffer_store_b128 v[20:23], v17, s[0:3], 0 offen
	;;#ASMSTART
	s_nop 0
	;;#ASMEND
	buffer_store_b128 v[0:3], v17, s[0:3], 16 offen
	;;#ASMSTART
	s_nop 0
	;;#ASMEND
.LBB55_44:
	s_nop 0
	s_sendmsg sendmsg(MSG_DEALLOC_VGPRS)
	s_endpgm
.LBB55_45:
                                        ; implicit-def: $vgpr1_vgpr2
	s_branch .LBB55_32
	.section	.rodata,"a",@progbits
	.p2align	6, 0x0
	.amdhsa_kernel _ZN5aiter24add_rmsnorm_quant_kernelIDF16_aLi256ELi32ELb1ELb1ELb0ELi1EEEvPT0_PT_PfS4_S4_S4_diiiiiiib
		.amdhsa_group_segment_fixed_size 64
		.amdhsa_private_segment_fixed_size 0
		.amdhsa_kernarg_size 88
		.amdhsa_user_sgpr_count 15
		.amdhsa_user_sgpr_dispatch_ptr 0
		.amdhsa_user_sgpr_queue_ptr 0
		.amdhsa_user_sgpr_kernarg_segment_ptr 1
		.amdhsa_user_sgpr_dispatch_id 0
		.amdhsa_user_sgpr_private_segment_size 0
		.amdhsa_wavefront_size32 1
		.amdhsa_uses_dynamic_stack 0
		.amdhsa_enable_private_segment 0
		.amdhsa_system_sgpr_workgroup_id_x 1
		.amdhsa_system_sgpr_workgroup_id_y 0
		.amdhsa_system_sgpr_workgroup_id_z 0
		.amdhsa_system_sgpr_workgroup_info 0
		.amdhsa_system_vgpr_workitem_id 0
		.amdhsa_next_free_vgpr 85
		.amdhsa_next_free_sgpr 40
		.amdhsa_reserve_vcc 1
		.amdhsa_float_round_mode_32 0
		.amdhsa_float_round_mode_16_64 0
		.amdhsa_float_denorm_mode_32 3
		.amdhsa_float_denorm_mode_16_64 3
		.amdhsa_dx10_clamp 1
		.amdhsa_ieee_mode 1
		.amdhsa_fp16_overflow 0
		.amdhsa_workgroup_processor_mode 1
		.amdhsa_memory_ordered 1
		.amdhsa_forward_progress 0
		.amdhsa_shared_vgpr_count 0
		.amdhsa_exception_fp_ieee_invalid_op 0
		.amdhsa_exception_fp_denorm_src 0
		.amdhsa_exception_fp_ieee_div_zero 0
		.amdhsa_exception_fp_ieee_overflow 0
		.amdhsa_exception_fp_ieee_underflow 0
		.amdhsa_exception_fp_ieee_inexact 0
		.amdhsa_exception_int_div_zero 0
	.end_amdhsa_kernel
	.section	.text._ZN5aiter24add_rmsnorm_quant_kernelIDF16_aLi256ELi32ELb1ELb1ELb0ELi1EEEvPT0_PT_PfS4_S4_S4_diiiiiiib,"axG",@progbits,_ZN5aiter24add_rmsnorm_quant_kernelIDF16_aLi256ELi32ELb1ELb1ELb0ELi1EEEvPT0_PT_PfS4_S4_S4_diiiiiiib,comdat
.Lfunc_end55:
	.size	_ZN5aiter24add_rmsnorm_quant_kernelIDF16_aLi256ELi32ELb1ELb1ELb0ELi1EEEvPT0_PT_PfS4_S4_S4_diiiiiiib, .Lfunc_end55-_ZN5aiter24add_rmsnorm_quant_kernelIDF16_aLi256ELi32ELb1ELb1ELb0ELi1EEEvPT0_PT_PfS4_S4_S4_diiiiiiib
                                        ; -- End function
	.section	.AMDGPU.csdata,"",@progbits
; Kernel info:
; codeLenInByte = 5652
; NumSgprs: 42
; NumVgprs: 85
; ScratchSize: 0
; MemoryBound: 0
; FloatMode: 240
; IeeeMode: 1
; LDSByteSize: 64 bytes/workgroup (compile time only)
; SGPRBlocks: 5
; VGPRBlocks: 10
; NumSGPRsForWavesPerEU: 42
; NumVGPRsForWavesPerEU: 85
; Occupancy: 16
; WaveLimiterHint : 0
; COMPUTE_PGM_RSRC2:SCRATCH_EN: 0
; COMPUTE_PGM_RSRC2:USER_SGPR: 15
; COMPUTE_PGM_RSRC2:TRAP_HANDLER: 0
; COMPUTE_PGM_RSRC2:TGID_X_EN: 1
; COMPUTE_PGM_RSRC2:TGID_Y_EN: 0
; COMPUTE_PGM_RSRC2:TGID_Z_EN: 0
; COMPUTE_PGM_RSRC2:TIDIG_COMP_CNT: 0
	.section	.text._ZN5aiter24add_rmsnorm_quant_kernelItaLi256ELi32ELb1ELb1ELb0ELi1EEEvPT0_PT_PfS4_S4_S4_diiiiiiib,"axG",@progbits,_ZN5aiter24add_rmsnorm_quant_kernelItaLi256ELi32ELb1ELb1ELb0ELi1EEEvPT0_PT_PfS4_S4_S4_diiiiiiib,comdat
	.protected	_ZN5aiter24add_rmsnorm_quant_kernelItaLi256ELi32ELb1ELb1ELb0ELi1EEEvPT0_PT_PfS4_S4_S4_diiiiiiib ; -- Begin function _ZN5aiter24add_rmsnorm_quant_kernelItaLi256ELi32ELb1ELb1ELb0ELi1EEEvPT0_PT_PfS4_S4_S4_diiiiiiib
	.globl	_ZN5aiter24add_rmsnorm_quant_kernelItaLi256ELi32ELb1ELb1ELb0ELi1EEEvPT0_PT_PfS4_S4_S4_diiiiiiib
	.p2align	8
	.type	_ZN5aiter24add_rmsnorm_quant_kernelItaLi256ELi32ELb1ELb1ELb0ELi1EEEvPT0_PT_PfS4_S4_S4_diiiiiiib,@function
_ZN5aiter24add_rmsnorm_quant_kernelItaLi256ELi32ELb1ELb1ELb0ELi1EEEvPT0_PT_PfS4_S4_S4_diiiiiiib: ; @_ZN5aiter24add_rmsnorm_quant_kernelItaLi256ELi32ELb1ELb1ELb0ELi1EEEvPT0_PT_PfS4_S4_S4_diiiiiiib
; %bb.0:
	s_mov_b32 s2, s15
	s_load_b256 s[12:19], s[0:1], 0x38
	s_mov_b32 s3, 0
	s_waitcnt lgkmcnt(0)
	s_ashr_i32 s5, s12, 31
	s_mov_b32 s4, s12
	s_delay_alu instid0(SALU_CYCLE_1) | instskip(NEXT) | instid1(VALU_DEP_1)
	v_cmp_ge_i64_e64 s4, s[2:3], s[4:5]
	s_and_b32 vcc_lo, exec_lo, s4
	s_cbranch_vccnz .LBB56_44
; %bb.1:
	s_load_b256 s[4:11], s[0:1], 0x0
	s_ashr_i32 s20, s14, 31
	s_mul_hi_u32 s21, s14, s2
	s_mul_i32 s22, s20, s2
	s_mul_i32 s20, s14, s2
	s_add_i32 s21, s21, s22
	v_lshlrev_b32_e32 v21, 6, v0
	s_lshl_b64 s[20:21], s[20:21], 1
	s_mov_b32 s31, -1
	s_delay_alu instid0(SALU_CYCLE_1)
	s_mov_b32 s39, s31
	s_waitcnt lgkmcnt(0)
	s_add_u32 s28, s10, s20
	s_addc_u32 s10, s11, s21
	s_load_b256 s[20:27], s[0:1], 0x20
	s_add_i32 s11, s13, 1
	s_ashr_i32 s0, s15, 31
	s_lshr_b32 s14, s11, 31
	s_and_b32 s29, s10, 0xffff
	s_add_i32 s11, s11, s14
	s_mul_hi_u32 s1, s15, s2
	s_mul_i32 s10, s0, s2
	s_lshl_b32 s11, s11, 1
	s_mul_i32 s0, s15, s2
	s_add_i32 s1, s1, s10
	s_and_b32 s30, s11, -4
	s_lshl_b64 s[0:1], s[0:1], 1
	s_clause 0x3
	buffer_load_b128 v[22:25], v21, s[28:31], 0 offen
	buffer_load_b128 v[26:29], v21, s[28:31], 16 offen
	;; [unrolled: 1-line block ×4, first 2 shown]
	s_mov_b32 s38, s30
	s_waitcnt lgkmcnt(0)
	s_and_b32 s37, s23, 0xffff
	s_add_u32 s28, s20, s0
	s_addc_u32 s0, s21, s1
	s_mov_b32 s36, s22
	s_and_b32 s29, s0, 0xffff
	s_clause 0x3
	buffer_load_b128 v[38:41], v21, s[28:31], 0 offen
	buffer_load_b128 v[42:45], v21, s[28:31], 16 offen
	;; [unrolled: 1-line block ×4, first 2 shown]
	s_ashr_i32 s0, s16, 31
	s_mul_hi_u32 s1, s16, s2
	s_mul_i32 s10, s0, s2
	s_mul_i32 s0, s16, s2
	s_add_i32 s1, s1, s10
	s_delay_alu instid0(SALU_CYCLE_1) | instskip(NEXT) | instid1(SALU_CYCLE_1)
	s_lshl_b64 s[0:1], s[0:1], 1
	s_add_u32 s28, s6, s0
	s_addc_u32 s0, s7, s1
	s_delay_alu instid0(SALU_CYCLE_1)
	s_and_b32 s29, s0, 0xffff
	s_waitcnt vmcnt(7)
	v_lshrrev_b32_e32 v50, 16, v22
	v_lshrrev_b32_e32 v52, 16, v24
	s_waitcnt vmcnt(5)
	v_lshrrev_b32_e32 v66, 16, v31
	v_and_b32_e32 v67, 0xffff, v31
	s_waitcnt vmcnt(4)
	v_lshrrev_b32_e32 v72, 16, v34
	v_and_b32_e32 v73, 0xffff, v34
	v_lshrrev_b32_e32 v60, 16, v28
	v_and_b32_e32 v22, 0xffff, v22
	v_lshrrev_b32_e32 v51, 16, v23
	v_lshrrev_b32_e32 v54, 16, v25
	s_waitcnt vmcnt(3)
	v_and_b32_e32 v31, 0xffff, v41
	s_waitcnt vmcnt(2)
	v_and_b32_e32 v34, 0xffff, v43
	v_lshrrev_b32_e32 v58, 16, v27
	v_and_b32_e32 v59, 0xffff, v27
	v_lshrrev_b32_e32 v78, 16, v37
	v_cvt_f32_u32_e32 v31, v31
	v_and_b32_e32 v53, 0xffff, v24
	v_lshrrev_b32_e32 v24, 16, v38
	v_cvt_f32_u32_e32 v34, v34
	v_and_b32_e32 v61, 0xffff, v28
	v_and_b32_e32 v28, 0xffff, v39
	v_cvt_f32_u32_e32 v27, v22
	v_cvt_f32_u32_e32 v24, v24
	v_lshrrev_b32_e32 v56, 16, v26
	v_lshrrev_b32_e32 v62, 16, v29
	v_cvt_f32_u32_e32 v28, v28
	v_and_b32_e32 v55, 0xffff, v25
	v_cvt_f32_u32_e32 v25, v50
	v_and_b32_e32 v23, 0xffff, v23
	v_and_b32_e32 v50, 0xffff, v37
	;; [unrolled: 1-line block ×3, first 2 shown]
	v_lshrrev_b32_e32 v68, 16, v32
	v_add_f32_e32 v22, v25, v24
	v_cvt_f32_u32_e32 v24, v23
	v_lshrrev_b32_e32 v25, 16, v39
	v_cvt_f32_u32_e32 v37, v37
	v_and_b32_e32 v57, 0xffff, v26
	v_and_b32_e32 v69, 0xffff, v32
	v_add_f32_e32 v24, v24, v28
	v_and_b32_e32 v26, 0xffff, v38
	v_cvt_f32_u32_e32 v25, v25
	v_cvt_f32_u32_e32 v28, v53
	v_and_b32_e32 v38, 0xffff, v45
	v_lshrrev_b32_e32 v32, 16, v41
	v_cvt_f32_u32_e32 v26, v26
	s_waitcnt vmcnt(1)
	v_and_b32_e32 v41, 0xffff, v46
	v_lshrrev_b32_e32 v64, 16, v30
	v_cvt_f32_u32_e32 v38, v38
	v_and_b32_e32 v63, 0xffff, v29
	v_add_f32_e32 v23, v27, v26
	v_cvt_f32_u32_e32 v50, v50
	v_and_b32_e32 v27, 0xffff, v40
	v_cvt_f32_u32_e32 v26, v51
	v_lshrrev_b32_e32 v29, 16, v40
	v_cvt_f32_u32_e32 v41, v41
	v_and_b32_e32 v65, 0xffff, v30
	v_cvt_f32_u32_e32 v27, v27
	v_add_f32_e32 v25, v26, v25
	v_cvt_f32_u32_e32 v30, v52
	v_cvt_f32_u32_e32 v29, v29
	v_lshrrev_b32_e32 v70, 16, v33
	v_add_f32_e32 v26, v28, v27
	s_clause 0x3
	buffer_load_b128 v[13:16], v21, s[36:39], 0 offen
	buffer_load_b128 v[9:12], v21, s[36:39], 16 offen
	buffer_load_b128 v[5:8], v21, s[36:39], 32 offen
	buffer_load_b128 v[1:4], v21, s[36:39], 48 offen
	v_cvt_f32_u32_e32 v28, v55
	v_dual_add_f32 v27, v30, v29 :: v_dual_and_b32 v30, 0xffff, v42
	v_cvt_f32_u32_e32 v29, v54
	v_cvt_f32_u32_e32 v32, v32
	s_delay_alu instid0(VALU_DEP_4)
	v_add_f32_e32 v28, v28, v31
	v_cvt_f32_u32_e32 v31, v57
	v_cvt_f32_u32_e32 v30, v30
	v_lshrrev_b32_e32 v39, 16, v45
	v_cvt_f32_u32_e32 v45, v69
	v_and_b32_e32 v71, 0xffff, v33
	v_lshrrev_b32_e32 v33, 16, v42
	s_waitcnt vmcnt(4)
	v_and_b32_e32 v51, 0xffff, v18
	v_lshrrev_b32_e32 v52, 16, v19
	v_lshrrev_b32_e32 v74, 16, v35
	v_lshrrev_b32_e32 v76, 16, v36
	v_mul_f32_e32 v79, v22, v22
	v_add_f32_e32 v29, v29, v32
	v_cvt_f32_u32_e32 v32, v56
	v_cvt_f32_u32_e32 v33, v33
	v_add_f32_e32 v30, v31, v30
	v_cvt_f32_u32_e32 v51, v51
	v_and_b32_e32 v77, 0xffff, v36
	v_lshrrev_b32_e32 v36, 16, v43
	v_cvt_f32_u32_e32 v52, v52
	v_and_b32_e32 v75, 0xffff, v35
	v_cvt_f32_u32_e32 v35, v59
	v_fmac_f32_e32 v79, v23, v23
	v_add_f32_e32 v31, v32, v33
	v_cvt_f32_u32_e32 v33, v58
	v_cvt_f32_u32_e32 v36, v36
	v_add_f32_e32 v32, v35, v34
	v_cvt_f32_u32_e32 v34, v61
	v_lshrrev_b32_e32 v35, 16, v44
	v_fmac_f32_e32 v79, v24, v24
	v_add_f32_e32 v33, v33, v36
	v_cvt_f32_u32_e32 v36, v60
	v_add_f32_e32 v34, v34, v37
	v_cvt_f32_u32_e32 v35, v35
	v_cvt_f32_u32_e32 v37, v63
	;; [unrolled: 1-line block ×4, first 2 shown]
	v_lshrrev_b32_e32 v42, 16, v46
	v_fmac_f32_e32 v79, v25, v25
	v_dual_add_f32 v35, v36, v35 :: v_dual_add_f32 v36, v37, v38
	v_cvt_f32_u32_e32 v38, v65
	v_add_f32_e32 v37, v40, v39
	v_and_b32_e32 v40, 0xffff, v47
	v_cvt_f32_u32_e32 v39, v64
	v_cvt_f32_u32_e32 v42, v42
	v_lshrrev_b32_e32 v43, 16, v47
	v_and_b32_e32 v44, 0xffff, v48
	v_add_f32_e32 v38, v38, v41
	v_cvt_f32_u32_e32 v41, v67
	v_cvt_f32_u32_e32 v40, v40
	v_add_f32_e32 v39, v39, v42
	v_cvt_f32_u32_e32 v42, v66
	v_cvt_f32_u32_e32 v43, v43
	v_lshrrev_b32_e32 v46, 16, v48
	v_cvt_f32_u32_e32 v44, v44
	v_and_b32_e32 v47, 0xffff, v49
	v_dual_fmac_f32 v79, v26, v26 :: v_dual_and_b32 v48, 0xffff, v17
	v_dual_add_f32 v40, v41, v40 :: v_dual_add_f32 v41, v42, v43
	v_cvt_f32_u32_e32 v43, v68
	v_cvt_f32_u32_e32 v46, v46
	v_add_f32_e32 v42, v45, v44
	v_cvt_f32_u32_e32 v44, v71
	v_lshrrev_b32_e32 v45, 16, v49
	v_cvt_f32_u32_e32 v47, v47
	v_lshrrev_b32_e32 v17, 16, v17
	v_add_f32_e32 v43, v43, v46
	v_cvt_f32_u32_e32 v46, v70
	v_cvt_f32_u32_e32 v45, v45
	v_add_f32_e32 v44, v44, v47
	v_cvt_f32_u32_e32 v47, v73
	v_cvt_f32_u32_e32 v48, v48
	;; [unrolled: 1-line block ×4, first 2 shown]
	v_lshrrev_b32_e32 v18, 16, v18
	v_fmac_f32_e32 v79, v27, v27
	v_dual_add_f32 v45, v46, v45 :: v_dual_add_f32 v46, v47, v48
	s_delay_alu instid0(VALU_DEP_4)
	v_add_f32_e32 v47, v49, v17
	v_cvt_f32_u32_e32 v17, v74
	v_cvt_f32_u32_e32 v18, v18
	v_and_b32_e32 v49, 0xffff, v19
	v_and_b32_e32 v68, 31, v0
	v_cvt_f32_u32_e32 v48, v75
	v_perm_b32 v55, v29, v28, 0x7060302
	v_dual_add_f32 v19, v17, v18 :: v_dual_and_b32 v18, 0xffff, v20
	v_fmac_f32_e32 v79, v28, v28
	s_delay_alu instid0(VALU_DEP_4)
	v_add_f32_e32 v48, v48, v51
	v_cvt_f32_u32_e32 v51, v77
	v_cvt_f32_u32_e32 v49, v49
	;; [unrolled: 1-line block ×3, first 2 shown]
	v_fmac_f32_e32 v79, v29, v29
	v_cvt_f32_u32_e32 v18, v18
	v_perm_b32 v54, v27, v26, 0x7060302
	v_add_f32_e32 v49, v51, v49
	v_lshrrev_b32_e32 v51, 16, v20
	v_dual_fmac_f32 v79, v30, v30 :: v_dual_add_f32 v20, v17, v52
	v_cvt_f32_u32_e32 v17, v78
	v_add_f32_e32 v50, v50, v18
	s_delay_alu instid0(VALU_DEP_4) | instskip(NEXT) | instid1(VALU_DEP_4)
	v_cvt_f32_u32_e32 v51, v51
	v_fmac_f32_e32 v79, v31, v31
	v_perm_b32 v53, v25, v24, 0x7060302
	v_perm_b32 v52, v22, v23, 0x7060302
	;; [unrolled: 1-line block ×3, first 2 shown]
	v_add_f32_e32 v51, v17, v51
	v_fmac_f32_e32 v79, v32, v32
	v_perm_b32 v58, v35, v34, 0x7060302
	v_perm_b32 v57, v33, v32, 0x7060302
	;; [unrolled: 1-line block ×4, first 2 shown]
	v_fmac_f32_e32 v79, v33, v33
	v_perm_b32 v62, v43, v42, 0x7060302
	v_perm_b32 v61, v41, v40, 0x7060302
	;; [unrolled: 1-line block ×4, first 2 shown]
	v_fmac_f32_e32 v79, v34, v34
	v_perm_b32 v66, v20, v49, 0x7060302
	v_perm_b32 v65, v19, v48, 0x7060302
	;; [unrolled: 1-line block ×3, first 2 shown]
	v_cmp_eq_u32_e64 s0, 31, v68
	v_fmac_f32_e32 v79, v35, v35
	buffer_store_b128 v[52:55], v21, s[28:31], 0 offen
	;;#ASMSTART
	s_nop 0
	;;#ASMEND
	buffer_store_b128 v[56:59], v21, s[28:31], 16 offen
	;;#ASMSTART
	s_nop 0
	;;#ASMEND
	v_fmac_f32_e32 v79, v36, v36
	buffer_store_b128 v[60:63], v21, s[28:31], 32 offen
	;;#ASMSTART
	s_nop 0
	;;#ASMEND
	buffer_store_b128 v[64:67], v21, s[28:31], 48 offen
	;;#ASMSTART
	s_nop 0
	;;#ASMEND
	v_fmac_f32_e32 v79, v37, v37
	s_delay_alu instid0(VALU_DEP_1) | instskip(NEXT) | instid1(VALU_DEP_1)
	v_fmac_f32_e32 v79, v38, v38
	v_fmac_f32_e32 v79, v39, v39
	s_delay_alu instid0(VALU_DEP_1) | instskip(NEXT) | instid1(VALU_DEP_1)
	v_fmac_f32_e32 v79, v40, v40
	;; [unrolled: 3-line block ×8, first 2 shown]
	v_fmac_f32_e32 v79, v51, v51
	s_delay_alu instid0(VALU_DEP_1) | instskip(NEXT) | instid1(VALU_DEP_1)
	v_mov_b32_dpp v17, v79 quad_perm:[1,0,3,2] row_mask:0xf bank_mask:0xf
	v_add_f32_e32 v17, v79, v17
	s_delay_alu instid0(VALU_DEP_1) | instskip(NEXT) | instid1(VALU_DEP_1)
	v_mov_b32_dpp v18, v17 quad_perm:[2,3,0,1] row_mask:0xf bank_mask:0xf
	v_add_f32_e32 v17, v17, v18
	s_delay_alu instid0(VALU_DEP_1) | instskip(NEXT) | instid1(VALU_DEP_1)
	v_mov_b32_dpp v18, v17 row_xmask:7 row_mask:0xf bank_mask:0xf
	v_add_f32_e32 v17, v17, v18
	s_delay_alu instid0(VALU_DEP_1)
	v_mov_b32_dpp v18, v17 row_xmask:15 row_mask:0xf bank_mask:0xf
	s_and_saveexec_b32 s1, s0
	s_cbranch_execz .LBB56_3
; %bb.2:
	s_delay_alu instid0(VALU_DEP_1) | instskip(SKIP_2) | instid1(VALU_DEP_2)
	v_add_f32_e32 v17, v17, v18
	s_mov_b32 s6, 0x76543210
	v_lshrrev_b32_e32 v18, 3, v0
	v_permlanex16_b32 v21, v17, s6, 0xfedcba98 op_sel:[1,1]
	s_delay_alu instid0(VALU_DEP_1)
	v_dual_add_f32 v17, v17, v21 :: v_dual_and_b32 v18, 0x7c, v18
	ds_store_b32 v18, v17 offset:32
.LBB56_3:
	s_or_b32 exec_lo, exec_lo, s1
	v_and_b32_e32 v17, 7, v0
	s_waitcnt vmcnt(0) lgkmcnt(0)
	s_waitcnt_vscnt null, 0x0
	s_barrier
	buffer_gl0_inv
	v_cvt_f32_i32_e32 v52, s13
	v_lshlrev_b32_e32 v18, 2, v17
	s_cmp_lg_u32 s18, 0
	v_and_b32_e32 v58, 0xffff, v11
	v_lshrrev_b32_e32 v11, 16, v11
	v_and_b32_e32 v62, 0xffff, v7
	ds_load_b32 v17, v18 offset:32
	v_lshrrev_b32_e32 v7, 16, v7
	v_cvt_f32_u32_e32 v58, v58
	v_cvt_f32_u32_e32 v11, v11
	v_cvt_f32_u32_e32 v62, v62
	v_and_b32_e32 v66, 0xffff, v3
	v_lshrrev_b32_e32 v3, 16, v3
	v_cvt_f32_u32_e32 v7, v7
	s_delay_alu instid0(VALU_DEP_3) | instskip(SKIP_2) | instid1(VALU_DEP_1)
	v_cvt_f32_u32_e32 v66, v66
	s_waitcnt lgkmcnt(0)
	v_mov_b32_dpp v21, v17 quad_perm:[1,0,3,2] row_mask:0xf bank_mask:0xf
	v_add_f32_e32 v17, v17, v21
	s_delay_alu instid0(VALU_DEP_1) | instskip(NEXT) | instid1(VALU_DEP_1)
	v_mov_b32_dpp v21, v17 quad_perm:[2,3,0,1] row_mask:0xf bank_mask:0xf
	v_add_f32_e32 v17, v17, v21
	s_delay_alu instid0(VALU_DEP_1) | instskip(NEXT) | instid1(VALU_DEP_1)
	v_mov_b32_dpp v21, v17 row_xmask:7 row_mask:0xf bank_mask:0xf
	v_add_f32_e32 v17, v17, v21
	s_delay_alu instid0(VALU_DEP_1) | instskip(SKIP_1) | instid1(VALU_DEP_2)
	v_div_scale_f32 v21, null, v52, v52, v17
	v_div_scale_f32 v55, vcc_lo, v17, v52, v17
	v_rcp_f32_e32 v53, v21
	s_waitcnt_depctr 0xfff
	v_fma_f32 v54, -v21, v53, 1.0
	s_delay_alu instid0(VALU_DEP_1) | instskip(NEXT) | instid1(VALU_DEP_1)
	v_fmac_f32_e32 v53, v54, v53
	v_mul_f32_e32 v54, v55, v53
	s_delay_alu instid0(VALU_DEP_1) | instskip(NEXT) | instid1(VALU_DEP_1)
	v_fma_f32 v56, -v21, v54, v55
	v_fmac_f32_e32 v54, v56, v53
	s_delay_alu instid0(VALU_DEP_1) | instskip(NEXT) | instid1(VALU_DEP_1)
	v_fma_f32 v21, -v21, v54, v55
	v_div_fmas_f32 v21, v21, v53, v54
	v_and_b32_e32 v54, 0xffff, v14
	v_lshrrev_b32_e32 v14, 16, v14
	s_delay_alu instid0(VALU_DEP_3) | instskip(NEXT) | instid1(VALU_DEP_3)
	v_div_fixup_f32 v17, v21, v52, v17
	v_cvt_f32_u32_e32 v54, v54
	s_delay_alu instid0(VALU_DEP_3) | instskip(NEXT) | instid1(VALU_DEP_3)
	v_cvt_f32_u32_e32 v14, v14
	v_cvt_f64_f32_e32 v[52:53], v17
	v_lshlrev_b32_e32 v17, 5, v0
	s_delay_alu instid0(VALU_DEP_2) | instskip(NEXT) | instid1(VALU_DEP_1)
	v_add_f64 v[52:53], v[52:53], s[24:25]
	v_cvt_f32_f64_e32 v52, v[52:53]
	s_delay_alu instid0(VALU_DEP_1) | instskip(SKIP_3) | instid1(VALU_DEP_4)
	v_mul_f32_e32 v69, 0x4b800000, v52
	v_cmp_gt_f32_e32 vcc_lo, 0x800000, v52
	v_and_b32_e32 v53, 0xffff, v15
	v_lshrrev_b32_e32 v15, 16, v15
	v_cndmask_b32_e32 v52, v52, v69, vcc_lo
	s_delay_alu instid0(VALU_DEP_3) | instskip(NEXT) | instid1(VALU_DEP_3)
	v_cvt_f32_u32_e32 v53, v53
	v_cvt_f32_u32_e32 v15, v15
	s_delay_alu instid0(VALU_DEP_3) | instskip(SKIP_4) | instid1(VALU_DEP_3)
	v_rsq_f32_e32 v52, v52
	s_waitcnt_depctr 0xfff
	v_mul_f32_e32 v69, 0x45800000, v52
	v_and_b32_e32 v55, 0xffff, v16
	v_lshrrev_b32_e32 v16, 16, v16
	v_dual_cndmask_b32 v52, v52, v69 :: v_dual_and_b32 v67, 0xffff, v4
	v_lshrrev_b32_e32 v4, 16, v4
	v_and_b32_e32 v59, 0xffff, v12
	v_lshrrev_b32_e32 v12, 16, v12
	v_and_b32_e32 v21, 0xffff, v13
	v_and_b32_e32 v57, 0xffff, v10
	;; [unrolled: 1-line block ×4, first 2 shown]
	v_cvt_f32_u32_e32 v55, v55
	v_cvt_f32_u32_e32 v70, v4
	v_mul_f32_e32 v4, v22, v52
	v_mul_f32_e32 v22, v24, v52
	;; [unrolled: 1-line block ×4, first 2 shown]
	v_and_b32_e32 v56, 0xffff, v9
	v_and_b32_e32 v60, 0xffff, v5
	v_dual_mul_f32 v74, v52, v34 :: v_dual_and_b32 v63, 0xffff, v8
	v_lshrrev_b32_e32 v8, 16, v8
	v_and_b32_e32 v64, 0xffff, v1
	v_mov_b32_e32 v68, 0x2edbe6ff
	v_cvt_f32_u32_e32 v16, v16
	v_cvt_f32_u32_e32 v12, v12
	;; [unrolled: 1-line block ×3, first 2 shown]
	v_mul_f32_e32 v3, v23, v52
	v_mul_f32_e32 v23, v25, v52
	;; [unrolled: 1-line block ×5, first 2 shown]
	v_lshrrev_b32_e32 v10, 16, v10
	v_lshrrev_b32_e32 v13, 16, v13
	;; [unrolled: 1-line block ×5, first 2 shown]
	v_mul_f32_e32 v28, v52, v30
	v_mul_f32_e32 v30, v26, v55
	;; [unrolled: 1-line block ×3, first 2 shown]
	v_cvt_f32_u32_e32 v21, v21
	v_cvt_f32_u32_e32 v8, v8
	;; [unrolled: 1-line block ×3, first 2 shown]
	v_mul_f32_e32 v72, v52, v32
	v_dual_mul_f32 v46, v52, v46 :: v_dual_mul_f32 v29, v27, v16
	v_mul_f32_e32 v32, v24, v53
	v_dual_mul_f32 v24, v37, v12 :: v_dual_mul_f32 v45, v52, v45
	v_lshrrev_b32_e32 v1, 16, v1
	v_cvt_f32_u32_e32 v10, v10
	v_dual_mul_f32 v73, v52, v33 :: v_dual_mul_f32 v34, v23, v14
	v_lshrrev_b32_e32 v6, 16, v6
	v_cvt_f32_u32_e32 v13, v13
	v_cvt_f32_u32_e32 v9, v9
	;; [unrolled: 1-line block ×4, first 2 shown]
	v_mul_f32_e32 v71, v52, v31
	v_mul_f32_e32 v39, v52, v39
	;; [unrolled: 1-line block ×3, first 2 shown]
	v_dual_mul_f32 v77, v52, v19 :: v_dual_mul_f32 v12, v45, v8
	v_cvt_f32_u32_e32 v56, v56
	v_dual_mul_f32 v76, v52, v36 :: v_dual_mul_f32 v31, v25, v15
	v_mul_f32_e32 v49, v52, v49
	v_dual_mul_f32 v36, v3, v21 :: v_dual_mul_f32 v75, v52, v35
	v_mul_f32_e32 v26, v71, v9
	v_cvt_f32_u32_e32 v1, v1
	v_mul_f32_e32 v33, v22, v54
	v_dual_mul_f32 v22, v73, v10 :: v_dual_mul_f32 v47, v52, v47
	v_cvt_f32_u32_e32 v57, v57
	v_cvt_f32_u32_e32 v6, v6
	v_mul_f32_e32 v41, v52, v41
	v_dual_mul_f32 v35, v4, v13 :: v_dual_mul_f32 v4, v77, v2
	v_dual_mul_f32 v78, v52, v20 :: v_dual_mul_f32 v7, v49, v66
	;; [unrolled: 1-line block ×3, first 2 shown]
	v_mul_f32_e32 v10, v47, v1
	v_cvt_f32_u32_e32 v59, v59
	v_cvt_f32_u32_e32 v60, v60
	v_mul_f32_e32 v38, v52, v38
	v_cvt_f32_u32_e32 v61, v61
	v_cvt_f32_u32_e32 v65, v65
	v_dual_mul_f32 v40, v52, v40 :: v_dual_mul_f32 v27, v74, v58
	v_mul_f32_e32 v42, v52, v42
	v_mul_f32_e32 v48, v52, v48
	v_cvt_f32_u32_e32 v63, v63
	v_dual_mul_f32 v25, v28, v56 :: v_dual_mul_f32 v8, v78, v69
	v_mul_f32_e32 v28, v75, v11
	v_dual_mul_f32 v44, v52, v44 :: v_dual_mul_f32 v15, v41, v6
	v_dual_mul_f32 v6, v51, v70 :: v_dual_and_b32 v1, 0x7fffffff, v36
	v_dual_mul_f32 v21, v72, v57 :: v_dual_and_b32 v2, 0x7fffffff, v35
	;;#ASMSTART
	v_max3_f32 v1, v68, v1, v2

	;;#ASMEND
	v_dual_mul_f32 v50, v52, v50 :: v_dual_mul_f32 v19, v38, v60
	v_dual_mul_f32 v23, v76, v59 :: v_dual_and_b32 v38, 0x7fffffff, v34
	v_and_b32_e32 v37, 0x7fffffff, v33
	;;#ASMSTART
	v_max3_f32 v1, v1, v37, v38

	;;#ASMEND
	v_cvt_f32_u32_e32 v67, v67
	v_dual_mul_f32 v16, v40, v61 :: v_dual_mul_f32 v13, v42, v62
	v_mul_f32_e32 v9, v46, v64
	v_dual_mul_f32 v3, v48, v65 :: v_dual_and_b32 v40, 0x7fffffff, v31
	v_and_b32_e32 v39, 0x7fffffff, v32
	;;#ASMSTART
	v_max3_f32 v1, v1, v39, v40

	;;#ASMEND
	v_dual_mul_f32 v11, v44, v63 :: v_dual_and_b32 v42, 0x7fffffff, v29
	v_and_b32_e32 v41, 0x7fffffff, v30
	;;#ASMSTART
	v_max3_f32 v1, v1, v41, v42

	;;#ASMEND
	v_and_b32_e32 v43, 0x7fffffff, v25
	v_and_b32_e32 v44, 0x7fffffff, v26
	;;#ASMSTART
	v_max3_f32 v1, v1, v43, v44

	;;#ASMEND
	v_and_b32_e32 v45, 0x7fffffff, v21
	;; [unrolled: 6-line block ×3, first 2 shown]
	v_and_b32_e32 v48, 0x7fffffff, v28
	;;#ASMSTART
	v_max3_f32 v1, v1, v47, v48

	;;#ASMEND
	v_mul_f32_e32 v5, v50, v67
	v_and_b32_e32 v49, 0x7fffffff, v23
	v_and_b32_e32 v50, 0x7fffffff, v24
	;;#ASMSTART
	v_max3_f32 v1, v1, v49, v50

	;;#ASMEND
	v_and_b32_e32 v51, 0x7fffffff, v19
	v_and_b32_e32 v52, 0x7fffffff, v20
	;;#ASMSTART
	v_max3_f32 v1, v1, v51, v52

	;;#ASMEND
	v_and_b32_e32 v53, 0x7fffffff, v16
	v_and_b32_e32 v54, 0x7fffffff, v15
	;;#ASMSTART
	v_max3_f32 v1, v1, v53, v54

	;;#ASMEND
	v_and_b32_e32 v55, 0x7fffffff, v13
	v_and_b32_e32 v56, 0x7fffffff, v14
	;;#ASMSTART
	v_max3_f32 v1, v1, v55, v56

	;;#ASMEND
	v_and_b32_e32 v57, 0x7fffffff, v11
	v_and_b32_e32 v58, 0x7fffffff, v12
	;;#ASMSTART
	v_max3_f32 v1, v1, v57, v58

	;;#ASMEND
	v_and_b32_e32 v59, 0x7fffffff, v9
	v_and_b32_e32 v60, 0x7fffffff, v10
	;;#ASMSTART
	v_max3_f32 v1, v1, v59, v60

	;;#ASMEND
	v_and_b32_e32 v61, 0x7fffffff, v3
	v_and_b32_e32 v62, 0x7fffffff, v4
	;;#ASMSTART
	v_max3_f32 v1, v1, v61, v62

	;;#ASMEND
	v_and_b32_e32 v63, 0x7fffffff, v7
	v_and_b32_e32 v64, 0x7fffffff, v8
	v_and_b32_e32 v65, 0x7fffffff, v5
	v_and_b32_e32 v66, 0x7fffffff, v6
	;;#ASMSTART
	v_max3_f32 v1, v1, v63, v64

	;;#ASMEND
	;;#ASMSTART
	v_max3_f32 v37, v1, v65, v66

	;;#ASMEND
	s_cbranch_scc0 .LBB56_10
; %bb.4:
	s_ashr_i32 s11, s18, 31
	s_delay_alu instid0(SALU_CYCLE_1) | instskip(NEXT) | instid1(SALU_CYCLE_1)
	s_lshr_b32 s1, s11, 27
	s_add_i32 s1, s18, s1
	s_delay_alu instid0(SALU_CYCLE_1) | instskip(NEXT) | instid1(SALU_CYCLE_1)
	s_ashr_i32 s1, s1, 5
	s_cmp_lt_i32 s1, 8
	s_cbranch_scc1 .LBB56_11
; %bb.5:
	s_cmp_lt_i32 s1, 16
	s_cbranch_scc1 .LBB56_12
; %bb.6:
	;; [unrolled: 3-line block ×3, first 2 shown]
	v_mov_b32_e32 v1, v37
	s_cmp_eq_u32 s1, 32
	s_cbranch_scc0 .LBB56_9
; %bb.8:
	s_delay_alu instid0(VALU_DEP_1) | instskip(SKIP_1) | instid1(VALU_DEP_1)
	v_mov_b32_dpp v1, v37 quad_perm:[1,0,3,2] row_mask:0xf bank_mask:0xf
	s_mov_b32 s6, 0x76543210
	v_cmp_gt_f32_e32 vcc_lo, v37, v1
	v_cndmask_b32_e32 v1, v1, v37, vcc_lo
	s_delay_alu instid0(VALU_DEP_1) | instskip(NEXT) | instid1(VALU_DEP_1)
	v_mov_b32_dpp v2, v1 quad_perm:[2,3,0,1] row_mask:0xf bank_mask:0xf
	v_cmp_gt_f32_e32 vcc_lo, v1, v2
	v_cndmask_b32_e32 v1, v2, v1, vcc_lo
	s_delay_alu instid0(VALU_DEP_1) | instskip(NEXT) | instid1(VALU_DEP_1)
	v_mov_b32_dpp v2, v1 row_xmask:7 row_mask:0xf bank_mask:0xf
	v_cmp_gt_f32_e32 vcc_lo, v1, v2
	v_cndmask_b32_e32 v1, v2, v1, vcc_lo
	s_delay_alu instid0(VALU_DEP_1) | instskip(NEXT) | instid1(VALU_DEP_1)
	v_mov_b32_dpp v2, v1 row_xmask:15 row_mask:0xf bank_mask:0xf
	v_cmp_gt_f32_e32 vcc_lo, v1, v2
	v_cndmask_b32_e32 v1, v2, v1, vcc_lo
	s_delay_alu instid0(VALU_DEP_1) | instskip(NEXT) | instid1(VALU_DEP_1)
	v_permlanex16_b32 v2, v1, s6, 0xfedcba98 op_sel:[1,1]
	v_cmp_gt_f32_e32 vcc_lo, v1, v2
	v_cndmask_b32_e32 v1, v2, v1, vcc_lo
.LBB56_9:
	s_mov_b32 s6, 0
	s_branch .LBB56_14
.LBB56_10:
	s_mov_b32 s1, 0
                                        ; implicit-def: $vgpr38
                                        ; implicit-def: $vgpr1_vgpr2
	s_and_b32 vcc_lo, exec_lo, s31
	s_cbranch_vccnz .LBB56_38
	s_branch .LBB56_41
.LBB56_11:
                                        ; implicit-def: $vgpr1
	s_branch .LBB56_21
.LBB56_12:
                                        ; implicit-def: $vgpr1
	s_branch .LBB56_18
.LBB56_13:
	s_mov_b32 s6, -1
                                        ; implicit-def: $vgpr1
.LBB56_14:
	s_delay_alu instid0(SALU_CYCLE_1)
	s_and_not1_b32 vcc_lo, exec_lo, s6
	s_cbranch_vccnz .LBB56_17
; %bb.15:
	v_mov_b32_e32 v1, v37
	s_cmp_eq_u32 s1, 16
	s_cbranch_scc0 .LBB56_17
; %bb.16:
	s_delay_alu instid0(VALU_DEP_1) | instskip(NEXT) | instid1(VALU_DEP_1)
	v_mov_b32_dpp v1, v37 quad_perm:[1,0,3,2] row_mask:0xf bank_mask:0xf
	v_cmp_gt_f32_e32 vcc_lo, v37, v1
	v_cndmask_b32_e32 v1, v1, v37, vcc_lo
	s_delay_alu instid0(VALU_DEP_1) | instskip(NEXT) | instid1(VALU_DEP_1)
	v_mov_b32_dpp v2, v1 quad_perm:[2,3,0,1] row_mask:0xf bank_mask:0xf
	v_cmp_gt_f32_e32 vcc_lo, v1, v2
	v_cndmask_b32_e32 v1, v2, v1, vcc_lo
	s_delay_alu instid0(VALU_DEP_1) | instskip(NEXT) | instid1(VALU_DEP_1)
	v_mov_b32_dpp v2, v1 row_half_mirror row_mask:0xf bank_mask:0xf
	v_cmp_gt_f32_e32 vcc_lo, v1, v2
	v_cndmask_b32_e32 v1, v2, v1, vcc_lo
	s_delay_alu instid0(VALU_DEP_1) | instskip(NEXT) | instid1(VALU_DEP_1)
	v_mov_b32_dpp v2, v1 row_mirror row_mask:0xf bank_mask:0xf
	v_cmp_gt_f32_e32 vcc_lo, v1, v2
	v_cndmask_b32_e32 v1, v2, v1, vcc_lo
.LBB56_17:
	s_cbranch_execnz .LBB56_20
.LBB56_18:
	v_mov_b32_e32 v1, v37
	s_cmp_eq_u32 s1, 8
	s_cbranch_scc0 .LBB56_20
; %bb.19:
	s_delay_alu instid0(VALU_DEP_1) | instskip(NEXT) | instid1(VALU_DEP_1)
	v_mov_b32_dpp v1, v37 quad_perm:[1,0,3,2] row_mask:0xf bank_mask:0xf
	v_cmp_gt_f32_e32 vcc_lo, v37, v1
	v_cndmask_b32_e32 v1, v1, v37, vcc_lo
	s_delay_alu instid0(VALU_DEP_1) | instskip(NEXT) | instid1(VALU_DEP_1)
	v_mov_b32_dpp v2, v1 quad_perm:[2,3,0,1] row_mask:0xf bank_mask:0xf
	v_cmp_gt_f32_e32 vcc_lo, v1, v2
	v_cndmask_b32_e32 v1, v2, v1, vcc_lo
	s_delay_alu instid0(VALU_DEP_1) | instskip(NEXT) | instid1(VALU_DEP_1)
	v_mov_b32_dpp v2, v1 row_half_mirror row_mask:0xf bank_mask:0xf
	v_cmp_gt_f32_e32 vcc_lo, v1, v2
	v_cndmask_b32_e32 v1, v2, v1, vcc_lo
.LBB56_20:
	s_cbranch_execnz .LBB56_28
.LBB56_21:
	s_cmp_lt_i32 s1, 4
	s_cbranch_scc1 .LBB56_24
; %bb.22:
	v_mov_b32_e32 v1, v37
	s_cmp_eq_u32 s1, 4
	s_cbranch_scc0 .LBB56_25
; %bb.23:
	s_delay_alu instid0(VALU_DEP_1) | instskip(NEXT) | instid1(VALU_DEP_1)
	v_mov_b32_dpp v1, v37 quad_perm:[1,0,3,2] row_mask:0xf bank_mask:0xf
	v_cmp_gt_f32_e32 vcc_lo, v37, v1
	v_cndmask_b32_e32 v1, v1, v37, vcc_lo
	s_delay_alu instid0(VALU_DEP_1) | instskip(NEXT) | instid1(VALU_DEP_1)
	v_mov_b32_dpp v2, v1 quad_perm:[2,3,0,1] row_mask:0xf bank_mask:0xf
	v_cmp_gt_f32_e32 vcc_lo, v1, v2
	v_cndmask_b32_e32 v1, v2, v1, vcc_lo
	s_cbranch_execz .LBB56_26
	s_branch .LBB56_28
.LBB56_24:
                                        ; implicit-def: $vgpr1
	s_branch .LBB56_26
.LBB56_25:
	s_cbranch_execnz .LBB56_28
.LBB56_26:
	v_mov_b32_e32 v1, v37
	s_cmp_lg_u32 s1, 2
	s_cbranch_scc1 .LBB56_28
; %bb.27:
	s_delay_alu instid0(VALU_DEP_1) | instskip(NEXT) | instid1(VALU_DEP_1)
	v_mov_b32_dpp v1, v37 quad_perm:[1,0,3,2] row_mask:0xf bank_mask:0xf
	v_cmp_gt_f32_e32 vcc_lo, v37, v1
	v_cndmask_b32_e32 v1, v1, v37, vcc_lo
.LBB56_28:
	v_cvt_f32_u32_e32 v2, s1
	s_sub_i32 s6, 0, s1
	s_mov_b32 s31, 0
	s_delay_alu instid0(VALU_DEP_1) | instskip(SKIP_2) | instid1(VALU_DEP_1)
	v_rcp_iflag_f32_e32 v2, v2
	s_waitcnt_depctr 0xfff
	v_mul_f32_e32 v2, 0x4f7ffffe, v2
	v_cvt_u32_f32_e32 v2, v2
	s_delay_alu instid0(VALU_DEP_1) | instskip(NEXT) | instid1(VALU_DEP_1)
	v_mul_lo_u32 v38, s6, v2
	v_mul_hi_u32 v38, v2, v38
	s_delay_alu instid0(VALU_DEP_1) | instskip(NEXT) | instid1(VALU_DEP_1)
	v_add_nc_u32_e32 v2, v2, v38
	v_mul_hi_u32 v2, v0, v2
	s_delay_alu instid0(VALU_DEP_1) | instskip(NEXT) | instid1(VALU_DEP_1)
	v_mul_lo_u32 v38, v2, s1
	v_sub_nc_u32_e32 v38, v0, v38
	s_delay_alu instid0(VALU_DEP_1) | instskip(SKIP_1) | instid1(VALU_DEP_2)
	v_subrev_nc_u32_e32 v40, s1, v38
	v_cmp_le_u32_e32 vcc_lo, s1, v38
	v_dual_cndmask_b32 v38, v38, v40 :: v_dual_add_nc_u32 v39, 1, v2
	s_delay_alu instid0(VALU_DEP_1) | instskip(NEXT) | instid1(VALU_DEP_2)
	v_cndmask_b32_e32 v2, v2, v39, vcc_lo
	v_cmp_le_u32_e32 vcc_lo, s1, v38
	s_delay_alu instid0(VALU_DEP_2) | instskip(NEXT) | instid1(VALU_DEP_1)
	v_dual_mul_f32 v38, 0x3c010204, v1 :: v_dual_add_nc_u32 v39, 1, v2
	v_cndmask_b32_e32 v39, v2, v39, vcc_lo
	v_cmp_gt_u32_e32 vcc_lo, s13, v17
	s_delay_alu instid0(VALU_DEP_2) | instskip(NEXT) | instid1(VALU_DEP_1)
	v_mul_lo_u32 v2, v39, s1
	v_sub_nc_u32_e32 v2, v0, v2
	s_delay_alu instid0(VALU_DEP_1) | instskip(NEXT) | instid1(VALU_DEP_1)
	v_cmp_eq_u32_e64 s1, 0, v2
                                        ; implicit-def: $vgpr1_vgpr2
	s_and_b32 s6, s1, vcc_lo
	s_mov_b32 s1, 0
	s_and_saveexec_b32 s7, s6
	s_delay_alu instid0(SALU_CYCLE_1)
	s_xor_b32 s16, exec_lo, s7
	s_cbranch_execz .LBB56_37
; %bb.29:
	s_bitcmp0_b32 s19, 0
	s_mov_b32 s10, 0
	s_cbranch_scc0 .LBB56_34
; %bb.30:
	s_ashr_i32 s1, s13, 31
	s_mul_hi_u32 s7, s13, s2
	s_mul_i32 s1, s1, s2
	s_mul_i32 s6, s13, s2
	s_add_i32 s7, s7, s1
	s_mov_b32 s19, s11
	s_delay_alu instid0(SALU_CYCLE_1) | instskip(NEXT) | instid1(SALU_CYCLE_1)
	s_or_b64 s[14:15], s[6:7], s[18:19]
	s_mov_b32 s11, s15
	s_delay_alu instid0(SALU_CYCLE_1)
	s_cmp_lg_u64 s[10:11], 0
	s_cbranch_scc0 .LBB56_45
; %bb.31:
	s_add_u32 s14, s18, s19
	s_mov_b32 s10, s19
	s_mov_b32 s11, s19
	s_addc_u32 s15, s19, s19
	s_delay_alu instid0(SALU_CYCLE_1) | instskip(NEXT) | instid1(SALU_CYCLE_1)
	s_xor_b64 s[14:15], s[14:15], s[10:11]
	v_cvt_f32_u32_e32 v1, s14
	v_cvt_f32_u32_e32 v2, s15
	s_sub_u32 s20, 0, s14
	s_subb_u32 s21, 0, s15
	s_delay_alu instid0(VALU_DEP_1) | instskip(NEXT) | instid1(VALU_DEP_1)
	v_fmamk_f32 v1, v2, 0x4f800000, v1
	v_rcp_f32_e32 v1, v1
	s_waitcnt_depctr 0xfff
	v_mul_f32_e32 v1, 0x5f7ffffc, v1
	s_delay_alu instid0(VALU_DEP_1) | instskip(NEXT) | instid1(VALU_DEP_1)
	v_mul_f32_e32 v2, 0x2f800000, v1
	v_trunc_f32_e32 v2, v2
	s_delay_alu instid0(VALU_DEP_1) | instskip(SKIP_1) | instid1(VALU_DEP_2)
	v_fmamk_f32 v1, v2, 0xcf800000, v1
	v_cvt_u32_f32_e32 v2, v2
	v_cvt_u32_f32_e32 v1, v1
	s_delay_alu instid0(VALU_DEP_2) | instskip(NEXT) | instid1(VALU_DEP_2)
	v_readfirstlane_b32 s1, v2
	v_readfirstlane_b32 s19, v1
	s_delay_alu instid0(VALU_DEP_2) | instskip(NEXT) | instid1(VALU_DEP_1)
	s_mul_i32 s22, s20, s1
	s_mul_hi_u32 s24, s20, s19
	s_mul_i32 s23, s21, s19
	s_add_i32 s22, s24, s22
	s_mul_i32 s25, s20, s19
	s_add_i32 s22, s22, s23
	s_mul_hi_u32 s24, s19, s25
	s_mul_hi_u32 s26, s1, s25
	s_mul_i32 s23, s1, s25
	s_mul_hi_u32 s25, s19, s22
	s_mul_i32 s19, s19, s22
	s_mul_hi_u32 s27, s1, s22
	s_add_u32 s19, s24, s19
	s_addc_u32 s24, 0, s25
	s_add_u32 s19, s19, s23
	s_mul_i32 s22, s1, s22
	s_addc_u32 s19, s24, s26
	s_addc_u32 s23, s27, 0
	s_add_u32 s19, s19, s22
	s_addc_u32 s22, 0, s23
	v_add_co_u32 v1, s19, v1, s19
	s_delay_alu instid0(VALU_DEP_1) | instskip(SKIP_1) | instid1(VALU_DEP_1)
	s_cmp_lg_u32 s19, 0
	s_addc_u32 s1, s1, s22
	v_readfirstlane_b32 s19, v1
	s_mul_i32 s22, s20, s1
	s_delay_alu instid0(VALU_DEP_1)
	s_mul_hi_u32 s23, s20, s19
	s_mul_i32 s21, s21, s19
	s_add_i32 s22, s23, s22
	s_mul_i32 s20, s20, s19
	s_add_i32 s22, s22, s21
	s_mul_hi_u32 s23, s1, s20
	s_mul_i32 s24, s1, s20
	s_mul_hi_u32 s20, s19, s20
	s_mul_hi_u32 s25, s19, s22
	s_mul_i32 s19, s19, s22
	s_mul_hi_u32 s21, s1, s22
	s_add_u32 s19, s20, s19
	s_addc_u32 s20, 0, s25
	s_add_u32 s19, s19, s24
	s_mul_i32 s22, s1, s22
	s_addc_u32 s19, s20, s23
	s_addc_u32 s20, s21, 0
	s_add_u32 s19, s19, s22
	s_addc_u32 s20, 0, s20
	v_add_co_u32 v1, s19, v1, s19
	s_delay_alu instid0(VALU_DEP_1) | instskip(SKIP_2) | instid1(SALU_CYCLE_1)
	s_cmp_lg_u32 s19, 0
	s_addc_u32 s1, s1, s20
	s_ashr_i32 s20, s7, 31
	s_add_u32 s22, s6, s20
	s_addc_u32 s23, s7, s20
	v_readfirstlane_b32 s7, v1
	s_mov_b32 s21, s20
	s_delay_alu instid0(SALU_CYCLE_1) | instskip(NEXT) | instid1(SALU_CYCLE_1)
	s_xor_b64 s[22:23], s[22:23], s[20:21]
	s_mul_i32 s24, s22, s1
	s_delay_alu instid0(VALU_DEP_1)
	s_mul_hi_u32 s25, s22, s7
	s_mul_hi_u32 s19, s22, s1
	;; [unrolled: 1-line block ×3, first 2 shown]
	s_mul_i32 s7, s23, s7
	s_add_u32 s24, s25, s24
	s_addc_u32 s19, 0, s19
	s_mul_hi_u32 s26, s23, s1
	s_add_u32 s7, s24, s7
	s_mul_i32 s1, s23, s1
	s_addc_u32 s7, s19, s27
	s_addc_u32 s19, s26, 0
	s_add_u32 s7, s7, s1
	s_addc_u32 s19, 0, s19
	s_mul_i32 s26, s14, s7
	s_mul_hi_u32 s1, s14, s7
	s_mul_i32 s25, s14, s19
	v_sub_co_u32 v1, s22, s22, s26
	s_mul_i32 s24, s15, s7
	s_add_i32 s1, s1, s25
	s_delay_alu instid0(SALU_CYCLE_1) | instskip(NEXT) | instid1(VALU_DEP_1)
	s_add_i32 s1, s1, s24
	v_sub_co_u32 v2, s25, v1, s14
	s_sub_i32 s24, s23, s1
	s_cmp_lg_u32 s22, 0
	s_subb_u32 s24, s24, s15
	s_cmp_lg_u32 s25, 0
	v_cmp_le_u32_e32 vcc_lo, s14, v2
	s_subb_u32 s24, s24, 0
	s_delay_alu instid0(SALU_CYCLE_1)
	s_cmp_ge_u32 s24, s15
	v_cndmask_b32_e64 v2, 0, -1, vcc_lo
	s_cselect_b32 s25, -1, 0
	s_cmp_eq_u32 s24, s15
	s_cselect_b32 vcc_lo, -1, 0
	s_add_u32 s24, s7, 1
	v_cndmask_b32_e32 v2, s25, v2, vcc_lo
	s_addc_u32 s25, s19, 0
	s_add_u32 s26, s7, 2
	s_addc_u32 s27, s19, 0
	s_cmp_lg_u32 s22, 0
	v_cmp_le_u32_e32 vcc_lo, s14, v1
	s_subb_u32 s1, s23, s1
	v_mov_b32_e32 v40, s26
	s_cmp_ge_u32 s1, s15
	v_cndmask_b32_e64 v1, 0, -1, vcc_lo
	s_cselect_b32 s14, -1, 0
	s_cmp_eq_u32 s1, s15
	v_cmp_ne_u32_e32 vcc_lo, 0, v2
	v_mov_b32_e32 v2, s27
	s_cselect_b32 s1, -1, 0
	s_xor_b64 s[10:11], s[20:21], s[10:11]
	v_cndmask_b32_e64 v1, s14, v1, s1
	v_cndmask_b32_e32 v40, s24, v40, vcc_lo
	v_cndmask_b32_e32 v2, s25, v2, vcc_lo
	s_delay_alu instid0(VALU_DEP_3) | instskip(NEXT) | instid1(VALU_DEP_2)
	v_cmp_ne_u32_e32 vcc_lo, 0, v1
	v_cndmask_b32_e32 v1, s19, v2, vcc_lo
	s_delay_alu instid0(VALU_DEP_4) | instskip(NEXT) | instid1(VALU_DEP_2)
	v_cndmask_b32_e32 v2, s7, v40, vcc_lo
	v_xor_b32_e32 v40, s11, v1
	s_delay_alu instid0(VALU_DEP_2) | instskip(NEXT) | instid1(VALU_DEP_1)
	v_xor_b32_e32 v2, s10, v2
	v_sub_co_u32 v1, vcc_lo, v2, s10
	s_delay_alu instid0(VALU_DEP_3)
	v_subrev_co_ci_u32_e32 v2, vcc_lo, s11, v40, vcc_lo
	s_cbranch_execnz .LBB56_33
.LBB56_32:
	v_cvt_f32_u32_e32 v1, s18
	s_sub_i32 s7, 0, s18
	s_delay_alu instid0(VALU_DEP_1) | instskip(SKIP_2) | instid1(VALU_DEP_1)
	v_rcp_iflag_f32_e32 v1, v1
	s_waitcnt_depctr 0xfff
	v_mul_f32_e32 v1, 0x4f7ffffe, v1
	v_cvt_u32_f32_e32 v1, v1
	s_delay_alu instid0(VALU_DEP_1) | instskip(NEXT) | instid1(VALU_DEP_1)
	v_readfirstlane_b32 s1, v1
	s_mul_i32 s7, s7, s1
	s_delay_alu instid0(SALU_CYCLE_1) | instskip(NEXT) | instid1(SALU_CYCLE_1)
	s_mul_hi_u32 s7, s1, s7
	s_add_i32 s1, s1, s7
	s_delay_alu instid0(SALU_CYCLE_1) | instskip(NEXT) | instid1(SALU_CYCLE_1)
	s_mul_hi_u32 s1, s6, s1
	s_mul_i32 s7, s1, s18
	s_delay_alu instid0(SALU_CYCLE_1)
	s_sub_i32 s6, s6, s7
	s_add_i32 s7, s1, 1
	s_sub_i32 s10, s6, s18
	s_cmp_ge_u32 s6, s18
	s_cselect_b32 s1, s7, s1
	s_cselect_b32 s6, s10, s6
	s_add_i32 s10, s1, 1
	s_cmp_ge_u32 s6, s18
	s_mov_b32 s7, 0
	s_cselect_b32 s6, s10, s1
	s_delay_alu instid0(SALU_CYCLE_1)
	v_dual_mov_b32 v1, s6 :: v_dual_mov_b32 v2, s7
.LBB56_33:
	s_delay_alu instid0(VALU_DEP_1) | instskip(NEXT) | instid1(VALU_DEP_2)
	v_add_co_u32 v1, vcc_lo, v1, v39
	v_add_co_ci_u32_e32 v2, vcc_lo, 0, v2, vcc_lo
	s_branch .LBB56_36
.LBB56_34:
                                        ; implicit-def: $vgpr1_vgpr2
	s_cbranch_execz .LBB56_36
; %bb.35:
	v_mul_lo_u32 v1, v39, s12
	s_delay_alu instid0(VALU_DEP_1) | instskip(SKIP_1) | instid1(VALU_DEP_2)
	v_ashrrev_i32_e32 v2, 31, v1
	v_add_co_u32 v1, vcc_lo, v1, s2
	v_add_co_ci_u32_e32 v2, vcc_lo, 0, v2, vcc_lo
.LBB56_36:
	s_mov_b32 s1, exec_lo
.LBB56_37:
	s_or_b32 exec_lo, exec_lo, s16
	s_delay_alu instid0(SALU_CYCLE_1)
	s_and_b32 vcc_lo, exec_lo, s31
	s_cbranch_vccz .LBB56_41
.LBB56_38:
	v_mov_b32_dpp v1, v37 quad_perm:[1,0,3,2] row_mask:0xf bank_mask:0xf
	s_delay_alu instid0(VALU_DEP_1) | instskip(SKIP_1) | instid1(VALU_DEP_1)
	v_cmp_gt_f32_e32 vcc_lo, v37, v1
	v_cndmask_b32_e32 v1, v1, v37, vcc_lo
	v_mov_b32_dpp v2, v1 quad_perm:[2,3,0,1] row_mask:0xf bank_mask:0xf
	s_delay_alu instid0(VALU_DEP_1) | instskip(SKIP_1) | instid1(VALU_DEP_1)
	v_cmp_gt_f32_e32 vcc_lo, v1, v2
	v_cndmask_b32_e32 v1, v2, v1, vcc_lo
	v_mov_b32_dpp v2, v1 row_xmask:7 row_mask:0xf bank_mask:0xf
	s_delay_alu instid0(VALU_DEP_1) | instskip(SKIP_1) | instid1(VALU_DEP_1)
	v_cmp_gt_f32_e32 vcc_lo, v1, v2
	v_cndmask_b32_e32 v1, v2, v1, vcc_lo
	v_mov_b32_dpp v2, v1 row_xmask:15 row_mask:0xf bank_mask:0xf
	s_delay_alu instid0(VALU_DEP_1)
	v_cmp_gt_f32_e32 vcc_lo, v1, v2
	s_and_saveexec_b32 s1, s0
	s_cbranch_execz .LBB56_40
; %bb.39:
	v_cndmask_b32_e32 v1, v2, v1, vcc_lo
	v_lshrrev_b32_e32 v2, 3, v0
	s_mov_b32 s0, 0x76543210
	s_delay_alu instid0(VALU_DEP_1) | instskip(NEXT) | instid1(VALU_DEP_3)
	v_and_b32_e32 v2, 0x7c, v2
	v_permlanex16_b32 v37, v1, s0, 0xfedcba98 op_sel:[1,1]
	s_delay_alu instid0(VALU_DEP_1)
	v_cmp_gt_f32_e32 vcc_lo, v1, v37
	v_cndmask_b32_e32 v1, v37, v1, vcc_lo
	ds_store_b32 v2, v1
.LBB56_40:
	s_or_b32 exec_lo, exec_lo, s1
	s_waitcnt lgkmcnt(0)
	s_barrier
	buffer_gl0_inv
	ds_load_b32 v1, v18
	v_cmp_eq_u32_e64 s1, 0, v0
	s_waitcnt lgkmcnt(0)
	v_mov_b32_dpp v2, v1 quad_perm:[1,0,3,2] row_mask:0xf bank_mask:0xf
	s_delay_alu instid0(VALU_DEP_1) | instskip(SKIP_1) | instid1(VALU_DEP_1)
	v_cmp_gt_f32_e32 vcc_lo, v1, v2
	v_cndmask_b32_e32 v1, v2, v1, vcc_lo
	v_mov_b32_dpp v2, v1 quad_perm:[2,3,0,1] row_mask:0xf bank_mask:0xf
	s_delay_alu instid0(VALU_DEP_1) | instskip(SKIP_1) | instid1(VALU_DEP_1)
	v_cmp_gt_f32_e32 vcc_lo, v1, v2
	v_cndmask_b32_e32 v1, v2, v1, vcc_lo
	v_mov_b32_dpp v2, v1 row_xmask:7 row_mask:0xf bank_mask:0xf
	s_delay_alu instid0(VALU_DEP_1) | instskip(SKIP_1) | instid1(VALU_DEP_1)
	v_cmp_gt_f32_e32 vcc_lo, v1, v2
	v_cndmask_b32_e32 v1, v2, v1, vcc_lo
	v_dual_mul_f32 v38, 0x3c010204, v1 :: v_dual_mov_b32 v1, s2
	v_mov_b32_e32 v2, s3
.LBB56_41:
	s_and_saveexec_b32 s0, s1
	s_cbranch_execz .LBB56_43
; %bb.42:
	s_delay_alu instid0(VALU_DEP_1) | instskip(NEXT) | instid1(VALU_DEP_1)
	v_lshlrev_b64 v[0:1], 2, v[1:2]
	v_add_co_u32 v0, vcc_lo, s8, v0
	s_delay_alu instid0(VALU_DEP_2)
	v_add_co_ci_u32_e32 v1, vcc_lo, s9, v1, vcc_lo
	global_store_b32 v[0:1], v38, off
.LBB56_43:
	s_or_b32 exec_lo, exec_lo, s0
	;;#ASMSTART
	v_rcp_f32 v0, v38
	;;#ASMEND
	v_mul_f32_e32 v5, v0, v5
	v_mul_f32_e32 v9, v0, v9
	;; [unrolled: 1-line block ×5, first 2 shown]
	v_cvt_i32_f32_e32 v5, v5
	v_mul_f32_e32 v10, v0, v10
	v_cvt_i32_f32_e32 v9, v9
	v_cvt_i32_f32_e32 v6, v6
	;; [unrolled: 1-line block ×3, first 2 shown]
	v_and_b32_e32 v5, 0xff, v5
	v_cvt_i32_f32_e32 v10, v10
	v_mul_f32_e32 v21, v0, v21
	v_dual_mul_f32 v8, v0, v8 :: v_dual_and_b32 v9, 0xff, v9
	v_lshlrev_b16 v6, 8, v6
	s_delay_alu instid0(VALU_DEP_4)
	v_lshlrev_b16 v10, 8, v10
	v_cvt_i32_f32_e32 v27, v27
	v_mul_f32_e32 v18, v0, v33
	v_mul_f32_e32 v31, v0, v31
	v_or_b32_e32 v5, v5, v6
	v_or_b32_e32 v6, v9, v10
	v_and_b32_e32 v10, 0xff, v11
	v_cvt_i32_f32_e32 v21, v21
	v_dual_mul_f32 v28, v0, v28 :: v_dual_and_b32 v27, 0xff, v27
	v_cvt_i32_f32_e32 v31, v31
	v_dual_mul_f32 v25, v0, v25 :: v_dual_and_b32 v6, 0xffff, v6
	s_delay_alu instid0(VALU_DEP_4) | instskip(NEXT) | instid1(VALU_DEP_4)
	v_and_b32_e32 v21, 0xff, v21
	v_cvt_i32_f32_e32 v28, v28
	v_mul_f32_e32 v24, v0, v24
	v_mul_f32_e32 v23, v0, v23
	v_cvt_i32_f32_e32 v25, v25
	v_mul_f32_e32 v2, v0, v35
	v_lshlrev_b16 v28, 8, v28
	v_cvt_i32_f32_e32 v24, v24
	v_cvt_i32_f32_e32 v23, v23
	v_and_b32_e32 v25, 0xff, v25
	v_cvt_i32_f32_e32 v18, v18
	v_or_b32_e32 v27, v27, v28
	v_mul_f32_e32 v32, v0, v32
	v_lshlrev_b16 v28, 8, v31
	v_dual_mul_f32 v30, v0, v30 :: v_dual_and_b32 v23, 0xff, v23
	s_delay_alu instid0(VALU_DEP_4) | instskip(NEXT) | instid1(VALU_DEP_4)
	v_and_b32_e32 v27, 0xffff, v27
	v_cvt_i32_f32_e32 v32, v32
	v_mul_f32_e32 v26, v0, v26
	v_dual_mul_f32 v29, v0, v29 :: v_dual_and_b32 v18, 0xff, v18
	s_delay_alu instid0(VALU_DEP_3) | instskip(NEXT) | instid1(VALU_DEP_3)
	v_dual_mul_f32 v22, v0, v22 :: v_dual_and_b32 v31, 0xff, v32
	v_cvt_i32_f32_e32 v26, v26
	v_lshlrev_b16 v24, 8, v24
	v_cvt_i32_f32_e32 v30, v30
	v_mul_f32_e32 v1, v0, v36
	v_cvt_i32_f32_e32 v29, v29
	v_lshlrev_b16 v26, 8, v26
	v_cvt_i32_f32_e32 v22, v22
	v_and_b32_e32 v30, 0xff, v30
	v_or_b32_e32 v23, v23, v24
	v_cvt_i32_f32_e32 v1, v1
	v_or_b32_e32 v24, v25, v26
	v_mul_f32_e32 v33, v0, v34
	v_cvt_i32_f32_e32 v2, v2
	v_lshlrev_b16 v22, 8, v22
	v_lshlrev_b16 v29, 8, v29
	v_and_b32_e32 v24, 0xffff, v24
	v_cvt_i32_f32_e32 v33, v33
	v_lshlrev_b16 v2, 8, v2
	v_or_b32_e32 v21, v21, v22
	v_or_b32_e32 v22, v31, v28
	;; [unrolled: 1-line block ×3, first 2 shown]
	v_dual_mul_f32 v16, v0, v16 :: v_dual_and_b32 v1, 0xff, v1
	v_lshlrev_b16 v28, 8, v33
	v_mul_f32_e32 v7, v0, v7
	s_delay_alu instid0(VALU_DEP_4) | instskip(NEXT) | instid1(VALU_DEP_4)
	v_lshlrev_b32_e32 v25, 16, v25
	v_or_b32_e32 v1, v1, v2
	v_cvt_i32_f32_e32 v16, v16
	v_or_b32_e32 v2, v18, v28
	v_mul_f32_e32 v18, v0, v19
	v_mul_f32_e32 v13, v0, v13
	v_cvt_i32_f32_e32 v8, v8
	v_cvt_i32_f32_e32 v7, v7
	v_dual_mul_f32 v12, v0, v12 :: v_dual_and_b32 v1, 0xffff, v1
	v_mul_f32_e32 v14, v0, v14
	v_cvt_i32_f32_e32 v18, v18
	v_mul_f32_e32 v15, v0, v15
	v_cvt_i32_f32_e32 v13, v13
	v_mul_f32_e32 v19, v0, v20
	v_lshlrev_b16 v8, 8, v8
	v_and_b32_e32 v7, 0xff, v7
	v_cvt_i32_f32_e32 v12, v12
	v_dual_mul_f32 v4, v0, v4 :: v_dual_lshlrev_b32 v5, 16, v5
	v_mul_f32_e32 v0, v0, v3
	v_cvt_i32_f32_e32 v14, v14
	v_or_b32_e32 v3, v7, v8
	s_delay_alu instid0(VALU_DEP_4)
	v_cvt_i32_f32_e32 v4, v4
	v_and_b32_e32 v8, 0xff, v13
	v_cvt_i32_f32_e32 v19, v19
	v_cvt_i32_f32_e32 v0, v0
	v_lshlrev_b16 v9, 8, v12
	v_and_b32_e32 v12, 0xff, v18
	v_cvt_i32_f32_e32 v15, v15
	v_lshlrev_b16 v4, 8, v4
	v_and_b32_e32 v0, 0xff, v0
	v_lshlrev_b16 v7, 8, v14
	v_lshlrev_b16 v11, 8, v19
	;; [unrolled: 1-line block ×3, first 2 shown]
	v_and_b32_e32 v14, 0xff, v16
	v_or_b32_e32 v0, v0, v4
	v_or_b32_e32 v4, v8, v7
	v_or_b32_e32 v7, v10, v9
	v_or_b32_e32 v8, v12, v11
	v_or_b32_e32 v9, v14, v13
	s_add_i32 s0, s13, 3
	s_ashr_i32 s1, s17, 31
	s_ashr_i32 s3, s0, 31
	v_lshlrev_b32_e32 v23, 16, v23
	v_lshlrev_b32_e32 v9, 16, v9
	s_lshr_b32 s3, s3, 30
	v_lshlrev_b32_e32 v21, 16, v21
	v_and_b32_e32 v26, 0xffff, v22
	v_lshlrev_b32_e32 v2, 16, v2
	v_and_b32_e32 v3, 0xffff, v3
	;; [unrolled: 2-line block ×4, first 2 shown]
	s_mul_hi_u32 s6, s17, s2
	s_add_i32 s0, s0, s3
	s_mul_i32 s1, s1, s2
	s_mul_i32 s7, s17, s2
	s_and_b32 s2, s0, -4
	s_add_i32 s6, s6, s1
	s_add_u32 s0, s4, s7
	v_or_b32_e32 v23, v27, v23
	v_or_b32_e32 v22, v24, v21
	;; [unrolled: 1-line block ×8, first 2 shown]
	s_addc_u32 s1, s5, s6
	s_mov_b32 s3, -1
	s_and_b32 s1, s1, 0xffff
	buffer_store_b128 v[20:23], v17, s[0:3], 0 offen
	;;#ASMSTART
	s_nop 0
	;;#ASMEND
	buffer_store_b128 v[0:3], v17, s[0:3], 16 offen
	;;#ASMSTART
	s_nop 0
	;;#ASMEND
.LBB56_44:
	s_nop 0
	s_sendmsg sendmsg(MSG_DEALLOC_VGPRS)
	s_endpgm
.LBB56_45:
                                        ; implicit-def: $vgpr1_vgpr2
	s_branch .LBB56_32
	.section	.rodata,"a",@progbits
	.p2align	6, 0x0
	.amdhsa_kernel _ZN5aiter24add_rmsnorm_quant_kernelItaLi256ELi32ELb1ELb1ELb0ELi1EEEvPT0_PT_PfS4_S4_S4_diiiiiiib
		.amdhsa_group_segment_fixed_size 64
		.amdhsa_private_segment_fixed_size 0
		.amdhsa_kernarg_size 88
		.amdhsa_user_sgpr_count 15
		.amdhsa_user_sgpr_dispatch_ptr 0
		.amdhsa_user_sgpr_queue_ptr 0
		.amdhsa_user_sgpr_kernarg_segment_ptr 1
		.amdhsa_user_sgpr_dispatch_id 0
		.amdhsa_user_sgpr_private_segment_size 0
		.amdhsa_wavefront_size32 1
		.amdhsa_uses_dynamic_stack 0
		.amdhsa_enable_private_segment 0
		.amdhsa_system_sgpr_workgroup_id_x 1
		.amdhsa_system_sgpr_workgroup_id_y 0
		.amdhsa_system_sgpr_workgroup_id_z 0
		.amdhsa_system_sgpr_workgroup_info 0
		.amdhsa_system_vgpr_workitem_id 0
		.amdhsa_next_free_vgpr 80
		.amdhsa_next_free_sgpr 40
		.amdhsa_reserve_vcc 1
		.amdhsa_float_round_mode_32 0
		.amdhsa_float_round_mode_16_64 0
		.amdhsa_float_denorm_mode_32 3
		.amdhsa_float_denorm_mode_16_64 3
		.amdhsa_dx10_clamp 1
		.amdhsa_ieee_mode 1
		.amdhsa_fp16_overflow 0
		.amdhsa_workgroup_processor_mode 1
		.amdhsa_memory_ordered 1
		.amdhsa_forward_progress 0
		.amdhsa_shared_vgpr_count 0
		.amdhsa_exception_fp_ieee_invalid_op 0
		.amdhsa_exception_fp_denorm_src 0
		.amdhsa_exception_fp_ieee_div_zero 0
		.amdhsa_exception_fp_ieee_overflow 0
		.amdhsa_exception_fp_ieee_underflow 0
		.amdhsa_exception_fp_ieee_inexact 0
		.amdhsa_exception_int_div_zero 0
	.end_amdhsa_kernel
	.section	.text._ZN5aiter24add_rmsnorm_quant_kernelItaLi256ELi32ELb1ELb1ELb0ELi1EEEvPT0_PT_PfS4_S4_S4_diiiiiiib,"axG",@progbits,_ZN5aiter24add_rmsnorm_quant_kernelItaLi256ELi32ELb1ELb1ELb0ELi1EEEvPT0_PT_PfS4_S4_S4_diiiiiiib,comdat
.Lfunc_end56:
	.size	_ZN5aiter24add_rmsnorm_quant_kernelItaLi256ELi32ELb1ELb1ELb0ELi1EEEvPT0_PT_PfS4_S4_S4_diiiiiiib, .Lfunc_end56-_ZN5aiter24add_rmsnorm_quant_kernelItaLi256ELi32ELb1ELb1ELb0ELi1EEEvPT0_PT_PfS4_S4_S4_diiiiiiib
                                        ; -- End function
	.section	.AMDGPU.csdata,"",@progbits
; Kernel info:
; codeLenInByte = 6004
; NumSgprs: 42
; NumVgprs: 80
; ScratchSize: 0
; MemoryBound: 0
; FloatMode: 240
; IeeeMode: 1
; LDSByteSize: 64 bytes/workgroup (compile time only)
; SGPRBlocks: 5
; VGPRBlocks: 9
; NumSGPRsForWavesPerEU: 42
; NumVGPRsForWavesPerEU: 80
; Occupancy: 16
; WaveLimiterHint : 0
; COMPUTE_PGM_RSRC2:SCRATCH_EN: 0
; COMPUTE_PGM_RSRC2:USER_SGPR: 15
; COMPUTE_PGM_RSRC2:TRAP_HANDLER: 0
; COMPUTE_PGM_RSRC2:TGID_X_EN: 1
; COMPUTE_PGM_RSRC2:TGID_Y_EN: 0
; COMPUTE_PGM_RSRC2:TGID_Z_EN: 0
; COMPUTE_PGM_RSRC2:TIDIG_COMP_CNT: 0
	.section	.text._ZN5aiter24add_rmsnorm_quant_kernelIDF16_aLi512ELi16ELb1ELb1ELb1ELi1EEEvPT0_PT_PfS4_S4_S4_diiiiiiib,"axG",@progbits,_ZN5aiter24add_rmsnorm_quant_kernelIDF16_aLi512ELi16ELb1ELb1ELb1ELi1EEEvPT0_PT_PfS4_S4_S4_diiiiiiib,comdat
	.protected	_ZN5aiter24add_rmsnorm_quant_kernelIDF16_aLi512ELi16ELb1ELb1ELb1ELi1EEEvPT0_PT_PfS4_S4_S4_diiiiiiib ; -- Begin function _ZN5aiter24add_rmsnorm_quant_kernelIDF16_aLi512ELi16ELb1ELb1ELb1ELi1EEEvPT0_PT_PfS4_S4_S4_diiiiiiib
	.globl	_ZN5aiter24add_rmsnorm_quant_kernelIDF16_aLi512ELi16ELb1ELb1ELb1ELi1EEEvPT0_PT_PfS4_S4_S4_diiiiiiib
	.p2align	8
	.type	_ZN5aiter24add_rmsnorm_quant_kernelIDF16_aLi512ELi16ELb1ELb1ELb1ELi1EEEvPT0_PT_PfS4_S4_S4_diiiiiiib,@function
_ZN5aiter24add_rmsnorm_quant_kernelIDF16_aLi512ELi16ELb1ELb1ELb1ELi1EEEvPT0_PT_PfS4_S4_S4_diiiiiiib: ; @_ZN5aiter24add_rmsnorm_quant_kernelIDF16_aLi512ELi16ELb1ELb1ELb1ELi1EEEvPT0_PT_PfS4_S4_S4_diiiiiiib
; %bb.0:
	s_mov_b32 s2, s15
	s_load_b256 s[12:19], s[0:1], 0x38
	s_mov_b32 s3, 0
	s_waitcnt lgkmcnt(0)
	s_ashr_i32 s5, s12, 31
	s_mov_b32 s4, s12
	s_delay_alu instid0(SALU_CYCLE_1) | instskip(NEXT) | instid1(VALU_DEP_1)
	v_cmp_ge_i64_e64 s4, s[2:3], s[4:5]
	s_and_b32 vcc_lo, exec_lo, s4
	s_cbranch_vccnz .LBB57_44
; %bb.1:
	s_clause 0x1
	s_load_b256 s[4:11], s[0:1], 0x0
	s_load_b256 s[20:27], s[0:1], 0x20
	v_lshlrev_b32_e32 v21, 4, v0
	s_ashr_i32 s0, s14, 31
	s_waitcnt lgkmcnt(0)
	s_mul_hi_u32 s27, s14, s2
	s_mul_i32 s0, s0, s2
	v_lshlrev_b32_e32 v1, 3, v0
	v_and_b32_e32 v2, 0x3e00, v21
	s_mul_i32 s26, s14, s2
	s_add_i32 s27, s27, s0
	s_mul_hi_u32 s30, s15, s2
	s_lshl_b64 s[26:27], s[26:27], 1
	v_and_or_b32 v9, 0xf8, v1, v2
	s_mul_i32 s14, s15, s2
	s_mov_b32 s31, -1
	s_movk_i32 s1, 0x200
	s_mov_b32 s39, s31
	v_lshlrev_b32_e32 v37, 1, v9
	v_and_b32_e32 v38, 31, v0
	s_add_u32 s28, s10, s26
	s_addc_u32 s0, s11, s27
	s_add_i32 s10, s13, 1
	s_ashr_i32 s11, s15, 31
	s_lshr_b32 s15, s10, 31
	s_mul_i32 s11, s11, s2
	s_add_i32 s10, s10, s15
	s_and_b32 s29, s0, 0xffff
	s_lshl_b32 s0, s10, 1
	s_add_i32 s15, s30, s11
	s_and_b32 s30, s0, -4
	s_lshl_b64 s[10:11], s[14:15], 1
	s_and_b32 s37, s23, 0xffff
	s_clause 0x1
	buffer_load_b128 v[13:16], v37, s[28:31], 0 offen glc slc
	buffer_load_b128 v[22:25], v37, s[28:31], s1 offen glc slc
	s_add_u32 s28, s20, s10
	s_addc_u32 s0, s21, s11
	s_mov_b32 s36, s22
	s_and_b32 s29, s0, 0xffff
	s_clause 0x1
	buffer_load_b128 v[17:20], v37, s[28:31], 0 offen glc slc
	buffer_load_b128 v[26:29], v37, s[28:31], s1 offen glc slc
	s_mov_b32 s38, s30
	s_ashr_i32 s0, s16, 31
	s_mul_hi_u32 s11, s16, s2
	s_mul_i32 s0, s0, s2
	s_mul_i32 s10, s16, s2
	s_add_i32 s11, s11, s0
	s_delay_alu instid0(SALU_CYCLE_1) | instskip(NEXT) | instid1(SALU_CYCLE_1)
	s_lshl_b64 s[10:11], s[10:11], 1
	s_add_u32 s28, s6, s10
	s_addc_u32 s0, s7, s11
	s_delay_alu instid0(SALU_CYCLE_1)
	s_and_b32 s29, s0, 0xffff
	v_cmp_eq_u32_e64 s0, 31, v38
	s_waitcnt vmcnt(3)
	v_lshrrev_b32_e32 v10, 16, v13
	v_cvt_f32_f16_e32 v12, v13
	v_cvt_f32_f16_e32 v13, v14
	s_delay_alu instid0(VALU_DEP_3)
	v_cvt_f32_f16_e32 v10, v10
	s_waitcnt vmcnt(1)
	v_lshrrev_b32_e32 v11, 16, v17
	v_cvt_f32_f16_e32 v17, v17
	v_cvt_f32_f16_e32 v31, v19
	v_lshrrev_b32_e32 v19, 16, v19
	s_delay_alu instid0(VALU_DEP_4) | instskip(NEXT) | instid1(VALU_DEP_4)
	v_cvt_f32_f16_e32 v11, v11
	v_add_f32_e32 v12, v12, v17
	v_cvt_f32_f16_e32 v17, v15
	v_lshrrev_b32_e32 v15, 16, v15
	v_cvt_f32_f16_e32 v19, v19
	v_add_f32_e32 v11, v10, v11
	v_lshrrev_b32_e32 v10, 16, v14
	v_cvt_f32_f16_e32 v14, v18
	v_lshrrev_b32_e32 v18, 16, v18
	s_delay_alu instid0(VALU_DEP_4) | instskip(NEXT) | instid1(VALU_DEP_4)
	v_mul_f32_e32 v30, v11, v11
	v_cvt_f32_f16_e32 v10, v10
	s_delay_alu instid0(VALU_DEP_4) | instskip(NEXT) | instid1(VALU_DEP_4)
	v_add_f32_e32 v13, v13, v14
	v_cvt_f32_f16_e32 v18, v18
	v_cvt_f16_f32_e32 v39, v11
	v_fmac_f32_e32 v30, v12, v12
	s_clause 0x1
	buffer_load_b128 v[5:8], v37, s[36:39], 0 offen
	buffer_load_b128 v[1:4], v37, s[36:39], s1 offen
	v_add_f32_e32 v14, v10, v18
	v_cvt_f32_f16_e32 v10, v16
	v_cvt_f32_f16_e32 v18, v15
	v_add_f32_e32 v15, v17, v31
	v_lshrrev_b32_e32 v17, 16, v16
	v_cvt_f32_f16_e32 v31, v20
	v_lshrrev_b32_e32 v20, 16, v20
	v_add_f32_e32 v16, v18, v19
	v_fmac_f32_e32 v30, v13, v13
	v_cvt_f32_f16_e32 v19, v22
	v_cvt_f32_f16_e32 v18, v17
	v_add_f32_e32 v17, v10, v31
	v_cvt_f32_f16_e32 v20, v20
	v_lshrrev_b32_e32 v10, 16, v22
	s_waitcnt vmcnt(2)
	v_cvt_f32_f16_e32 v22, v26
	v_lshrrev_b32_e32 v26, 16, v26
	v_cvt_f32_f16_e32 v31, v23
	v_add_f32_e32 v18, v18, v20
	v_cvt_f32_f16_e32 v10, v10
	v_add_f32_e32 v19, v19, v22
	v_cvt_f32_f16_e32 v20, v26
	v_lshrrev_b32_e32 v22, 16, v23
	v_cvt_f32_f16_e32 v23, v27
	v_lshrrev_b32_e32 v26, 16, v27
	v_cvt_f16_f32_e32 v32, v17
	v_cvt_f16_f32_e32 v33, v19
	v_cvt_f32_f16_e32 v27, v22
	v_add_f32_e32 v22, v31, v23
	v_cvt_f32_f16_e32 v26, v26
	v_add_f32_e32 v20, v10, v20
	v_cvt_f32_f16_e32 v10, v24
	v_lshrrev_b32_e32 v24, 16, v24
	v_cvt_f32_f16_e32 v31, v28
	v_add_f32_e32 v23, v27, v26
	v_lshrrev_b32_e32 v28, 16, v28
	v_cvt_f32_f16_e32 v26, v25
	v_cvt_f32_f16_e32 v27, v24
	v_add_f32_e32 v24, v10, v31
	v_lshrrev_b32_e32 v10, 16, v25
	v_cvt_f32_f16_e32 v28, v28
	v_fmac_f32_e32 v30, v14, v14
	v_cvt_f32_f16_e32 v31, v29
	v_lshrrev_b32_e32 v29, 16, v29
	v_cvt_f32_f16_e32 v10, v10
	v_add_f32_e32 v25, v27, v28
	v_fmac_f32_e32 v30, v15, v15
	v_add_f32_e32 v26, v26, v31
	v_cvt_f32_f16_e32 v27, v29
	v_cvt_f16_f32_e32 v28, v12
	v_cvt_f16_f32_e32 v29, v13
	v_fmac_f32_e32 v30, v16, v16
	v_cvt_f16_f32_e32 v31, v15
	v_add_f32_e32 v27, v10, v27
	v_cvt_f16_f32_e32 v34, v22
	v_cvt_f16_f32_e32 v35, v24
	v_fmac_f32_e32 v30, v17, v17
	v_cvt_f16_f32_e32 v36, v26
	v_cvt_f16_f32_e32 v40, v14
	;; [unrolled: 1-line block ×4, first 2 shown]
	v_fmac_f32_e32 v30, v18, v18
	v_cvt_f16_f32_e32 v43, v20
	v_cvt_f16_f32_e32 v44, v23
	v_cvt_f16_f32_e32 v45, v25
	v_cvt_f16_f32_e32 v46, v27
	v_fmac_f32_e32 v30, v19, v19
	v_pack_b32_f16 v32, v32, v42
	v_pack_b32_f16 v31, v31, v41
	;; [unrolled: 1-line block ×4, first 2 shown]
	v_fmac_f32_e32 v30, v20, v20
	v_pack_b32_f16 v34, v34, v44
	v_pack_b32_f16 v33, v33, v43
	s_delay_alu instid0(VALU_DEP_3) | instskip(NEXT) | instid1(VALU_DEP_1)
	v_fmac_f32_e32 v30, v22, v22
	v_fmac_f32_e32 v30, v23, v23
	s_delay_alu instid0(VALU_DEP_1) | instskip(NEXT) | instid1(VALU_DEP_1)
	v_fmac_f32_e32 v30, v24, v24
	v_fmac_f32_e32 v30, v25, v25
	s_delay_alu instid0(VALU_DEP_1) | instskip(NEXT) | instid1(VALU_DEP_1)
	;; [unrolled: 3-line block ×3, first 2 shown]
	v_mov_b32_dpp v10, v30 quad_perm:[1,0,3,2] row_mask:0xf bank_mask:0xf
	v_add_f32_e32 v10, v30, v10
	s_delay_alu instid0(VALU_DEP_1) | instskip(NEXT) | instid1(VALU_DEP_1)
	v_mov_b32_dpp v30, v10 quad_perm:[2,3,0,1] row_mask:0xf bank_mask:0xf
	v_add_f32_e32 v10, v10, v30
	v_pack_b32_f16 v30, v29, v40
	v_pack_b32_f16 v29, v28, v39
	s_delay_alu instid0(VALU_DEP_3)
	v_mov_b32_dpp v47, v10 row_xmask:7 row_mask:0xf bank_mask:0xf
	buffer_store_b128 v[29:32], v37, s[28:31], 0 offen glc slc
	;;#ASMSTART
	s_nop 0
	;;#ASMEND
	buffer_store_b128 v[33:36], v37, s[28:31], s1 offen glc slc
	v_add_f32_e32 v10, v10, v47
	;;#ASMSTART
	s_nop 0
	;;#ASMEND
	s_delay_alu instid0(VALU_DEP_1)
	v_mov_b32_dpp v28, v10 row_xmask:15 row_mask:0xf bank_mask:0xf
	s_and_saveexec_b32 s1, s0
	s_cbranch_execz .LBB57_3
; %bb.2:
	s_delay_alu instid0(VALU_DEP_1) | instskip(SKIP_2) | instid1(VALU_DEP_2)
	v_add_f32_e32 v10, v10, v28
	s_mov_b32 s6, 0x76543210
	v_lshrrev_b32_e32 v28, 3, v0
	v_permlanex16_b32 v29, v10, s6, 0xfedcba98 op_sel:[1,1]
	s_delay_alu instid0(VALU_DEP_2) | instskip(NEXT) | instid1(VALU_DEP_2)
	v_and_b32_e32 v28, 0x7c, v28
	v_add_f32_e32 v10, v10, v29
	ds_store_b32 v28, v10 offset:64
.LBB57_3:
	s_or_b32 exec_lo, exec_lo, s1
	v_and_b32_e32 v10, 15, v0
	s_waitcnt vmcnt(0) lgkmcnt(0)
	s_waitcnt_vscnt null, 0x0
	s_barrier
	buffer_gl0_inv
	v_cvt_f32_i32_e32 v30, s13
	v_dual_mov_b32 v37, 0x2edbe6ff :: v_dual_lshlrev_b32 v10, 2, v10
	v_cvt_f32_f16_e32 v35, v3
	v_lshrrev_b32_e32 v3, 16, v3
	v_cvt_f32_f16_e32 v36, v4
	ds_load_b32 v28, v10 offset:64
	v_lshrrev_b32_e32 v4, 16, v4
	s_cmp_lg_u32 s18, 0
	v_cvt_f32_f16_e32 v3, v3
	s_delay_alu instid0(VALU_DEP_2) | instskip(SKIP_2) | instid1(VALU_DEP_1)
	v_cvt_f32_f16_e32 v4, v4
	s_waitcnt lgkmcnt(0)
	v_mov_b32_dpp v29, v28 quad_perm:[1,0,3,2] row_mask:0xf bank_mask:0xf
	v_add_f32_e32 v28, v28, v29
	s_delay_alu instid0(VALU_DEP_1) | instskip(NEXT) | instid1(VALU_DEP_1)
	v_mov_b32_dpp v29, v28 quad_perm:[2,3,0,1] row_mask:0xf bank_mask:0xf
	v_add_f32_e32 v28, v28, v29
	s_delay_alu instid0(VALU_DEP_1) | instskip(NEXT) | instid1(VALU_DEP_1)
	v_mov_b32_dpp v29, v28 row_xmask:7 row_mask:0xf bank_mask:0xf
	v_add_f32_e32 v28, v28, v29
	s_delay_alu instid0(VALU_DEP_1) | instskip(NEXT) | instid1(VALU_DEP_1)
	v_mov_b32_dpp v29, v28 row_xmask:15 row_mask:0xf bank_mask:0xf
	v_add_f32_e32 v28, v28, v29
	s_delay_alu instid0(VALU_DEP_1) | instskip(SKIP_1) | instid1(VALU_DEP_2)
	v_div_scale_f32 v29, null, v30, v30, v28
	v_div_scale_f32 v33, vcc_lo, v28, v30, v28
	v_rcp_f32_e32 v31, v29
	s_waitcnt_depctr 0xfff
	v_fma_f32 v32, -v29, v31, 1.0
	s_delay_alu instid0(VALU_DEP_1) | instskip(NEXT) | instid1(VALU_DEP_1)
	v_fmac_f32_e32 v31, v32, v31
	v_mul_f32_e32 v32, v33, v31
	s_delay_alu instid0(VALU_DEP_1) | instskip(NEXT) | instid1(VALU_DEP_1)
	v_fma_f32 v34, -v29, v32, v33
	v_fmac_f32_e32 v32, v34, v31
	v_cvt_f32_f16_e32 v34, v2
	v_lshrrev_b32_e32 v2, 16, v2
	s_delay_alu instid0(VALU_DEP_3) | instskip(SKIP_1) | instid1(VALU_DEP_3)
	v_fma_f32 v29, -v29, v32, v33
	v_cvt_f32_f16_e32 v33, v1
	v_cvt_f32_f16_e32 v2, v2
	v_lshrrev_b32_e32 v1, 16, v1
	s_delay_alu instid0(VALU_DEP_4)
	v_div_fmas_f32 v29, v29, v31, v32
	v_cvt_f32_f16_e32 v31, v6
	v_lshrrev_b32_e32 v6, 16, v6
	v_cvt_f32_f16_e32 v32, v8
	v_lshrrev_b32_e32 v8, 16, v8
	v_div_fixup_f32 v28, v29, v30, v28
	v_cvt_f32_f16_e32 v1, v1
	v_cvt_f32_f16_e32 v6, v6
	s_delay_alu instid0(VALU_DEP_4) | instskip(NEXT) | instid1(VALU_DEP_4)
	v_cvt_f32_f16_e32 v8, v8
	v_cvt_f64_f32_e32 v[28:29], v28
	s_delay_alu instid0(VALU_DEP_1) | instskip(NEXT) | instid1(VALU_DEP_1)
	v_add_f64 v[28:29], v[28:29], s[24:25]
	v_cvt_f32_f64_e32 v28, v[28:29]
	v_cvt_f32_f16_e32 v29, v5
	v_lshrrev_b32_e32 v5, 16, v5
	s_delay_alu instid0(VALU_DEP_1) | instskip(NEXT) | instid1(VALU_DEP_4)
	v_cvt_f32_f16_e32 v5, v5
	v_mul_f32_e32 v30, 0x4b800000, v28
	v_cmp_gt_f32_e32 vcc_lo, 0x800000, v28
	s_delay_alu instid0(VALU_DEP_2) | instskip(SKIP_2) | instid1(VALU_DEP_3)
	v_cndmask_b32_e32 v28, v28, v30, vcc_lo
	v_cvt_f32_f16_e32 v30, v7
	v_lshrrev_b32_e32 v7, 16, v7
	v_rsq_f32_e32 v28, v28
	s_delay_alu instid0(VALU_DEP_1) | instskip(SKIP_2) | instid1(VALU_DEP_1)
	v_cvt_f32_f16_e32 v7, v7
	s_waitcnt_depctr 0xfff
	v_mul_f32_e32 v38, 0x45800000, v28
	v_cndmask_b32_e32 v28, v28, v38, vcc_lo
	s_delay_alu instid0(VALU_DEP_1) | instskip(SKIP_3) | instid1(VALU_DEP_3)
	v_mul_f32_e32 v13, v13, v28
	v_mul_f32_e32 v38, v14, v28
	;; [unrolled: 1-line block ×4, first 2 shown]
	v_dual_mul_f32 v14, v13, v31 :: v_dual_mul_f32 v13, v38, v6
	s_delay_alu instid0(VALU_DEP_2)
	v_dual_mul_f32 v6, v25, v3 :: v_dual_mul_f32 v3, v26, v36
	v_mul_f32_e32 v11, v11, v28
	v_mul_f32_e32 v12, v12, v28
	;; [unrolled: 1-line block ×9, first 2 shown]
	s_delay_alu instid0(VALU_DEP_4)
	v_dual_mul_f32 v24, v24, v28 :: v_dual_mul_f32 v11, v41, v33
	v_and_b32_e32 v33, 0x7fffffff, v6
	v_dual_mul_f32 v39, v17, v28 :: v_dual_mul_f32 v18, v16, v7
	v_mul_f32_e32 v16, v40, v8
	v_dual_mul_f32 v8, v23, v2 :: v_dual_and_b32 v23, 0x7fffffff, v13
	v_dual_mul_f32 v15, v15, v28 :: v_dual_mul_f32 v20, v12, v29
	v_mul_f32_e32 v12, v42, v1
	v_dual_mul_f32 v7, v22, v34 :: v_dual_and_b32 v2, 0x7fffffff, v19
	s_delay_alu instid0(VALU_DEP_3) | instskip(NEXT) | instid1(VALU_DEP_4)
	v_mul_f32_e32 v17, v15, v30
	v_and_b32_e32 v1, 0x7fffffff, v20
	v_dual_mul_f32 v27, v27, v28 :: v_dual_and_b32 v22, 0x7fffffff, v14
	v_mul_f32_e32 v15, v39, v32
	;;#ASMSTART
	v_max3_f32 v1, v37, v1, v2

	;;#ASMEND
	s_delay_alu instid0(VALU_DEP_2)
	v_dual_mul_f32 v5, v24, v35 :: v_dual_mul_f32 v4, v27, v4
	;;#ASMSTART
	v_max3_f32 v1, v1, v22, v23

	;;#ASMEND
	v_and_b32_e32 v24, 0x7fffffff, v17
	v_and_b32_e32 v25, 0x7fffffff, v18
	;;#ASMSTART
	v_max3_f32 v1, v1, v24, v25

	;;#ASMEND
	v_and_b32_e32 v26, 0x7fffffff, v15
	v_and_b32_e32 v27, 0x7fffffff, v16
	;; [unrolled: 6-line block ×5, first 2 shown]
	v_and_b32_e32 v35, 0x7fffffff, v4
	;;#ASMSTART
	v_max3_f32 v1, v1, v32, v33

	;;#ASMEND
	;;#ASMSTART
	v_max3_f32 v22, v1, v34, v35

	;;#ASMEND
	s_cbranch_scc0 .LBB57_10
; %bb.4:
	s_ashr_i32 s11, s18, 31
	s_delay_alu instid0(SALU_CYCLE_1) | instskip(NEXT) | instid1(SALU_CYCLE_1)
	s_lshr_b32 s1, s11, 28
	s_add_i32 s1, s18, s1
	s_delay_alu instid0(SALU_CYCLE_1) | instskip(NEXT) | instid1(SALU_CYCLE_1)
	s_ashr_i32 s1, s1, 4
	s_cmp_lt_i32 s1, 8
	s_cbranch_scc1 .LBB57_11
; %bb.5:
	s_cmp_lt_i32 s1, 16
	s_cbranch_scc1 .LBB57_12
; %bb.6:
	;; [unrolled: 3-line block ×3, first 2 shown]
	v_mov_b32_e32 v1, v22
	s_cmp_eq_u32 s1, 32
	s_cbranch_scc0 .LBB57_9
; %bb.8:
	s_delay_alu instid0(VALU_DEP_1) | instskip(SKIP_1) | instid1(VALU_DEP_1)
	v_mov_b32_dpp v1, v22 quad_perm:[1,0,3,2] row_mask:0xf bank_mask:0xf
	s_mov_b32 s6, 0x76543210
	v_cmp_gt_f32_e32 vcc_lo, v22, v1
	v_cndmask_b32_e32 v1, v1, v22, vcc_lo
	s_delay_alu instid0(VALU_DEP_1) | instskip(NEXT) | instid1(VALU_DEP_1)
	v_mov_b32_dpp v2, v1 quad_perm:[2,3,0,1] row_mask:0xf bank_mask:0xf
	v_cmp_gt_f32_e32 vcc_lo, v1, v2
	v_cndmask_b32_e32 v1, v2, v1, vcc_lo
	s_delay_alu instid0(VALU_DEP_1) | instskip(NEXT) | instid1(VALU_DEP_1)
	v_mov_b32_dpp v2, v1 row_xmask:7 row_mask:0xf bank_mask:0xf
	v_cmp_gt_f32_e32 vcc_lo, v1, v2
	v_cndmask_b32_e32 v1, v2, v1, vcc_lo
	s_delay_alu instid0(VALU_DEP_1) | instskip(NEXT) | instid1(VALU_DEP_1)
	v_mov_b32_dpp v2, v1 row_xmask:15 row_mask:0xf bank_mask:0xf
	v_cmp_gt_f32_e32 vcc_lo, v1, v2
	v_cndmask_b32_e32 v1, v2, v1, vcc_lo
	s_delay_alu instid0(VALU_DEP_1) | instskip(NEXT) | instid1(VALU_DEP_1)
	v_permlanex16_b32 v2, v1, s6, 0xfedcba98 op_sel:[1,1]
	v_cmp_gt_f32_e32 vcc_lo, v1, v2
	v_cndmask_b32_e32 v1, v2, v1, vcc_lo
.LBB57_9:
	s_mov_b32 s6, 0
	s_branch .LBB57_14
.LBB57_10:
	s_mov_b32 s1, 0
                                        ; implicit-def: $vgpr21
                                        ; implicit-def: $vgpr1_vgpr2
	s_and_b32 vcc_lo, exec_lo, s31
	s_cbranch_vccnz .LBB57_38
	s_branch .LBB57_41
.LBB57_11:
                                        ; implicit-def: $vgpr1
	s_branch .LBB57_21
.LBB57_12:
                                        ; implicit-def: $vgpr1
	s_branch .LBB57_18
.LBB57_13:
	s_mov_b32 s6, -1
                                        ; implicit-def: $vgpr1
.LBB57_14:
	s_delay_alu instid0(SALU_CYCLE_1)
	s_and_not1_b32 vcc_lo, exec_lo, s6
	s_cbranch_vccnz .LBB57_17
; %bb.15:
	v_mov_b32_e32 v1, v22
	s_cmp_eq_u32 s1, 16
	s_cbranch_scc0 .LBB57_17
; %bb.16:
	s_delay_alu instid0(VALU_DEP_1) | instskip(NEXT) | instid1(VALU_DEP_1)
	v_mov_b32_dpp v1, v22 quad_perm:[1,0,3,2] row_mask:0xf bank_mask:0xf
	v_cmp_gt_f32_e32 vcc_lo, v22, v1
	v_cndmask_b32_e32 v1, v1, v22, vcc_lo
	s_delay_alu instid0(VALU_DEP_1) | instskip(NEXT) | instid1(VALU_DEP_1)
	v_mov_b32_dpp v2, v1 quad_perm:[2,3,0,1] row_mask:0xf bank_mask:0xf
	v_cmp_gt_f32_e32 vcc_lo, v1, v2
	v_cndmask_b32_e32 v1, v2, v1, vcc_lo
	s_delay_alu instid0(VALU_DEP_1) | instskip(NEXT) | instid1(VALU_DEP_1)
	v_mov_b32_dpp v2, v1 row_half_mirror row_mask:0xf bank_mask:0xf
	v_cmp_gt_f32_e32 vcc_lo, v1, v2
	v_cndmask_b32_e32 v1, v2, v1, vcc_lo
	s_delay_alu instid0(VALU_DEP_1) | instskip(NEXT) | instid1(VALU_DEP_1)
	v_mov_b32_dpp v2, v1 row_mirror row_mask:0xf bank_mask:0xf
	v_cmp_gt_f32_e32 vcc_lo, v1, v2
	v_cndmask_b32_e32 v1, v2, v1, vcc_lo
.LBB57_17:
	s_cbranch_execnz .LBB57_20
.LBB57_18:
	v_mov_b32_e32 v1, v22
	s_cmp_eq_u32 s1, 8
	s_cbranch_scc0 .LBB57_20
; %bb.19:
	s_delay_alu instid0(VALU_DEP_1) | instskip(NEXT) | instid1(VALU_DEP_1)
	v_mov_b32_dpp v1, v22 quad_perm:[1,0,3,2] row_mask:0xf bank_mask:0xf
	v_cmp_gt_f32_e32 vcc_lo, v22, v1
	v_cndmask_b32_e32 v1, v1, v22, vcc_lo
	s_delay_alu instid0(VALU_DEP_1) | instskip(NEXT) | instid1(VALU_DEP_1)
	v_mov_b32_dpp v2, v1 quad_perm:[2,3,0,1] row_mask:0xf bank_mask:0xf
	v_cmp_gt_f32_e32 vcc_lo, v1, v2
	v_cndmask_b32_e32 v1, v2, v1, vcc_lo
	s_delay_alu instid0(VALU_DEP_1) | instskip(NEXT) | instid1(VALU_DEP_1)
	v_mov_b32_dpp v2, v1 row_half_mirror row_mask:0xf bank_mask:0xf
	v_cmp_gt_f32_e32 vcc_lo, v1, v2
	v_cndmask_b32_e32 v1, v2, v1, vcc_lo
.LBB57_20:
	s_cbranch_execnz .LBB57_28
.LBB57_21:
	s_cmp_lt_i32 s1, 4
	s_cbranch_scc1 .LBB57_24
; %bb.22:
	v_mov_b32_e32 v1, v22
	s_cmp_eq_u32 s1, 4
	s_cbranch_scc0 .LBB57_25
; %bb.23:
	s_delay_alu instid0(VALU_DEP_1) | instskip(NEXT) | instid1(VALU_DEP_1)
	v_mov_b32_dpp v1, v22 quad_perm:[1,0,3,2] row_mask:0xf bank_mask:0xf
	v_cmp_gt_f32_e32 vcc_lo, v22, v1
	v_cndmask_b32_e32 v1, v1, v22, vcc_lo
	s_delay_alu instid0(VALU_DEP_1) | instskip(NEXT) | instid1(VALU_DEP_1)
	v_mov_b32_dpp v2, v1 quad_perm:[2,3,0,1] row_mask:0xf bank_mask:0xf
	v_cmp_gt_f32_e32 vcc_lo, v1, v2
	v_cndmask_b32_e32 v1, v2, v1, vcc_lo
	s_cbranch_execz .LBB57_26
	s_branch .LBB57_28
.LBB57_24:
                                        ; implicit-def: $vgpr1
	s_branch .LBB57_26
.LBB57_25:
	s_cbranch_execnz .LBB57_28
.LBB57_26:
	v_mov_b32_e32 v1, v22
	s_cmp_lg_u32 s1, 2
	s_cbranch_scc1 .LBB57_28
; %bb.27:
	s_delay_alu instid0(VALU_DEP_1) | instskip(NEXT) | instid1(VALU_DEP_1)
	v_mov_b32_dpp v1, v22 quad_perm:[1,0,3,2] row_mask:0xf bank_mask:0xf
	v_cmp_gt_f32_e32 vcc_lo, v22, v1
	v_cndmask_b32_e32 v1, v1, v22, vcc_lo
.LBB57_28:
	v_cvt_f32_u32_e32 v2, s1
	s_sub_i32 s6, 0, s1
	s_mov_b32 s31, 0
	s_delay_alu instid0(VALU_DEP_1) | instskip(SKIP_2) | instid1(VALU_DEP_1)
	v_rcp_iflag_f32_e32 v2, v2
	s_waitcnt_depctr 0xfff
	v_mul_f32_e32 v2, 0x4f7ffffe, v2
	v_cvt_u32_f32_e32 v2, v2
	s_delay_alu instid0(VALU_DEP_1) | instskip(NEXT) | instid1(VALU_DEP_1)
	v_mul_lo_u32 v23, s6, v2
	v_mul_hi_u32 v23, v2, v23
	s_delay_alu instid0(VALU_DEP_1) | instskip(NEXT) | instid1(VALU_DEP_1)
	v_add_nc_u32_e32 v2, v2, v23
	v_mul_hi_u32 v2, v0, v2
	s_delay_alu instid0(VALU_DEP_1) | instskip(SKIP_1) | instid1(VALU_DEP_2)
	v_mul_lo_u32 v23, v2, s1
	v_add_nc_u32_e32 v24, 1, v2
	v_sub_nc_u32_e32 v23, v0, v23
	s_delay_alu instid0(VALU_DEP_1) | instskip(SKIP_1) | instid1(VALU_DEP_2)
	v_subrev_nc_u32_e32 v25, s1, v23
	v_cmp_le_u32_e32 vcc_lo, s1, v23
	v_dual_cndmask_b32 v2, v2, v24 :: v_dual_cndmask_b32 v23, v23, v25
	s_delay_alu instid0(VALU_DEP_1) | instskip(NEXT) | instid1(VALU_DEP_2)
	v_add_nc_u32_e32 v24, 1, v2
	v_cmp_le_u32_e32 vcc_lo, s1, v23
	s_delay_alu instid0(VALU_DEP_2) | instskip(SKIP_2) | instid1(VALU_DEP_3)
	v_cndmask_b32_e32 v23, v2, v24, vcc_lo
	v_cmp_gt_u32_e32 vcc_lo, s13, v21
	v_mul_f32_e32 v21, 0x3c010204, v1
	v_mul_lo_u32 v2, v23, s1
	s_delay_alu instid0(VALU_DEP_1) | instskip(NEXT) | instid1(VALU_DEP_1)
	v_sub_nc_u32_e32 v2, v0, v2
	v_cmp_eq_u32_e64 s1, 0, v2
                                        ; implicit-def: $vgpr1_vgpr2
	s_delay_alu instid0(VALU_DEP_1) | instskip(SKIP_2) | instid1(SALU_CYCLE_1)
	s_and_b32 s6, s1, vcc_lo
	s_mov_b32 s1, 0
	s_and_saveexec_b32 s7, s6
	s_xor_b32 s16, exec_lo, s7
	s_cbranch_execz .LBB57_37
; %bb.29:
	s_bitcmp0_b32 s19, 0
	s_mov_b32 s10, 0
	s_cbranch_scc0 .LBB57_34
; %bb.30:
	s_ashr_i32 s1, s13, 31
	s_mul_hi_u32 s7, s13, s2
	s_mul_i32 s1, s1, s2
	s_mul_i32 s6, s13, s2
	s_add_i32 s7, s7, s1
	s_mov_b32 s19, s11
	s_delay_alu instid0(SALU_CYCLE_1) | instskip(NEXT) | instid1(SALU_CYCLE_1)
	s_or_b64 s[14:15], s[6:7], s[18:19]
	s_mov_b32 s11, s15
	s_delay_alu instid0(SALU_CYCLE_1)
	s_cmp_lg_u64 s[10:11], 0
	s_cbranch_scc0 .LBB57_45
; %bb.31:
	s_add_u32 s14, s18, s19
	s_mov_b32 s10, s19
	s_mov_b32 s11, s19
	s_addc_u32 s15, s19, s19
	s_delay_alu instid0(SALU_CYCLE_1) | instskip(NEXT) | instid1(SALU_CYCLE_1)
	s_xor_b64 s[14:15], s[14:15], s[10:11]
	v_cvt_f32_u32_e32 v1, s14
	v_cvt_f32_u32_e32 v2, s15
	s_sub_u32 s20, 0, s14
	s_subb_u32 s21, 0, s15
	s_delay_alu instid0(VALU_DEP_1) | instskip(NEXT) | instid1(VALU_DEP_1)
	v_fmamk_f32 v1, v2, 0x4f800000, v1
	v_rcp_f32_e32 v1, v1
	s_waitcnt_depctr 0xfff
	v_mul_f32_e32 v1, 0x5f7ffffc, v1
	s_delay_alu instid0(VALU_DEP_1) | instskip(NEXT) | instid1(VALU_DEP_1)
	v_mul_f32_e32 v2, 0x2f800000, v1
	v_trunc_f32_e32 v2, v2
	s_delay_alu instid0(VALU_DEP_1) | instskip(SKIP_1) | instid1(VALU_DEP_2)
	v_fmamk_f32 v1, v2, 0xcf800000, v1
	v_cvt_u32_f32_e32 v2, v2
	v_cvt_u32_f32_e32 v1, v1
	s_delay_alu instid0(VALU_DEP_2) | instskip(NEXT) | instid1(VALU_DEP_2)
	v_readfirstlane_b32 s1, v2
	v_readfirstlane_b32 s19, v1
	s_delay_alu instid0(VALU_DEP_2) | instskip(NEXT) | instid1(VALU_DEP_1)
	s_mul_i32 s22, s20, s1
	s_mul_hi_u32 s24, s20, s19
	s_mul_i32 s23, s21, s19
	s_add_i32 s22, s24, s22
	s_mul_i32 s25, s20, s19
	s_add_i32 s22, s22, s23
	s_mul_hi_u32 s24, s19, s25
	s_mul_hi_u32 s26, s1, s25
	s_mul_i32 s23, s1, s25
	s_mul_hi_u32 s25, s19, s22
	s_mul_i32 s19, s19, s22
	s_mul_hi_u32 s27, s1, s22
	s_add_u32 s19, s24, s19
	s_addc_u32 s24, 0, s25
	s_add_u32 s19, s19, s23
	s_mul_i32 s22, s1, s22
	s_addc_u32 s19, s24, s26
	s_addc_u32 s23, s27, 0
	s_add_u32 s19, s19, s22
	s_addc_u32 s22, 0, s23
	v_add_co_u32 v1, s19, v1, s19
	s_delay_alu instid0(VALU_DEP_1) | instskip(SKIP_1) | instid1(VALU_DEP_1)
	s_cmp_lg_u32 s19, 0
	s_addc_u32 s1, s1, s22
	v_readfirstlane_b32 s19, v1
	s_mul_i32 s22, s20, s1
	s_delay_alu instid0(VALU_DEP_1)
	s_mul_hi_u32 s23, s20, s19
	s_mul_i32 s21, s21, s19
	s_add_i32 s22, s23, s22
	s_mul_i32 s20, s20, s19
	s_add_i32 s22, s22, s21
	s_mul_hi_u32 s23, s1, s20
	s_mul_i32 s24, s1, s20
	s_mul_hi_u32 s20, s19, s20
	s_mul_hi_u32 s25, s19, s22
	s_mul_i32 s19, s19, s22
	s_mul_hi_u32 s21, s1, s22
	s_add_u32 s19, s20, s19
	s_addc_u32 s20, 0, s25
	s_add_u32 s19, s19, s24
	s_mul_i32 s22, s1, s22
	s_addc_u32 s19, s20, s23
	s_addc_u32 s20, s21, 0
	s_add_u32 s19, s19, s22
	s_addc_u32 s20, 0, s20
	v_add_co_u32 v1, s19, v1, s19
	s_delay_alu instid0(VALU_DEP_1) | instskip(SKIP_2) | instid1(SALU_CYCLE_1)
	s_cmp_lg_u32 s19, 0
	s_addc_u32 s1, s1, s20
	s_ashr_i32 s20, s7, 31
	s_add_u32 s22, s6, s20
	s_addc_u32 s23, s7, s20
	v_readfirstlane_b32 s7, v1
	s_mov_b32 s21, s20
	s_delay_alu instid0(SALU_CYCLE_1) | instskip(NEXT) | instid1(SALU_CYCLE_1)
	s_xor_b64 s[22:23], s[22:23], s[20:21]
	s_mul_i32 s24, s22, s1
	s_delay_alu instid0(VALU_DEP_1)
	s_mul_hi_u32 s25, s22, s7
	s_mul_hi_u32 s19, s22, s1
	;; [unrolled: 1-line block ×3, first 2 shown]
	s_mul_i32 s7, s23, s7
	s_add_u32 s24, s25, s24
	s_addc_u32 s19, 0, s19
	s_mul_hi_u32 s26, s23, s1
	s_add_u32 s7, s24, s7
	s_mul_i32 s1, s23, s1
	s_addc_u32 s7, s19, s27
	s_addc_u32 s19, s26, 0
	s_add_u32 s7, s7, s1
	s_addc_u32 s19, 0, s19
	s_mul_i32 s26, s14, s7
	s_mul_hi_u32 s1, s14, s7
	s_mul_i32 s25, s14, s19
	v_sub_co_u32 v1, s22, s22, s26
	s_mul_i32 s24, s15, s7
	s_add_i32 s1, s1, s25
	s_delay_alu instid0(SALU_CYCLE_1) | instskip(NEXT) | instid1(VALU_DEP_1)
	s_add_i32 s1, s1, s24
	v_sub_co_u32 v2, s25, v1, s14
	s_sub_i32 s24, s23, s1
	s_cmp_lg_u32 s22, 0
	s_subb_u32 s24, s24, s15
	s_cmp_lg_u32 s25, 0
	v_cmp_le_u32_e32 vcc_lo, s14, v2
	s_subb_u32 s24, s24, 0
	s_delay_alu instid0(SALU_CYCLE_1)
	s_cmp_ge_u32 s24, s15
	v_cndmask_b32_e64 v2, 0, -1, vcc_lo
	s_cselect_b32 s25, -1, 0
	s_cmp_eq_u32 s24, s15
	s_cselect_b32 vcc_lo, -1, 0
	s_add_u32 s24, s7, 1
	v_cndmask_b32_e32 v2, s25, v2, vcc_lo
	s_addc_u32 s25, s19, 0
	s_add_u32 s26, s7, 2
	s_addc_u32 s27, s19, 0
	s_cmp_lg_u32 s22, 0
	v_cmp_le_u32_e32 vcc_lo, s14, v1
	s_subb_u32 s1, s23, s1
	v_mov_b32_e32 v24, s26
	s_cmp_ge_u32 s1, s15
	v_cndmask_b32_e64 v1, 0, -1, vcc_lo
	s_cselect_b32 s14, -1, 0
	s_cmp_eq_u32 s1, s15
	v_cmp_ne_u32_e32 vcc_lo, 0, v2
	v_mov_b32_e32 v2, s27
	s_cselect_b32 s1, -1, 0
	s_xor_b64 s[10:11], s[20:21], s[10:11]
	v_cndmask_b32_e64 v1, s14, v1, s1
	v_cndmask_b32_e32 v24, s24, v24, vcc_lo
	v_cndmask_b32_e32 v2, s25, v2, vcc_lo
	s_delay_alu instid0(VALU_DEP_3) | instskip(NEXT) | instid1(VALU_DEP_2)
	v_cmp_ne_u32_e32 vcc_lo, 0, v1
	v_cndmask_b32_e32 v1, s19, v2, vcc_lo
	s_delay_alu instid0(VALU_DEP_4) | instskip(NEXT) | instid1(VALU_DEP_2)
	v_cndmask_b32_e32 v2, s7, v24, vcc_lo
	v_xor_b32_e32 v24, s11, v1
	s_delay_alu instid0(VALU_DEP_2) | instskip(NEXT) | instid1(VALU_DEP_1)
	v_xor_b32_e32 v2, s10, v2
	v_sub_co_u32 v1, vcc_lo, v2, s10
	s_delay_alu instid0(VALU_DEP_3)
	v_subrev_co_ci_u32_e32 v2, vcc_lo, s11, v24, vcc_lo
	s_cbranch_execnz .LBB57_33
.LBB57_32:
	v_cvt_f32_u32_e32 v1, s18
	s_sub_i32 s7, 0, s18
	s_delay_alu instid0(VALU_DEP_1) | instskip(SKIP_2) | instid1(VALU_DEP_1)
	v_rcp_iflag_f32_e32 v1, v1
	s_waitcnt_depctr 0xfff
	v_mul_f32_e32 v1, 0x4f7ffffe, v1
	v_cvt_u32_f32_e32 v1, v1
	s_delay_alu instid0(VALU_DEP_1) | instskip(NEXT) | instid1(VALU_DEP_1)
	v_readfirstlane_b32 s1, v1
	s_mul_i32 s7, s7, s1
	s_delay_alu instid0(SALU_CYCLE_1) | instskip(NEXT) | instid1(SALU_CYCLE_1)
	s_mul_hi_u32 s7, s1, s7
	s_add_i32 s1, s1, s7
	s_delay_alu instid0(SALU_CYCLE_1) | instskip(NEXT) | instid1(SALU_CYCLE_1)
	s_mul_hi_u32 s1, s6, s1
	s_mul_i32 s7, s1, s18
	s_delay_alu instid0(SALU_CYCLE_1)
	s_sub_i32 s6, s6, s7
	s_add_i32 s7, s1, 1
	s_sub_i32 s10, s6, s18
	s_cmp_ge_u32 s6, s18
	s_cselect_b32 s1, s7, s1
	s_cselect_b32 s6, s10, s6
	s_add_i32 s10, s1, 1
	s_cmp_ge_u32 s6, s18
	s_mov_b32 s7, 0
	s_cselect_b32 s6, s10, s1
	s_delay_alu instid0(SALU_CYCLE_1)
	v_dual_mov_b32 v1, s6 :: v_dual_mov_b32 v2, s7
.LBB57_33:
	s_delay_alu instid0(VALU_DEP_1) | instskip(NEXT) | instid1(VALU_DEP_2)
	v_add_co_u32 v1, vcc_lo, v1, v23
	v_add_co_ci_u32_e32 v2, vcc_lo, 0, v2, vcc_lo
	s_branch .LBB57_36
.LBB57_34:
                                        ; implicit-def: $vgpr1_vgpr2
	s_cbranch_execz .LBB57_36
; %bb.35:
	v_mul_lo_u32 v1, v23, s12
	s_delay_alu instid0(VALU_DEP_1) | instskip(SKIP_1) | instid1(VALU_DEP_2)
	v_ashrrev_i32_e32 v2, 31, v1
	v_add_co_u32 v1, vcc_lo, v1, s2
	v_add_co_ci_u32_e32 v2, vcc_lo, 0, v2, vcc_lo
.LBB57_36:
	s_mov_b32 s1, exec_lo
.LBB57_37:
	s_or_b32 exec_lo, exec_lo, s16
	s_delay_alu instid0(SALU_CYCLE_1)
	s_and_b32 vcc_lo, exec_lo, s31
	s_cbranch_vccz .LBB57_41
.LBB57_38:
	v_mov_b32_dpp v1, v22 quad_perm:[1,0,3,2] row_mask:0xf bank_mask:0xf
	s_delay_alu instid0(VALU_DEP_1) | instskip(SKIP_1) | instid1(VALU_DEP_1)
	v_cmp_gt_f32_e32 vcc_lo, v22, v1
	v_cndmask_b32_e32 v1, v1, v22, vcc_lo
	v_mov_b32_dpp v2, v1 quad_perm:[2,3,0,1] row_mask:0xf bank_mask:0xf
	s_delay_alu instid0(VALU_DEP_1) | instskip(SKIP_1) | instid1(VALU_DEP_1)
	v_cmp_gt_f32_e32 vcc_lo, v1, v2
	v_cndmask_b32_e32 v1, v2, v1, vcc_lo
	v_mov_b32_dpp v2, v1 row_xmask:7 row_mask:0xf bank_mask:0xf
	s_delay_alu instid0(VALU_DEP_1) | instskip(SKIP_1) | instid1(VALU_DEP_1)
	v_cmp_gt_f32_e32 vcc_lo, v1, v2
	v_cndmask_b32_e32 v1, v2, v1, vcc_lo
	v_mov_b32_dpp v2, v1 row_xmask:15 row_mask:0xf bank_mask:0xf
	s_delay_alu instid0(VALU_DEP_1)
	v_cmp_gt_f32_e32 vcc_lo, v1, v2
	s_and_saveexec_b32 s1, s0
	s_cbranch_execz .LBB57_40
; %bb.39:
	v_cndmask_b32_e32 v1, v2, v1, vcc_lo
	v_lshrrev_b32_e32 v2, 3, v0
	s_mov_b32 s0, 0x76543210
	s_delay_alu instid0(VALU_DEP_1) | instskip(NEXT) | instid1(VALU_DEP_3)
	v_and_b32_e32 v2, 0x7c, v2
	v_permlanex16_b32 v21, v1, s0, 0xfedcba98 op_sel:[1,1]
	s_delay_alu instid0(VALU_DEP_1)
	v_cmp_gt_f32_e32 vcc_lo, v1, v21
	v_cndmask_b32_e32 v1, v21, v1, vcc_lo
	ds_store_b32 v2, v1
.LBB57_40:
	s_or_b32 exec_lo, exec_lo, s1
	s_waitcnt lgkmcnt(0)
	s_barrier
	buffer_gl0_inv
	ds_load_b32 v1, v10
	v_cmp_eq_u32_e64 s1, 0, v0
	s_waitcnt lgkmcnt(0)
	v_mov_b32_dpp v2, v1 quad_perm:[1,0,3,2] row_mask:0xf bank_mask:0xf
	s_delay_alu instid0(VALU_DEP_1) | instskip(SKIP_1) | instid1(VALU_DEP_1)
	v_cmp_gt_f32_e32 vcc_lo, v1, v2
	v_cndmask_b32_e32 v1, v2, v1, vcc_lo
	v_mov_b32_dpp v2, v1 quad_perm:[2,3,0,1] row_mask:0xf bank_mask:0xf
	s_delay_alu instid0(VALU_DEP_1) | instskip(SKIP_1) | instid1(VALU_DEP_1)
	v_cmp_gt_f32_e32 vcc_lo, v1, v2
	v_cndmask_b32_e32 v1, v2, v1, vcc_lo
	v_mov_b32_dpp v2, v1 row_xmask:7 row_mask:0xf bank_mask:0xf
	s_delay_alu instid0(VALU_DEP_1) | instskip(SKIP_1) | instid1(VALU_DEP_1)
	v_cmp_gt_f32_e32 vcc_lo, v1, v2
	v_cndmask_b32_e32 v1, v2, v1, vcc_lo
	v_mov_b32_dpp v2, v1 row_xmask:15 row_mask:0xf bank_mask:0xf
	s_delay_alu instid0(VALU_DEP_1) | instskip(SKIP_1) | instid1(VALU_DEP_1)
	v_cmp_gt_f32_e32 vcc_lo, v1, v2
	v_cndmask_b32_e32 v1, v2, v1, vcc_lo
	v_mul_f32_e32 v21, 0x3c010204, v1
	v_dual_mov_b32 v1, s2 :: v_dual_mov_b32 v2, s3
.LBB57_41:
	s_and_saveexec_b32 s0, s1
	s_cbranch_execz .LBB57_43
; %bb.42:
	s_delay_alu instid0(VALU_DEP_1) | instskip(NEXT) | instid1(VALU_DEP_1)
	v_lshlrev_b64 v[0:1], 2, v[1:2]
	v_add_co_u32 v0, vcc_lo, s8, v0
	s_delay_alu instid0(VALU_DEP_2)
	v_add_co_ci_u32_e32 v1, vcc_lo, s9, v1, vcc_lo
	global_store_b32 v[0:1], v21, off
.LBB57_43:
	s_or_b32 exec_lo, exec_lo, s0
	;;#ASMSTART
	v_rcp_f32 v0, v21
	;;#ASMEND
	v_mul_f32_e32 v16, v16, v0
	v_mul_f32_e32 v15, v15, v0
	;; [unrolled: 1-line block ×5, first 2 shown]
	v_cvt_i32_f32_e32 v16, v16
	v_cvt_i32_f32_e32 v15, v15
	v_mul_f32_e32 v10, v18, v0
	v_cvt_i32_f32_e32 v11, v11
	v_mul_f32_e32 v6, v6, v0
	v_lshlrev_b16 v16, 8, v16
	v_and_b32_e32 v15, 0xff, v15
	v_cvt_i32_f32_e32 v10, v10
	v_and_b32_e32 v11, 0xff, v11
	v_cvt_i32_f32_e32 v6, v6
	v_cvt_i32_f32_e32 v5, v5
	v_or_b32_e32 v15, v15, v16
	v_mul_f32_e32 v17, v17, v0
	v_lshlrev_b16 v10, 8, v10
	s_delay_alu instid0(VALU_DEP_4) | instskip(SKIP_1) | instid1(VALU_DEP_4)
	v_dual_mul_f32 v8, v8, v0 :: v_dual_and_b32 v5, 0xff, v5
	v_lshlrev_b16 v6, 8, v6
	v_cvt_i32_f32_e32 v17, v17
	v_mul_f32_e32 v2, v19, v0
	v_mul_f32_e32 v13, v13, v0
	;; [unrolled: 1-line block ×3, first 2 shown]
	v_or_b32_e32 v5, v5, v6
	v_and_b32_e32 v17, 0xff, v17
	v_cvt_i32_f32_e32 v2, v2
	s_add_i32 s0, s13, 3
	s_ashr_i32 s1, s17, 31
	s_ashr_i32 s3, s0, 31
	v_or_b32_e32 v10, v17, v10
	v_mul_f32_e32 v1, v20, v0
	v_lshlrev_b16 v2, 8, v2
	s_lshr_b32 s3, s3, 30
	s_mul_hi_u32 s6, s17, s2
	s_add_i32 s0, s0, s3
	v_cvt_i32_f32_e32 v1, v1
	s_mul_i32 s1, s1, s2
	s_mul_i32 s7, s17, s2
	s_and_b32 s2, s0, -4
	s_add_i32 s6, s6, s1
	v_and_b32_e32 v1, 0xff, v1
	s_add_u32 s0, s4, s7
	s_addc_u32 s1, s5, s6
	s_mov_b32 s3, -1
	s_and_b32 s1, s1, 0xffff
	v_or_b32_e32 v1, v1, v2
	v_and_b32_e32 v2, 0xffff, v10
	v_mul_f32_e32 v14, v14, v0
	v_lshlrev_b32_e32 v10, 16, v15
	v_and_b32_e32 v5, 0xffff, v5
	v_and_b32_e32 v15, 0xffff, v1
	s_movk_i32 s4, 0x100
	v_cvt_i32_f32_e32 v14, v14
	v_mul_f32_e32 v12, v12, v0
	v_mul_f32_e32 v0, v3, v0
	v_cvt_i32_f32_e32 v3, v7
	v_cvt_i32_f32_e32 v7, v8
	s_delay_alu instid0(VALU_DEP_4) | instskip(NEXT) | instid1(VALU_DEP_4)
	v_cvt_i32_f32_e32 v12, v12
	v_cvt_i32_f32_e32 v0, v0
	s_delay_alu instid0(VALU_DEP_4) | instskip(SKIP_4) | instid1(VALU_DEP_4)
	v_and_b32_e32 v3, 0xff, v3
	v_cvt_i32_f32_e32 v4, v4
	v_lshlrev_b16 v7, 8, v7
	v_lshlrev_b16 v8, 8, v12
	v_and_b32_e32 v0, 0xff, v0
	v_lshlrev_b16 v4, 8, v4
	s_delay_alu instid0(VALU_DEP_4) | instskip(NEXT) | instid1(VALU_DEP_2)
	v_or_b32_e32 v3, v3, v7
	v_or_b32_e32 v0, v0, v4
	;; [unrolled: 1-line block ×3, first 2 shown]
	s_delay_alu instid0(VALU_DEP_3) | instskip(SKIP_1) | instid1(VALU_DEP_4)
	v_lshlrev_b32_e32 v8, 16, v3
	v_cvt_i32_f32_e32 v13, v13
	v_lshlrev_b32_e32 v7, 16, v0
	s_delay_alu instid0(VALU_DEP_4) | instskip(NEXT) | instid1(VALU_DEP_3)
	v_and_b32_e32 v4, 0xffff, v4
	v_lshlrev_b16 v1, 8, v13
	v_and_b32_e32 v13, 0xff, v14
	s_delay_alu instid0(VALU_DEP_4) | instskip(NEXT) | instid1(VALU_DEP_2)
	v_or_b32_e32 v3, v5, v7
	v_or_b32_e32 v1, v13, v1
	s_delay_alu instid0(VALU_DEP_1) | instskip(SKIP_2) | instid1(VALU_DEP_3)
	v_lshlrev_b32_e32 v6, 16, v1
	v_or_b32_e32 v1, v2, v10
	v_or_b32_e32 v2, v4, v8
	;; [unrolled: 1-line block ×3, first 2 shown]
	buffer_store_b64 v[0:1], v9, s[0:3], 0 offen
	;;#ASMSTART
	s_nop 0
	;;#ASMEND
	buffer_store_b64 v[2:3], v9, s[0:3], s4 offen
	;;#ASMSTART
	s_nop 0
	;;#ASMEND
.LBB57_44:
	s_nop 0
	s_sendmsg sendmsg(MSG_DEALLOC_VGPRS)
	s_endpgm
.LBB57_45:
                                        ; implicit-def: $vgpr1_vgpr2
	s_branch .LBB57_32
	.section	.rodata,"a",@progbits
	.p2align	6, 0x0
	.amdhsa_kernel _ZN5aiter24add_rmsnorm_quant_kernelIDF16_aLi512ELi16ELb1ELb1ELb1ELi1EEEvPT0_PT_PfS4_S4_S4_diiiiiiib
		.amdhsa_group_segment_fixed_size 128
		.amdhsa_private_segment_fixed_size 0
		.amdhsa_kernarg_size 88
		.amdhsa_user_sgpr_count 15
		.amdhsa_user_sgpr_dispatch_ptr 0
		.amdhsa_user_sgpr_queue_ptr 0
		.amdhsa_user_sgpr_kernarg_segment_ptr 1
		.amdhsa_user_sgpr_dispatch_id 0
		.amdhsa_user_sgpr_private_segment_size 0
		.amdhsa_wavefront_size32 1
		.amdhsa_uses_dynamic_stack 0
		.amdhsa_enable_private_segment 0
		.amdhsa_system_sgpr_workgroup_id_x 1
		.amdhsa_system_sgpr_workgroup_id_y 0
		.amdhsa_system_sgpr_workgroup_id_z 0
		.amdhsa_system_sgpr_workgroup_info 0
		.amdhsa_system_vgpr_workitem_id 0
		.amdhsa_next_free_vgpr 48
		.amdhsa_next_free_sgpr 40
		.amdhsa_reserve_vcc 1
		.amdhsa_float_round_mode_32 0
		.amdhsa_float_round_mode_16_64 0
		.amdhsa_float_denorm_mode_32 3
		.amdhsa_float_denorm_mode_16_64 3
		.amdhsa_dx10_clamp 1
		.amdhsa_ieee_mode 1
		.amdhsa_fp16_overflow 0
		.amdhsa_workgroup_processor_mode 1
		.amdhsa_memory_ordered 1
		.amdhsa_forward_progress 0
		.amdhsa_shared_vgpr_count 0
		.amdhsa_exception_fp_ieee_invalid_op 0
		.amdhsa_exception_fp_denorm_src 0
		.amdhsa_exception_fp_ieee_div_zero 0
		.amdhsa_exception_fp_ieee_overflow 0
		.amdhsa_exception_fp_ieee_underflow 0
		.amdhsa_exception_fp_ieee_inexact 0
		.amdhsa_exception_int_div_zero 0
	.end_amdhsa_kernel
	.section	.text._ZN5aiter24add_rmsnorm_quant_kernelIDF16_aLi512ELi16ELb1ELb1ELb1ELi1EEEvPT0_PT_PfS4_S4_S4_diiiiiiib,"axG",@progbits,_ZN5aiter24add_rmsnorm_quant_kernelIDF16_aLi512ELi16ELb1ELb1ELb1ELi1EEEvPT0_PT_PfS4_S4_S4_diiiiiiib,comdat
.Lfunc_end57:
	.size	_ZN5aiter24add_rmsnorm_quant_kernelIDF16_aLi512ELi16ELb1ELb1ELb1ELi1EEEvPT0_PT_PfS4_S4_S4_diiiiiiib, .Lfunc_end57-_ZN5aiter24add_rmsnorm_quant_kernelIDF16_aLi512ELi16ELb1ELb1ELb1ELi1EEEvPT0_PT_PfS4_S4_S4_diiiiiiib
                                        ; -- End function
	.section	.AMDGPU.csdata,"",@progbits
; Kernel info:
; codeLenInByte = 4320
; NumSgprs: 42
; NumVgprs: 48
; ScratchSize: 0
; MemoryBound: 0
; FloatMode: 240
; IeeeMode: 1
; LDSByteSize: 128 bytes/workgroup (compile time only)
; SGPRBlocks: 5
; VGPRBlocks: 5
; NumSGPRsForWavesPerEU: 42
; NumVGPRsForWavesPerEU: 48
; Occupancy: 16
; WaveLimiterHint : 0
; COMPUTE_PGM_RSRC2:SCRATCH_EN: 0
; COMPUTE_PGM_RSRC2:USER_SGPR: 15
; COMPUTE_PGM_RSRC2:TRAP_HANDLER: 0
; COMPUTE_PGM_RSRC2:TGID_X_EN: 1
; COMPUTE_PGM_RSRC2:TGID_Y_EN: 0
; COMPUTE_PGM_RSRC2:TGID_Z_EN: 0
; COMPUTE_PGM_RSRC2:TIDIG_COMP_CNT: 0
	.section	.text._ZN5aiter24add_rmsnorm_quant_kernelItaLi512ELi16ELb1ELb1ELb1ELi1EEEvPT0_PT_PfS4_S4_S4_diiiiiiib,"axG",@progbits,_ZN5aiter24add_rmsnorm_quant_kernelItaLi512ELi16ELb1ELb1ELb1ELi1EEEvPT0_PT_PfS4_S4_S4_diiiiiiib,comdat
	.protected	_ZN5aiter24add_rmsnorm_quant_kernelItaLi512ELi16ELb1ELb1ELb1ELi1EEEvPT0_PT_PfS4_S4_S4_diiiiiiib ; -- Begin function _ZN5aiter24add_rmsnorm_quant_kernelItaLi512ELi16ELb1ELb1ELb1ELi1EEEvPT0_PT_PfS4_S4_S4_diiiiiiib
	.globl	_ZN5aiter24add_rmsnorm_quant_kernelItaLi512ELi16ELb1ELb1ELb1ELi1EEEvPT0_PT_PfS4_S4_S4_diiiiiiib
	.p2align	8
	.type	_ZN5aiter24add_rmsnorm_quant_kernelItaLi512ELi16ELb1ELb1ELb1ELi1EEEvPT0_PT_PfS4_S4_S4_diiiiiiib,@function
_ZN5aiter24add_rmsnorm_quant_kernelItaLi512ELi16ELb1ELb1ELb1ELi1EEEvPT0_PT_PfS4_S4_S4_diiiiiiib: ; @_ZN5aiter24add_rmsnorm_quant_kernelItaLi512ELi16ELb1ELb1ELb1ELi1EEEvPT0_PT_PfS4_S4_S4_diiiiiiib
; %bb.0:
	s_mov_b32 s2, s15
	s_load_b256 s[12:19], s[0:1], 0x38
	s_mov_b32 s3, 0
	s_waitcnt lgkmcnt(0)
	s_ashr_i32 s5, s12, 31
	s_mov_b32 s4, s12
	s_delay_alu instid0(SALU_CYCLE_1) | instskip(NEXT) | instid1(VALU_DEP_1)
	v_cmp_ge_i64_e64 s4, s[2:3], s[4:5]
	s_and_b32 vcc_lo, exec_lo, s4
	s_cbranch_vccnz .LBB58_44
; %bb.1:
	s_load_b256 s[4:11], s[0:1], 0x0
	s_ashr_i32 s20, s14, 31
	s_mul_hi_u32 s21, s14, s2
	s_mul_i32 s20, s20, s2
	v_lshlrev_b32_e32 v19, 4, v0
	s_add_i32 s29, s21, s20
	s_load_b256 s[20:27], s[0:1], 0x20
	s_mul_i32 s28, s14, s2
	v_lshlrev_b32_e32 v1, 3, v0
	v_and_b32_e32 v2, 0x3e00, v19
	s_lshl_b64 s[0:1], s[28:29], 1
	s_mov_b32 s31, -1
	s_delay_alu instid0(SALU_CYCLE_1) | instskip(NEXT) | instid1(VALU_DEP_1)
	s_mov_b32 s39, s31
	v_and_or_b32 v9, 0xf8, v1, v2
	s_delay_alu instid0(VALU_DEP_1)
	v_lshlrev_b32_e32 v37, 1, v9
	s_waitcnt lgkmcnt(0)
	s_add_u32 s28, s10, s0
	s_addc_u32 s0, s11, s1
	s_add_i32 s10, s13, 1
	s_and_b32 s29, s0, 0xffff
	s_lshr_b32 s11, s10, 31
	s_ashr_i32 s0, s15, 31
	s_add_i32 s10, s10, s11
	s_mul_hi_u32 s11, s15, s2
	s_lshl_b32 s10, s10, 1
	s_mul_i32 s0, s0, s2
	s_and_b32 s30, s10, -4
	s_mul_i32 s10, s15, s2
	s_add_i32 s11, s11, s0
	s_movk_i32 s1, 0x200
	s_lshl_b64 s[10:11], s[10:11], 1
	s_and_b32 s37, s23, 0xffff
	s_clause 0x1
	buffer_load_b128 v[10:13], v37, s[28:31], 0 offen glc slc
	buffer_load_b128 v[14:17], v37, s[28:31], s1 offen glc slc
	s_add_u32 s28, s20, s10
	s_addc_u32 s0, s21, s11
	s_mov_b32 s36, s22
	s_and_b32 s29, s0, 0xffff
	s_clause 0x1
	buffer_load_b128 v[20:23], v37, s[28:31], 0 offen glc slc
	buffer_load_b128 v[24:27], v37, s[28:31], s1 offen glc slc
	s_mov_b32 s38, s30
	s_ashr_i32 s0, s16, 31
	s_mul_hi_u32 s11, s16, s2
	s_mul_i32 s0, s0, s2
	s_mul_i32 s10, s16, s2
	s_add_i32 s11, s11, s0
	s_delay_alu instid0(SALU_CYCLE_1) | instskip(NEXT) | instid1(SALU_CYCLE_1)
	s_lshl_b64 s[10:11], s[10:11], 1
	s_add_u32 s28, s6, s10
	s_addc_u32 s0, s7, s11
	s_delay_alu instid0(SALU_CYCLE_1)
	s_and_b32 s29, s0, 0xffff
	s_waitcnt vmcnt(3)
	v_lshrrev_b32_e32 v28, 16, v11
	s_waitcnt vmcnt(2)
	v_lshrrev_b32_e32 v39, 16, v16
	v_and_b32_e32 v40, 0xffff, v16
	v_lshrrev_b32_e32 v18, 16, v10
	v_lshrrev_b32_e32 v41, 16, v17
	v_and_b32_e32 v42, 0xffff, v17
	s_waitcnt vmcnt(1)
	v_lshrrev_b32_e32 v16, 16, v21
	v_cvt_f32_u32_e32 v17, v28
	v_lshrrev_b32_e32 v30, 16, v12
	v_and_b32_e32 v31, 0xffff, v12
	v_lshrrev_b32_e32 v32, 16, v13
	v_cvt_f32_u32_e32 v16, v16
	v_and_b32_e32 v29, 0xffff, v11
	v_lshrrev_b32_e32 v11, 16, v20
	v_and_b32_e32 v33, 0xffff, v13
	v_cvt_f32_u32_e32 v12, v18
	v_and_b32_e32 v13, 0xffff, v20
	v_lshrrev_b32_e32 v20, 16, v22
	v_cvt_f32_u32_e32 v11, v11
	v_and_b32_e32 v10, 0xffff, v10
	v_lshrrev_b32_e32 v34, 16, v14
	v_cvt_f32_u32_e32 v13, v13
	s_delay_alu instid0(VALU_DEP_4) | instskip(NEXT) | instid1(VALU_DEP_4)
	v_dual_add_f32 v11, v12, v11 :: v_dual_and_b32 v18, 0xffff, v22
	v_cvt_f32_u32_e32 v10, v10
	v_cvt_f32_u32_e32 v20, v20
	v_and_b32_e32 v35, 0xffff, v14
	v_and_b32_e32 v14, 0xffff, v21
	v_lshrrev_b32_e32 v36, 16, v15
	v_add_f32_e32 v12, v10, v13
	v_mul_f32_e32 v10, v11, v11
	v_cvt_f32_u32_e32 v18, v18
	v_and_b32_e32 v38, 0xffff, v15
	v_cvt_f32_u32_e32 v15, v29
	v_cvt_f32_u32_e32 v14, v14
	v_fmac_f32_e32 v10, v12, v12
	s_clause 0x1
	buffer_load_b128 v[5:8], v37, s[36:39], 0 offen
	buffer_load_b128 v[1:4], v37, s[36:39], s1 offen
	v_lshrrev_b32_e32 v21, 16, v23
	v_cvt_f32_u32_e32 v29, v39
	v_dual_add_f32 v13, v15, v14 :: v_dual_add_f32 v14, v17, v16
	v_cvt_f32_u32_e32 v16, v30
	s_waitcnt vmcnt(2)
	v_and_b32_e32 v22, 0xffff, v24
	v_cvt_f32_u32_e32 v21, v21
	v_fmac_f32_e32 v10, v13, v13
	v_cvt_f32_u32_e32 v15, v31
	v_add_f32_e32 v16, v16, v20
	v_cvt_f32_u32_e32 v20, v32
	v_lshrrev_b32_e32 v24, 16, v24
	v_fmac_f32_e32 v10, v14, v14
	v_add_f32_e32 v15, v15, v18
	v_cvt_f32_u32_e32 v18, v33
	v_cvt_f32_u32_e32 v22, v22
	v_and_b32_e32 v28, 0xffff, v25
	v_cvt_f32_u32_e32 v24, v24
	v_fmac_f32_e32 v10, v15, v15
	v_and_b32_e32 v17, 0xffff, v23
	v_cvt_f32_u32_e32 v23, v35
	v_and_b32_e32 v30, 0xffff, v27
	v_lshrrev_b32_e32 v27, 16, v27
	v_fmac_f32_e32 v10, v16, v16
	v_cvt_f32_u32_e32 v17, v17
	v_perm_b32 v31, v16, v15, 0x7060302
	v_cvt_f32_u32_e32 v30, v30
	v_cvt_f32_u32_e32 v27, v27
	s_delay_alu instid0(VALU_DEP_4)
	v_add_f32_e32 v17, v18, v17
	v_add_f32_e32 v18, v20, v21
	v_cvt_f32_u32_e32 v21, v34
	v_add_f32_e32 v20, v23, v22
	v_cvt_f32_u32_e32 v22, v38
	v_fmac_f32_e32 v10, v17, v17
	v_lshrrev_b32_e32 v23, 16, v25
	v_cvt_f32_u32_e32 v25, v28
	v_add_f32_e32 v21, v21, v24
	v_cvt_f32_u32_e32 v24, v36
	v_fmac_f32_e32 v10, v18, v18
	v_and_b32_e32 v28, 0xffff, v26
	v_cvt_f32_u32_e32 v23, v23
	v_add_f32_e32 v22, v22, v25
	v_cvt_f32_u32_e32 v25, v40
	v_fmac_f32_e32 v10, v20, v20
	v_lshrrev_b32_e32 v26, 16, v26
	v_cvt_f32_u32_e32 v28, v28
	v_dual_add_f32 v23, v24, v23 :: v_dual_and_b32 v38, 31, v0
	s_delay_alu instid0(VALU_DEP_4) | instskip(NEXT) | instid1(VALU_DEP_4)
	v_fmac_f32_e32 v10, v21, v21
	v_cvt_f32_u32_e32 v26, v26
	s_delay_alu instid0(VALU_DEP_4)
	v_add_f32_e32 v24, v25, v28
	v_cvt_f32_u32_e32 v28, v42
	v_perm_b32 v32, v18, v17, 0x7060302
	v_fmac_f32_e32 v10, v22, v22
	v_add_f32_e32 v25, v29, v26
	v_cvt_f32_u32_e32 v29, v41
	v_add_f32_e32 v26, v28, v30
	v_perm_b32 v30, v14, v13, 0x7060302
	v_fmac_f32_e32 v10, v23, v23
	v_perm_b32 v35, v25, v24, 0x7060302
	v_add_f32_e32 v27, v29, v27
	v_perm_b32 v29, v11, v12, 0x7060302
	v_perm_b32 v34, v23, v22, 0x7060302
	v_fmac_f32_e32 v10, v24, v24
	v_perm_b32 v33, v21, v20, 0x7060302
	v_perm_b32 v36, v27, v26, 0x7060302
	v_cmp_eq_u32_e64 s0, 31, v38
	buffer_store_b128 v[29:32], v37, s[28:31], 0 offen glc slc
	v_fmac_f32_e32 v10, v25, v25
	;;#ASMSTART
	s_nop 0
	;;#ASMEND
	buffer_store_b128 v[33:36], v37, s[28:31], s1 offen glc slc
	;;#ASMSTART
	s_nop 0
	;;#ASMEND
	v_fmac_f32_e32 v10, v26, v26
	s_delay_alu instid0(VALU_DEP_1) | instskip(NEXT) | instid1(VALU_DEP_1)
	v_fmac_f32_e32 v10, v27, v27
	v_mov_b32_dpp v28, v10 quad_perm:[1,0,3,2] row_mask:0xf bank_mask:0xf
	s_delay_alu instid0(VALU_DEP_1) | instskip(NEXT) | instid1(VALU_DEP_1)
	v_add_f32_e32 v10, v10, v28
	v_mov_b32_dpp v28, v10 quad_perm:[2,3,0,1] row_mask:0xf bank_mask:0xf
	s_delay_alu instid0(VALU_DEP_1) | instskip(NEXT) | instid1(VALU_DEP_1)
	v_add_f32_e32 v10, v10, v28
	v_mov_b32_dpp v28, v10 row_xmask:7 row_mask:0xf bank_mask:0xf
	s_delay_alu instid0(VALU_DEP_1) | instskip(NEXT) | instid1(VALU_DEP_1)
	v_add_f32_e32 v10, v10, v28
	v_mov_b32_dpp v28, v10 row_xmask:15 row_mask:0xf bank_mask:0xf
	s_and_saveexec_b32 s1, s0
	s_cbranch_execz .LBB58_3
; %bb.2:
	s_delay_alu instid0(VALU_DEP_1) | instskip(SKIP_2) | instid1(VALU_DEP_2)
	v_add_f32_e32 v10, v10, v28
	s_mov_b32 s6, 0x76543210
	v_lshrrev_b32_e32 v28, 3, v0
	v_permlanex16_b32 v29, v10, s6, 0xfedcba98 op_sel:[1,1]
	s_delay_alu instid0(VALU_DEP_2) | instskip(NEXT) | instid1(VALU_DEP_2)
	v_and_b32_e32 v28, 0x7c, v28
	v_add_f32_e32 v10, v10, v29
	ds_store_b32 v28, v10 offset:64
.LBB58_3:
	s_or_b32 exec_lo, exec_lo, s1
	v_and_b32_e32 v10, 15, v0
	s_waitcnt vmcnt(0) lgkmcnt(0)
	s_waitcnt_vscnt null, 0x0
	s_barrier
	buffer_gl0_inv
	v_cvt_f32_i32_e32 v30, s13
	v_dual_mov_b32 v37, 0x2edbe6ff :: v_dual_lshlrev_b32 v10, 2, v10
	s_cmp_lg_u32 s18, 0
	v_and_b32_e32 v35, 0xffff, v2
	v_lshrrev_b32_e32 v2, 16, v2
	ds_load_b32 v28, v10 offset:64
	v_cvt_f32_u32_e32 v35, v35
	v_cvt_f32_u32_e32 v2, v2
	s_waitcnt lgkmcnt(0)
	v_mov_b32_dpp v29, v28 quad_perm:[1,0,3,2] row_mask:0xf bank_mask:0xf
	s_delay_alu instid0(VALU_DEP_1) | instskip(NEXT) | instid1(VALU_DEP_1)
	v_add_f32_e32 v28, v28, v29
	v_mov_b32_dpp v29, v28 quad_perm:[2,3,0,1] row_mask:0xf bank_mask:0xf
	s_delay_alu instid0(VALU_DEP_1) | instskip(NEXT) | instid1(VALU_DEP_1)
	v_add_f32_e32 v28, v28, v29
	v_mov_b32_dpp v29, v28 row_xmask:7 row_mask:0xf bank_mask:0xf
	s_delay_alu instid0(VALU_DEP_1) | instskip(NEXT) | instid1(VALU_DEP_1)
	v_add_f32_e32 v28, v28, v29
	v_mov_b32_dpp v29, v28 row_xmask:15 row_mask:0xf bank_mask:0xf
	s_delay_alu instid0(VALU_DEP_1) | instskip(NEXT) | instid1(VALU_DEP_1)
	v_add_f32_e32 v28, v28, v29
	v_div_scale_f32 v29, null, v30, v30, v28
	v_div_scale_f32 v33, vcc_lo, v28, v30, v28
	s_delay_alu instid0(VALU_DEP_2) | instskip(SKIP_2) | instid1(VALU_DEP_1)
	v_rcp_f32_e32 v31, v29
	s_waitcnt_depctr 0xfff
	v_fma_f32 v32, -v29, v31, 1.0
	v_fmac_f32_e32 v31, v32, v31
	s_delay_alu instid0(VALU_DEP_1) | instskip(NEXT) | instid1(VALU_DEP_1)
	v_mul_f32_e32 v32, v33, v31
	v_fma_f32 v34, -v29, v32, v33
	s_delay_alu instid0(VALU_DEP_1) | instskip(NEXT) | instid1(VALU_DEP_1)
	v_fmac_f32_e32 v32, v34, v31
	v_fma_f32 v29, -v29, v32, v33
	v_and_b32_e32 v33, 0xffff, v1
	v_lshrrev_b32_e32 v1, 16, v1
	s_delay_alu instid0(VALU_DEP_3) | instskip(NEXT) | instid1(VALU_DEP_3)
	v_div_fmas_f32 v29, v29, v31, v32
	v_cvt_f32_u32_e32 v33, v33
	v_and_b32_e32 v31, 0xffff, v7
	v_lshrrev_b32_e32 v7, 16, v7
	v_cvt_f32_u32_e32 v1, v1
	v_div_fixup_f32 v28, v29, v30, v28
	s_delay_alu instid0(VALU_DEP_4) | instskip(NEXT) | instid1(VALU_DEP_4)
	v_cvt_f32_u32_e32 v31, v31
	v_cvt_f32_u32_e32 v7, v7
	s_delay_alu instid0(VALU_DEP_3) | instskip(NEXT) | instid1(VALU_DEP_1)
	v_cvt_f64_f32_e32 v[28:29], v28
	v_add_f64 v[28:29], v[28:29], s[24:25]
	s_delay_alu instid0(VALU_DEP_1) | instskip(SKIP_2) | instid1(VALU_DEP_2)
	v_cvt_f32_f64_e32 v28, v[28:29]
	v_and_b32_e32 v29, 0xffff, v5
	v_lshrrev_b32_e32 v5, 16, v5
	v_cvt_f32_u32_e32 v29, v29
	s_delay_alu instid0(VALU_DEP_2) | instskip(SKIP_2) | instid1(VALU_DEP_2)
	v_cvt_f32_u32_e32 v5, v5
	v_mul_f32_e32 v34, 0x4b800000, v28
	v_cmp_gt_f32_e32 vcc_lo, 0x800000, v28
	v_cndmask_b32_e32 v28, v28, v34, vcc_lo
	s_delay_alu instid0(VALU_DEP_1) | instskip(SKIP_2) | instid1(VALU_DEP_1)
	v_rsq_f32_e32 v28, v28
	s_waitcnt_depctr 0xfff
	v_mul_f32_e32 v38, 0x45800000, v28
	v_cndmask_b32_e32 v28, v28, v38, vcc_lo
	v_and_b32_e32 v30, 0xffff, v6
	v_lshrrev_b32_e32 v6, 16, v6
	v_and_b32_e32 v34, 0xffff, v3
	v_lshrrev_b32_e32 v3, 16, v3
	v_mul_f32_e32 v13, v13, v28
	v_mul_f32_e32 v11, v11, v28
	v_cvt_f32_u32_e32 v30, v30
	v_cvt_f32_u32_e32 v6, v6
	;; [unrolled: 1-line block ×3, first 2 shown]
	v_mul_f32_e32 v38, v14, v28
	v_mul_f32_e32 v16, v16, v28
	;; [unrolled: 1-line block ×3, first 2 shown]
	v_and_b32_e32 v36, 0xffff, v4
	v_mul_f32_e32 v25, v25, v28
	v_mul_f32_e32 v26, v26, v28
	;; [unrolled: 1-line block ×4, first 2 shown]
	v_lshrrev_b32_e32 v4, 16, v4
	v_mul_f32_e32 v6, v25, v3
	v_mul_f32_e32 v40, v18, v28
	;; [unrolled: 1-line block ×4, first 2 shown]
	v_cvt_f32_u32_e32 v36, v36
	v_and_b32_e32 v22, 0x7fffffff, v14
	v_cvt_f32_u32_e32 v34, v34
	v_cvt_f32_u32_e32 v4, v4
	v_and_b32_e32 v25, 0x7fffffff, v18
	v_mul_f32_e32 v3, v26, v36
	v_mul_f32_e32 v12, v12, v28
	v_and_b32_e32 v32, 0xffff, v8
	v_lshrrev_b32_e32 v8, 16, v8
	v_mul_f32_e32 v42, v21, v28
	v_mul_f32_e32 v15, v15, v28
	;; [unrolled: 1-line block ×4, first 2 shown]
	v_cvt_f32_u32_e32 v8, v8
	v_mul_f32_e32 v41, v20, v28
	v_mul_f32_e32 v21, v12, v29
	v_cvt_f32_u32_e32 v32, v32
	v_mul_f32_e32 v12, v42, v1
	v_mul_f32_e32 v20, v11, v5
	v_dual_mul_f32 v24, v24, v28 :: v_dual_mul_f32 v17, v15, v31
	v_mul_f32_e32 v27, v27, v28
	v_mul_f32_e32 v15, v39, v32
	;; [unrolled: 1-line block ×3, first 2 shown]
	v_and_b32_e32 v29, 0x7fffffff, v12
	v_dual_mul_f32 v16, v40, v8 :: v_dual_and_b32 v33, 0x7fffffff, v6
	v_dual_mul_f32 v8, v23, v2 :: v_dual_and_b32 v1, 0x7fffffff, v21
	v_and_b32_e32 v2, 0x7fffffff, v20
	;;#ASMSTART
	v_max3_f32 v1, v37, v1, v2

	;;#ASMEND
	v_dual_mul_f32 v5, v24, v34 :: v_dual_and_b32 v24, 0x7fffffff, v17
	v_dual_mul_f32 v4, v27, v4 :: v_dual_and_b32 v23, 0x7fffffff, v13
	;;#ASMSTART
	v_max3_f32 v1, v1, v22, v23

	;;#ASMEND
	;;#ASMSTART
	v_max3_f32 v1, v1, v24, v25

	;;#ASMEND
	v_and_b32_e32 v26, 0x7fffffff, v15
	v_and_b32_e32 v27, 0x7fffffff, v16
	;;#ASMSTART
	v_max3_f32 v1, v1, v26, v27

	;;#ASMEND
	v_and_b32_e32 v28, 0x7fffffff, v11
	;;#ASMSTART
	v_max3_f32 v1, v1, v28, v29

	;;#ASMEND
	v_and_b32_e32 v30, 0x7fffffff, v7
	v_and_b32_e32 v31, 0x7fffffff, v8
	;;#ASMSTART
	v_max3_f32 v1, v1, v30, v31

	;;#ASMEND
	v_and_b32_e32 v32, 0x7fffffff, v5
	v_and_b32_e32 v34, 0x7fffffff, v3
	;; [unrolled: 1-line block ×3, first 2 shown]
	;;#ASMSTART
	v_max3_f32 v1, v1, v32, v33

	;;#ASMEND
	;;#ASMSTART
	v_max3_f32 v22, v1, v34, v35

	;;#ASMEND
	s_cbranch_scc0 .LBB58_10
; %bb.4:
	s_ashr_i32 s11, s18, 31
	s_delay_alu instid0(SALU_CYCLE_1) | instskip(NEXT) | instid1(SALU_CYCLE_1)
	s_lshr_b32 s1, s11, 28
	s_add_i32 s1, s18, s1
	s_delay_alu instid0(SALU_CYCLE_1) | instskip(NEXT) | instid1(SALU_CYCLE_1)
	s_ashr_i32 s1, s1, 4
	s_cmp_lt_i32 s1, 8
	s_cbranch_scc1 .LBB58_11
; %bb.5:
	s_cmp_lt_i32 s1, 16
	s_cbranch_scc1 .LBB58_12
; %bb.6:
	;; [unrolled: 3-line block ×3, first 2 shown]
	v_mov_b32_e32 v1, v22
	s_cmp_eq_u32 s1, 32
	s_cbranch_scc0 .LBB58_9
; %bb.8:
	s_delay_alu instid0(VALU_DEP_1) | instskip(SKIP_1) | instid1(VALU_DEP_1)
	v_mov_b32_dpp v1, v22 quad_perm:[1,0,3,2] row_mask:0xf bank_mask:0xf
	s_mov_b32 s6, 0x76543210
	v_cmp_gt_f32_e32 vcc_lo, v22, v1
	v_cndmask_b32_e32 v1, v1, v22, vcc_lo
	s_delay_alu instid0(VALU_DEP_1) | instskip(NEXT) | instid1(VALU_DEP_1)
	v_mov_b32_dpp v2, v1 quad_perm:[2,3,0,1] row_mask:0xf bank_mask:0xf
	v_cmp_gt_f32_e32 vcc_lo, v1, v2
	v_cndmask_b32_e32 v1, v2, v1, vcc_lo
	s_delay_alu instid0(VALU_DEP_1) | instskip(NEXT) | instid1(VALU_DEP_1)
	v_mov_b32_dpp v2, v1 row_xmask:7 row_mask:0xf bank_mask:0xf
	v_cmp_gt_f32_e32 vcc_lo, v1, v2
	v_cndmask_b32_e32 v1, v2, v1, vcc_lo
	s_delay_alu instid0(VALU_DEP_1) | instskip(NEXT) | instid1(VALU_DEP_1)
	v_mov_b32_dpp v2, v1 row_xmask:15 row_mask:0xf bank_mask:0xf
	v_cmp_gt_f32_e32 vcc_lo, v1, v2
	v_cndmask_b32_e32 v1, v2, v1, vcc_lo
	s_delay_alu instid0(VALU_DEP_1) | instskip(NEXT) | instid1(VALU_DEP_1)
	v_permlanex16_b32 v2, v1, s6, 0xfedcba98 op_sel:[1,1]
	v_cmp_gt_f32_e32 vcc_lo, v1, v2
	v_cndmask_b32_e32 v1, v2, v1, vcc_lo
.LBB58_9:
	s_mov_b32 s6, 0
	s_branch .LBB58_14
.LBB58_10:
	s_mov_b32 s1, 0
                                        ; implicit-def: $vgpr19
                                        ; implicit-def: $vgpr1_vgpr2
	s_and_b32 vcc_lo, exec_lo, s31
	s_cbranch_vccnz .LBB58_38
	s_branch .LBB58_41
.LBB58_11:
                                        ; implicit-def: $vgpr1
	s_branch .LBB58_21
.LBB58_12:
                                        ; implicit-def: $vgpr1
	s_branch .LBB58_18
.LBB58_13:
	s_mov_b32 s6, -1
                                        ; implicit-def: $vgpr1
.LBB58_14:
	s_delay_alu instid0(SALU_CYCLE_1)
	s_and_not1_b32 vcc_lo, exec_lo, s6
	s_cbranch_vccnz .LBB58_17
; %bb.15:
	v_mov_b32_e32 v1, v22
	s_cmp_eq_u32 s1, 16
	s_cbranch_scc0 .LBB58_17
; %bb.16:
	s_delay_alu instid0(VALU_DEP_1) | instskip(NEXT) | instid1(VALU_DEP_1)
	v_mov_b32_dpp v1, v22 quad_perm:[1,0,3,2] row_mask:0xf bank_mask:0xf
	v_cmp_gt_f32_e32 vcc_lo, v22, v1
	v_cndmask_b32_e32 v1, v1, v22, vcc_lo
	s_delay_alu instid0(VALU_DEP_1) | instskip(NEXT) | instid1(VALU_DEP_1)
	v_mov_b32_dpp v2, v1 quad_perm:[2,3,0,1] row_mask:0xf bank_mask:0xf
	v_cmp_gt_f32_e32 vcc_lo, v1, v2
	v_cndmask_b32_e32 v1, v2, v1, vcc_lo
	s_delay_alu instid0(VALU_DEP_1) | instskip(NEXT) | instid1(VALU_DEP_1)
	v_mov_b32_dpp v2, v1 row_half_mirror row_mask:0xf bank_mask:0xf
	v_cmp_gt_f32_e32 vcc_lo, v1, v2
	v_cndmask_b32_e32 v1, v2, v1, vcc_lo
	s_delay_alu instid0(VALU_DEP_1) | instskip(NEXT) | instid1(VALU_DEP_1)
	v_mov_b32_dpp v2, v1 row_mirror row_mask:0xf bank_mask:0xf
	v_cmp_gt_f32_e32 vcc_lo, v1, v2
	v_cndmask_b32_e32 v1, v2, v1, vcc_lo
.LBB58_17:
	s_cbranch_execnz .LBB58_20
.LBB58_18:
	v_mov_b32_e32 v1, v22
	s_cmp_eq_u32 s1, 8
	s_cbranch_scc0 .LBB58_20
; %bb.19:
	s_delay_alu instid0(VALU_DEP_1) | instskip(NEXT) | instid1(VALU_DEP_1)
	v_mov_b32_dpp v1, v22 quad_perm:[1,0,3,2] row_mask:0xf bank_mask:0xf
	v_cmp_gt_f32_e32 vcc_lo, v22, v1
	v_cndmask_b32_e32 v1, v1, v22, vcc_lo
	s_delay_alu instid0(VALU_DEP_1) | instskip(NEXT) | instid1(VALU_DEP_1)
	v_mov_b32_dpp v2, v1 quad_perm:[2,3,0,1] row_mask:0xf bank_mask:0xf
	v_cmp_gt_f32_e32 vcc_lo, v1, v2
	v_cndmask_b32_e32 v1, v2, v1, vcc_lo
	s_delay_alu instid0(VALU_DEP_1) | instskip(NEXT) | instid1(VALU_DEP_1)
	v_mov_b32_dpp v2, v1 row_half_mirror row_mask:0xf bank_mask:0xf
	v_cmp_gt_f32_e32 vcc_lo, v1, v2
	v_cndmask_b32_e32 v1, v2, v1, vcc_lo
.LBB58_20:
	s_cbranch_execnz .LBB58_28
.LBB58_21:
	s_cmp_lt_i32 s1, 4
	s_cbranch_scc1 .LBB58_24
; %bb.22:
	v_mov_b32_e32 v1, v22
	s_cmp_eq_u32 s1, 4
	s_cbranch_scc0 .LBB58_25
; %bb.23:
	s_delay_alu instid0(VALU_DEP_1) | instskip(NEXT) | instid1(VALU_DEP_1)
	v_mov_b32_dpp v1, v22 quad_perm:[1,0,3,2] row_mask:0xf bank_mask:0xf
	v_cmp_gt_f32_e32 vcc_lo, v22, v1
	v_cndmask_b32_e32 v1, v1, v22, vcc_lo
	s_delay_alu instid0(VALU_DEP_1) | instskip(NEXT) | instid1(VALU_DEP_1)
	v_mov_b32_dpp v2, v1 quad_perm:[2,3,0,1] row_mask:0xf bank_mask:0xf
	v_cmp_gt_f32_e32 vcc_lo, v1, v2
	v_cndmask_b32_e32 v1, v2, v1, vcc_lo
	s_cbranch_execz .LBB58_26
	s_branch .LBB58_28
.LBB58_24:
                                        ; implicit-def: $vgpr1
	s_branch .LBB58_26
.LBB58_25:
	s_cbranch_execnz .LBB58_28
.LBB58_26:
	v_mov_b32_e32 v1, v22
	s_cmp_lg_u32 s1, 2
	s_cbranch_scc1 .LBB58_28
; %bb.27:
	s_delay_alu instid0(VALU_DEP_1) | instskip(NEXT) | instid1(VALU_DEP_1)
	v_mov_b32_dpp v1, v22 quad_perm:[1,0,3,2] row_mask:0xf bank_mask:0xf
	v_cmp_gt_f32_e32 vcc_lo, v22, v1
	v_cndmask_b32_e32 v1, v1, v22, vcc_lo
.LBB58_28:
	v_cvt_f32_u32_e32 v2, s1
	s_sub_i32 s6, 0, s1
	s_mov_b32 s31, 0
	s_delay_alu instid0(VALU_DEP_1) | instskip(SKIP_2) | instid1(VALU_DEP_1)
	v_rcp_iflag_f32_e32 v2, v2
	s_waitcnt_depctr 0xfff
	v_mul_f32_e32 v2, 0x4f7ffffe, v2
	v_cvt_u32_f32_e32 v2, v2
	s_delay_alu instid0(VALU_DEP_1) | instskip(NEXT) | instid1(VALU_DEP_1)
	v_mul_lo_u32 v23, s6, v2
	v_mul_hi_u32 v23, v2, v23
	s_delay_alu instid0(VALU_DEP_1) | instskip(NEXT) | instid1(VALU_DEP_1)
	v_add_nc_u32_e32 v2, v2, v23
	v_mul_hi_u32 v2, v0, v2
	s_delay_alu instid0(VALU_DEP_1) | instskip(SKIP_1) | instid1(VALU_DEP_2)
	v_mul_lo_u32 v23, v2, s1
	v_add_nc_u32_e32 v24, 1, v2
	v_sub_nc_u32_e32 v23, v0, v23
	s_delay_alu instid0(VALU_DEP_1) | instskip(SKIP_1) | instid1(VALU_DEP_2)
	v_subrev_nc_u32_e32 v25, s1, v23
	v_cmp_le_u32_e32 vcc_lo, s1, v23
	v_dual_cndmask_b32 v2, v2, v24 :: v_dual_cndmask_b32 v23, v23, v25
	s_delay_alu instid0(VALU_DEP_1) | instskip(NEXT) | instid1(VALU_DEP_2)
	v_add_nc_u32_e32 v24, 1, v2
	v_cmp_le_u32_e32 vcc_lo, s1, v23
	s_delay_alu instid0(VALU_DEP_2) | instskip(SKIP_2) | instid1(VALU_DEP_3)
	v_cndmask_b32_e32 v23, v2, v24, vcc_lo
	v_cmp_gt_u32_e32 vcc_lo, s13, v19
	v_mul_f32_e32 v19, 0x3c010204, v1
	v_mul_lo_u32 v2, v23, s1
	s_delay_alu instid0(VALU_DEP_1) | instskip(NEXT) | instid1(VALU_DEP_1)
	v_sub_nc_u32_e32 v2, v0, v2
	v_cmp_eq_u32_e64 s1, 0, v2
                                        ; implicit-def: $vgpr1_vgpr2
	s_delay_alu instid0(VALU_DEP_1) | instskip(SKIP_2) | instid1(SALU_CYCLE_1)
	s_and_b32 s6, s1, vcc_lo
	s_mov_b32 s1, 0
	s_and_saveexec_b32 s7, s6
	s_xor_b32 s16, exec_lo, s7
	s_cbranch_execz .LBB58_37
; %bb.29:
	s_bitcmp0_b32 s19, 0
	s_mov_b32 s10, 0
	s_cbranch_scc0 .LBB58_34
; %bb.30:
	s_ashr_i32 s1, s13, 31
	s_mul_hi_u32 s7, s13, s2
	s_mul_i32 s1, s1, s2
	s_mul_i32 s6, s13, s2
	s_add_i32 s7, s7, s1
	s_mov_b32 s19, s11
	s_delay_alu instid0(SALU_CYCLE_1) | instskip(NEXT) | instid1(SALU_CYCLE_1)
	s_or_b64 s[14:15], s[6:7], s[18:19]
	s_mov_b32 s11, s15
	s_delay_alu instid0(SALU_CYCLE_1)
	s_cmp_lg_u64 s[10:11], 0
	s_cbranch_scc0 .LBB58_45
; %bb.31:
	s_add_u32 s14, s18, s19
	s_mov_b32 s10, s19
	s_mov_b32 s11, s19
	s_addc_u32 s15, s19, s19
	s_delay_alu instid0(SALU_CYCLE_1) | instskip(NEXT) | instid1(SALU_CYCLE_1)
	s_xor_b64 s[14:15], s[14:15], s[10:11]
	v_cvt_f32_u32_e32 v1, s14
	v_cvt_f32_u32_e32 v2, s15
	s_sub_u32 s20, 0, s14
	s_subb_u32 s21, 0, s15
	s_delay_alu instid0(VALU_DEP_1) | instskip(NEXT) | instid1(VALU_DEP_1)
	v_fmamk_f32 v1, v2, 0x4f800000, v1
	v_rcp_f32_e32 v1, v1
	s_waitcnt_depctr 0xfff
	v_mul_f32_e32 v1, 0x5f7ffffc, v1
	s_delay_alu instid0(VALU_DEP_1) | instskip(NEXT) | instid1(VALU_DEP_1)
	v_mul_f32_e32 v2, 0x2f800000, v1
	v_trunc_f32_e32 v2, v2
	s_delay_alu instid0(VALU_DEP_1) | instskip(SKIP_1) | instid1(VALU_DEP_2)
	v_fmamk_f32 v1, v2, 0xcf800000, v1
	v_cvt_u32_f32_e32 v2, v2
	v_cvt_u32_f32_e32 v1, v1
	s_delay_alu instid0(VALU_DEP_2) | instskip(NEXT) | instid1(VALU_DEP_2)
	v_readfirstlane_b32 s1, v2
	v_readfirstlane_b32 s19, v1
	s_delay_alu instid0(VALU_DEP_2) | instskip(NEXT) | instid1(VALU_DEP_1)
	s_mul_i32 s22, s20, s1
	s_mul_hi_u32 s24, s20, s19
	s_mul_i32 s23, s21, s19
	s_add_i32 s22, s24, s22
	s_mul_i32 s25, s20, s19
	s_add_i32 s22, s22, s23
	s_mul_hi_u32 s24, s19, s25
	s_mul_hi_u32 s26, s1, s25
	s_mul_i32 s23, s1, s25
	s_mul_hi_u32 s25, s19, s22
	s_mul_i32 s19, s19, s22
	s_mul_hi_u32 s27, s1, s22
	s_add_u32 s19, s24, s19
	s_addc_u32 s24, 0, s25
	s_add_u32 s19, s19, s23
	s_mul_i32 s22, s1, s22
	s_addc_u32 s19, s24, s26
	s_addc_u32 s23, s27, 0
	s_add_u32 s19, s19, s22
	s_addc_u32 s22, 0, s23
	v_add_co_u32 v1, s19, v1, s19
	s_delay_alu instid0(VALU_DEP_1) | instskip(SKIP_1) | instid1(VALU_DEP_1)
	s_cmp_lg_u32 s19, 0
	s_addc_u32 s1, s1, s22
	v_readfirstlane_b32 s19, v1
	s_mul_i32 s22, s20, s1
	s_delay_alu instid0(VALU_DEP_1)
	s_mul_hi_u32 s23, s20, s19
	s_mul_i32 s21, s21, s19
	s_add_i32 s22, s23, s22
	s_mul_i32 s20, s20, s19
	s_add_i32 s22, s22, s21
	s_mul_hi_u32 s23, s1, s20
	s_mul_i32 s24, s1, s20
	s_mul_hi_u32 s20, s19, s20
	s_mul_hi_u32 s25, s19, s22
	s_mul_i32 s19, s19, s22
	s_mul_hi_u32 s21, s1, s22
	s_add_u32 s19, s20, s19
	s_addc_u32 s20, 0, s25
	s_add_u32 s19, s19, s24
	s_mul_i32 s22, s1, s22
	s_addc_u32 s19, s20, s23
	s_addc_u32 s20, s21, 0
	s_add_u32 s19, s19, s22
	s_addc_u32 s20, 0, s20
	v_add_co_u32 v1, s19, v1, s19
	s_delay_alu instid0(VALU_DEP_1) | instskip(SKIP_2) | instid1(SALU_CYCLE_1)
	s_cmp_lg_u32 s19, 0
	s_addc_u32 s1, s1, s20
	s_ashr_i32 s20, s7, 31
	s_add_u32 s22, s6, s20
	s_addc_u32 s23, s7, s20
	v_readfirstlane_b32 s7, v1
	s_mov_b32 s21, s20
	s_delay_alu instid0(SALU_CYCLE_1) | instskip(NEXT) | instid1(SALU_CYCLE_1)
	s_xor_b64 s[22:23], s[22:23], s[20:21]
	s_mul_i32 s24, s22, s1
	s_delay_alu instid0(VALU_DEP_1)
	s_mul_hi_u32 s25, s22, s7
	s_mul_hi_u32 s19, s22, s1
	;; [unrolled: 1-line block ×3, first 2 shown]
	s_mul_i32 s7, s23, s7
	s_add_u32 s24, s25, s24
	s_addc_u32 s19, 0, s19
	s_mul_hi_u32 s26, s23, s1
	s_add_u32 s7, s24, s7
	s_mul_i32 s1, s23, s1
	s_addc_u32 s7, s19, s27
	s_addc_u32 s19, s26, 0
	s_add_u32 s7, s7, s1
	s_addc_u32 s19, 0, s19
	s_mul_i32 s26, s14, s7
	s_mul_hi_u32 s1, s14, s7
	s_mul_i32 s25, s14, s19
	v_sub_co_u32 v1, s22, s22, s26
	s_mul_i32 s24, s15, s7
	s_add_i32 s1, s1, s25
	s_delay_alu instid0(SALU_CYCLE_1) | instskip(NEXT) | instid1(VALU_DEP_1)
	s_add_i32 s1, s1, s24
	v_sub_co_u32 v2, s25, v1, s14
	s_sub_i32 s24, s23, s1
	s_cmp_lg_u32 s22, 0
	s_subb_u32 s24, s24, s15
	s_cmp_lg_u32 s25, 0
	v_cmp_le_u32_e32 vcc_lo, s14, v2
	s_subb_u32 s24, s24, 0
	s_delay_alu instid0(SALU_CYCLE_1)
	s_cmp_ge_u32 s24, s15
	v_cndmask_b32_e64 v2, 0, -1, vcc_lo
	s_cselect_b32 s25, -1, 0
	s_cmp_eq_u32 s24, s15
	s_cselect_b32 vcc_lo, -1, 0
	s_add_u32 s24, s7, 1
	v_cndmask_b32_e32 v2, s25, v2, vcc_lo
	s_addc_u32 s25, s19, 0
	s_add_u32 s26, s7, 2
	s_addc_u32 s27, s19, 0
	s_cmp_lg_u32 s22, 0
	v_cmp_le_u32_e32 vcc_lo, s14, v1
	s_subb_u32 s1, s23, s1
	v_mov_b32_e32 v24, s26
	s_cmp_ge_u32 s1, s15
	v_cndmask_b32_e64 v1, 0, -1, vcc_lo
	s_cselect_b32 s14, -1, 0
	s_cmp_eq_u32 s1, s15
	v_cmp_ne_u32_e32 vcc_lo, 0, v2
	v_mov_b32_e32 v2, s27
	s_cselect_b32 s1, -1, 0
	s_xor_b64 s[10:11], s[20:21], s[10:11]
	v_cndmask_b32_e64 v1, s14, v1, s1
	v_cndmask_b32_e32 v24, s24, v24, vcc_lo
	v_cndmask_b32_e32 v2, s25, v2, vcc_lo
	s_delay_alu instid0(VALU_DEP_3) | instskip(NEXT) | instid1(VALU_DEP_2)
	v_cmp_ne_u32_e32 vcc_lo, 0, v1
	v_cndmask_b32_e32 v1, s19, v2, vcc_lo
	s_delay_alu instid0(VALU_DEP_4) | instskip(NEXT) | instid1(VALU_DEP_2)
	v_cndmask_b32_e32 v2, s7, v24, vcc_lo
	v_xor_b32_e32 v24, s11, v1
	s_delay_alu instid0(VALU_DEP_2) | instskip(NEXT) | instid1(VALU_DEP_1)
	v_xor_b32_e32 v2, s10, v2
	v_sub_co_u32 v1, vcc_lo, v2, s10
	s_delay_alu instid0(VALU_DEP_3)
	v_subrev_co_ci_u32_e32 v2, vcc_lo, s11, v24, vcc_lo
	s_cbranch_execnz .LBB58_33
.LBB58_32:
	v_cvt_f32_u32_e32 v1, s18
	s_sub_i32 s7, 0, s18
	s_delay_alu instid0(VALU_DEP_1) | instskip(SKIP_2) | instid1(VALU_DEP_1)
	v_rcp_iflag_f32_e32 v1, v1
	s_waitcnt_depctr 0xfff
	v_mul_f32_e32 v1, 0x4f7ffffe, v1
	v_cvt_u32_f32_e32 v1, v1
	s_delay_alu instid0(VALU_DEP_1) | instskip(NEXT) | instid1(VALU_DEP_1)
	v_readfirstlane_b32 s1, v1
	s_mul_i32 s7, s7, s1
	s_delay_alu instid0(SALU_CYCLE_1) | instskip(NEXT) | instid1(SALU_CYCLE_1)
	s_mul_hi_u32 s7, s1, s7
	s_add_i32 s1, s1, s7
	s_delay_alu instid0(SALU_CYCLE_1) | instskip(NEXT) | instid1(SALU_CYCLE_1)
	s_mul_hi_u32 s1, s6, s1
	s_mul_i32 s7, s1, s18
	s_delay_alu instid0(SALU_CYCLE_1)
	s_sub_i32 s6, s6, s7
	s_add_i32 s7, s1, 1
	s_sub_i32 s10, s6, s18
	s_cmp_ge_u32 s6, s18
	s_cselect_b32 s1, s7, s1
	s_cselect_b32 s6, s10, s6
	s_add_i32 s10, s1, 1
	s_cmp_ge_u32 s6, s18
	s_mov_b32 s7, 0
	s_cselect_b32 s6, s10, s1
	s_delay_alu instid0(SALU_CYCLE_1)
	v_dual_mov_b32 v1, s6 :: v_dual_mov_b32 v2, s7
.LBB58_33:
	s_delay_alu instid0(VALU_DEP_1) | instskip(NEXT) | instid1(VALU_DEP_2)
	v_add_co_u32 v1, vcc_lo, v1, v23
	v_add_co_ci_u32_e32 v2, vcc_lo, 0, v2, vcc_lo
	s_branch .LBB58_36
.LBB58_34:
                                        ; implicit-def: $vgpr1_vgpr2
	s_cbranch_execz .LBB58_36
; %bb.35:
	v_mul_lo_u32 v1, v23, s12
	s_delay_alu instid0(VALU_DEP_1) | instskip(SKIP_1) | instid1(VALU_DEP_2)
	v_ashrrev_i32_e32 v2, 31, v1
	v_add_co_u32 v1, vcc_lo, v1, s2
	v_add_co_ci_u32_e32 v2, vcc_lo, 0, v2, vcc_lo
.LBB58_36:
	s_mov_b32 s1, exec_lo
.LBB58_37:
	s_or_b32 exec_lo, exec_lo, s16
	s_delay_alu instid0(SALU_CYCLE_1)
	s_and_b32 vcc_lo, exec_lo, s31
	s_cbranch_vccz .LBB58_41
.LBB58_38:
	v_mov_b32_dpp v1, v22 quad_perm:[1,0,3,2] row_mask:0xf bank_mask:0xf
	s_delay_alu instid0(VALU_DEP_1) | instskip(SKIP_1) | instid1(VALU_DEP_1)
	v_cmp_gt_f32_e32 vcc_lo, v22, v1
	v_cndmask_b32_e32 v1, v1, v22, vcc_lo
	v_mov_b32_dpp v2, v1 quad_perm:[2,3,0,1] row_mask:0xf bank_mask:0xf
	s_delay_alu instid0(VALU_DEP_1) | instskip(SKIP_1) | instid1(VALU_DEP_1)
	v_cmp_gt_f32_e32 vcc_lo, v1, v2
	v_cndmask_b32_e32 v1, v2, v1, vcc_lo
	v_mov_b32_dpp v2, v1 row_xmask:7 row_mask:0xf bank_mask:0xf
	s_delay_alu instid0(VALU_DEP_1) | instskip(SKIP_1) | instid1(VALU_DEP_1)
	v_cmp_gt_f32_e32 vcc_lo, v1, v2
	v_cndmask_b32_e32 v1, v2, v1, vcc_lo
	v_mov_b32_dpp v2, v1 row_xmask:15 row_mask:0xf bank_mask:0xf
	s_delay_alu instid0(VALU_DEP_1)
	v_cmp_gt_f32_e32 vcc_lo, v1, v2
	s_and_saveexec_b32 s1, s0
	s_cbranch_execz .LBB58_40
; %bb.39:
	v_cndmask_b32_e32 v1, v2, v1, vcc_lo
	v_lshrrev_b32_e32 v2, 3, v0
	s_mov_b32 s0, 0x76543210
	s_delay_alu instid0(VALU_DEP_1) | instskip(NEXT) | instid1(VALU_DEP_3)
	v_and_b32_e32 v2, 0x7c, v2
	v_permlanex16_b32 v19, v1, s0, 0xfedcba98 op_sel:[1,1]
	s_delay_alu instid0(VALU_DEP_1)
	v_cmp_gt_f32_e32 vcc_lo, v1, v19
	v_cndmask_b32_e32 v1, v19, v1, vcc_lo
	ds_store_b32 v2, v1
.LBB58_40:
	s_or_b32 exec_lo, exec_lo, s1
	s_waitcnt lgkmcnt(0)
	s_barrier
	buffer_gl0_inv
	ds_load_b32 v1, v10
	v_cmp_eq_u32_e64 s1, 0, v0
	s_waitcnt lgkmcnt(0)
	v_mov_b32_dpp v2, v1 quad_perm:[1,0,3,2] row_mask:0xf bank_mask:0xf
	s_delay_alu instid0(VALU_DEP_1) | instskip(SKIP_1) | instid1(VALU_DEP_1)
	v_cmp_gt_f32_e32 vcc_lo, v1, v2
	v_cndmask_b32_e32 v1, v2, v1, vcc_lo
	v_mov_b32_dpp v2, v1 quad_perm:[2,3,0,1] row_mask:0xf bank_mask:0xf
	s_delay_alu instid0(VALU_DEP_1) | instskip(SKIP_1) | instid1(VALU_DEP_1)
	v_cmp_gt_f32_e32 vcc_lo, v1, v2
	v_cndmask_b32_e32 v1, v2, v1, vcc_lo
	v_mov_b32_dpp v2, v1 row_xmask:7 row_mask:0xf bank_mask:0xf
	s_delay_alu instid0(VALU_DEP_1) | instskip(SKIP_1) | instid1(VALU_DEP_1)
	v_cmp_gt_f32_e32 vcc_lo, v1, v2
	v_cndmask_b32_e32 v1, v2, v1, vcc_lo
	v_mov_b32_dpp v2, v1 row_xmask:15 row_mask:0xf bank_mask:0xf
	s_delay_alu instid0(VALU_DEP_1) | instskip(SKIP_1) | instid1(VALU_DEP_1)
	v_cmp_gt_f32_e32 vcc_lo, v1, v2
	v_cndmask_b32_e32 v1, v2, v1, vcc_lo
	v_mul_f32_e32 v19, 0x3c010204, v1
	v_dual_mov_b32 v1, s2 :: v_dual_mov_b32 v2, s3
.LBB58_41:
	s_and_saveexec_b32 s0, s1
	s_cbranch_execz .LBB58_43
; %bb.42:
	s_delay_alu instid0(VALU_DEP_1) | instskip(NEXT) | instid1(VALU_DEP_1)
	v_lshlrev_b64 v[0:1], 2, v[1:2]
	v_add_co_u32 v0, vcc_lo, s8, v0
	s_delay_alu instid0(VALU_DEP_2)
	v_add_co_ci_u32_e32 v1, vcc_lo, s9, v1, vcc_lo
	global_store_b32 v[0:1], v19, off
.LBB58_43:
	s_or_b32 exec_lo, exec_lo, s0
	;;#ASMSTART
	v_rcp_f32 v0, v19
	;;#ASMEND
	v_mul_f32_e32 v16, v16, v0
	v_mul_f32_e32 v15, v15, v0
	;; [unrolled: 1-line block ×5, first 2 shown]
	v_cvt_i32_f32_e32 v16, v16
	v_cvt_i32_f32_e32 v15, v15
	v_mul_f32_e32 v10, v18, v0
	v_cvt_i32_f32_e32 v11, v11
	v_mul_f32_e32 v6, v6, v0
	v_lshlrev_b16 v16, 8, v16
	v_and_b32_e32 v15, 0xff, v15
	v_cvt_i32_f32_e32 v10, v10
	v_and_b32_e32 v11, 0xff, v11
	v_cvt_i32_f32_e32 v6, v6
	v_cvt_i32_f32_e32 v5, v5
	v_or_b32_e32 v15, v15, v16
	v_mul_f32_e32 v17, v17, v0
	v_lshlrev_b16 v10, 8, v10
	s_delay_alu instid0(VALU_DEP_4) | instskip(SKIP_1) | instid1(VALU_DEP_4)
	v_dual_mul_f32 v8, v8, v0 :: v_dual_and_b32 v5, 0xff, v5
	v_lshlrev_b16 v6, 8, v6
	v_cvt_i32_f32_e32 v17, v17
	v_mul_f32_e32 v2, v20, v0
	v_mul_f32_e32 v13, v13, v0
	;; [unrolled: 1-line block ×3, first 2 shown]
	v_or_b32_e32 v5, v5, v6
	v_and_b32_e32 v17, 0xff, v17
	v_cvt_i32_f32_e32 v2, v2
	s_add_i32 s0, s13, 3
	s_ashr_i32 s1, s17, 31
	s_ashr_i32 s3, s0, 31
	v_or_b32_e32 v10, v17, v10
	v_mul_f32_e32 v1, v21, v0
	v_lshlrev_b16 v2, 8, v2
	s_lshr_b32 s3, s3, 30
	s_mul_hi_u32 s6, s17, s2
	s_add_i32 s0, s0, s3
	v_cvt_i32_f32_e32 v1, v1
	s_mul_i32 s1, s1, s2
	s_mul_i32 s7, s17, s2
	s_and_b32 s2, s0, -4
	s_add_i32 s6, s6, s1
	v_and_b32_e32 v1, 0xff, v1
	s_add_u32 s0, s4, s7
	s_addc_u32 s1, s5, s6
	s_mov_b32 s3, -1
	s_and_b32 s1, s1, 0xffff
	v_or_b32_e32 v1, v1, v2
	v_and_b32_e32 v2, 0xffff, v10
	v_mul_f32_e32 v14, v14, v0
	v_lshlrev_b32_e32 v10, 16, v15
	v_and_b32_e32 v5, 0xffff, v5
	v_and_b32_e32 v15, 0xffff, v1
	s_movk_i32 s4, 0x100
	v_cvt_i32_f32_e32 v14, v14
	v_mul_f32_e32 v12, v12, v0
	v_mul_f32_e32 v0, v3, v0
	v_cvt_i32_f32_e32 v3, v7
	v_cvt_i32_f32_e32 v7, v8
	s_delay_alu instid0(VALU_DEP_4) | instskip(NEXT) | instid1(VALU_DEP_4)
	v_cvt_i32_f32_e32 v12, v12
	v_cvt_i32_f32_e32 v0, v0
	s_delay_alu instid0(VALU_DEP_4) | instskip(SKIP_4) | instid1(VALU_DEP_4)
	v_and_b32_e32 v3, 0xff, v3
	v_cvt_i32_f32_e32 v4, v4
	v_lshlrev_b16 v7, 8, v7
	v_lshlrev_b16 v8, 8, v12
	v_and_b32_e32 v0, 0xff, v0
	v_lshlrev_b16 v4, 8, v4
	s_delay_alu instid0(VALU_DEP_4) | instskip(NEXT) | instid1(VALU_DEP_2)
	v_or_b32_e32 v3, v3, v7
	v_or_b32_e32 v0, v0, v4
	;; [unrolled: 1-line block ×3, first 2 shown]
	s_delay_alu instid0(VALU_DEP_3) | instskip(SKIP_1) | instid1(VALU_DEP_4)
	v_lshlrev_b32_e32 v8, 16, v3
	v_cvt_i32_f32_e32 v13, v13
	v_lshlrev_b32_e32 v7, 16, v0
	s_delay_alu instid0(VALU_DEP_4) | instskip(NEXT) | instid1(VALU_DEP_3)
	v_and_b32_e32 v4, 0xffff, v4
	v_lshlrev_b16 v1, 8, v13
	v_and_b32_e32 v13, 0xff, v14
	s_delay_alu instid0(VALU_DEP_4) | instskip(NEXT) | instid1(VALU_DEP_2)
	v_or_b32_e32 v3, v5, v7
	v_or_b32_e32 v1, v13, v1
	s_delay_alu instid0(VALU_DEP_1) | instskip(SKIP_2) | instid1(VALU_DEP_3)
	v_lshlrev_b32_e32 v6, 16, v1
	v_or_b32_e32 v1, v2, v10
	v_or_b32_e32 v2, v4, v8
	;; [unrolled: 1-line block ×3, first 2 shown]
	buffer_store_b64 v[0:1], v9, s[0:3], 0 offen
	;;#ASMSTART
	s_nop 0
	;;#ASMEND
	buffer_store_b64 v[2:3], v9, s[0:3], s4 offen
	;;#ASMSTART
	s_nop 0
	;;#ASMEND
.LBB58_44:
	s_nop 0
	s_sendmsg sendmsg(MSG_DEALLOC_VGPRS)
	s_endpgm
.LBB58_45:
                                        ; implicit-def: $vgpr1_vgpr2
	s_branch .LBB58_32
	.section	.rodata,"a",@progbits
	.p2align	6, 0x0
	.amdhsa_kernel _ZN5aiter24add_rmsnorm_quant_kernelItaLi512ELi16ELb1ELb1ELb1ELi1EEEvPT0_PT_PfS4_S4_S4_diiiiiiib
		.amdhsa_group_segment_fixed_size 128
		.amdhsa_private_segment_fixed_size 0
		.amdhsa_kernarg_size 88
		.amdhsa_user_sgpr_count 15
		.amdhsa_user_sgpr_dispatch_ptr 0
		.amdhsa_user_sgpr_queue_ptr 0
		.amdhsa_user_sgpr_kernarg_segment_ptr 1
		.amdhsa_user_sgpr_dispatch_id 0
		.amdhsa_user_sgpr_private_segment_size 0
		.amdhsa_wavefront_size32 1
		.amdhsa_uses_dynamic_stack 0
		.amdhsa_enable_private_segment 0
		.amdhsa_system_sgpr_workgroup_id_x 1
		.amdhsa_system_sgpr_workgroup_id_y 0
		.amdhsa_system_sgpr_workgroup_id_z 0
		.amdhsa_system_sgpr_workgroup_info 0
		.amdhsa_system_vgpr_workitem_id 0
		.amdhsa_next_free_vgpr 43
		.amdhsa_next_free_sgpr 40
		.amdhsa_reserve_vcc 1
		.amdhsa_float_round_mode_32 0
		.amdhsa_float_round_mode_16_64 0
		.amdhsa_float_denorm_mode_32 3
		.amdhsa_float_denorm_mode_16_64 3
		.amdhsa_dx10_clamp 1
		.amdhsa_ieee_mode 1
		.amdhsa_fp16_overflow 0
		.amdhsa_workgroup_processor_mode 1
		.amdhsa_memory_ordered 1
		.amdhsa_forward_progress 0
		.amdhsa_shared_vgpr_count 0
		.amdhsa_exception_fp_ieee_invalid_op 0
		.amdhsa_exception_fp_denorm_src 0
		.amdhsa_exception_fp_ieee_div_zero 0
		.amdhsa_exception_fp_ieee_overflow 0
		.amdhsa_exception_fp_ieee_underflow 0
		.amdhsa_exception_fp_ieee_inexact 0
		.amdhsa_exception_int_div_zero 0
	.end_amdhsa_kernel
	.section	.text._ZN5aiter24add_rmsnorm_quant_kernelItaLi512ELi16ELb1ELb1ELb1ELi1EEEvPT0_PT_PfS4_S4_S4_diiiiiiib,"axG",@progbits,_ZN5aiter24add_rmsnorm_quant_kernelItaLi512ELi16ELb1ELb1ELb1ELi1EEEvPT0_PT_PfS4_S4_S4_diiiiiiib,comdat
.Lfunc_end58:
	.size	_ZN5aiter24add_rmsnorm_quant_kernelItaLi512ELi16ELb1ELb1ELb1ELi1EEEvPT0_PT_PfS4_S4_S4_diiiiiiib, .Lfunc_end58-_ZN5aiter24add_rmsnorm_quant_kernelItaLi512ELi16ELb1ELb1ELb1ELi1EEEvPT0_PT_PfS4_S4_S4_diiiiiiib
                                        ; -- End function
	.section	.AMDGPU.csdata,"",@progbits
; Kernel info:
; codeLenInByte = 4452
; NumSgprs: 42
; NumVgprs: 43
; ScratchSize: 0
; MemoryBound: 0
; FloatMode: 240
; IeeeMode: 1
; LDSByteSize: 128 bytes/workgroup (compile time only)
; SGPRBlocks: 5
; VGPRBlocks: 5
; NumSGPRsForWavesPerEU: 42
; NumVGPRsForWavesPerEU: 43
; Occupancy: 16
; WaveLimiterHint : 0
; COMPUTE_PGM_RSRC2:SCRATCH_EN: 0
; COMPUTE_PGM_RSRC2:USER_SGPR: 15
; COMPUTE_PGM_RSRC2:TRAP_HANDLER: 0
; COMPUTE_PGM_RSRC2:TGID_X_EN: 1
; COMPUTE_PGM_RSRC2:TGID_Y_EN: 0
; COMPUTE_PGM_RSRC2:TGID_Z_EN: 0
; COMPUTE_PGM_RSRC2:TIDIG_COMP_CNT: 0
	.section	.text._ZN5aiter24add_rmsnorm_quant_kernelIDF16_aLi512ELi16ELb1ELb1ELb0ELi1EEEvPT0_PT_PfS4_S4_S4_diiiiiiib,"axG",@progbits,_ZN5aiter24add_rmsnorm_quant_kernelIDF16_aLi512ELi16ELb1ELb1ELb0ELi1EEEvPT0_PT_PfS4_S4_S4_diiiiiiib,comdat
	.protected	_ZN5aiter24add_rmsnorm_quant_kernelIDF16_aLi512ELi16ELb1ELb1ELb0ELi1EEEvPT0_PT_PfS4_S4_S4_diiiiiiib ; -- Begin function _ZN5aiter24add_rmsnorm_quant_kernelIDF16_aLi512ELi16ELb1ELb1ELb0ELi1EEEvPT0_PT_PfS4_S4_S4_diiiiiiib
	.globl	_ZN5aiter24add_rmsnorm_quant_kernelIDF16_aLi512ELi16ELb1ELb1ELb0ELi1EEEvPT0_PT_PfS4_S4_S4_diiiiiiib
	.p2align	8
	.type	_ZN5aiter24add_rmsnorm_quant_kernelIDF16_aLi512ELi16ELb1ELb1ELb0ELi1EEEvPT0_PT_PfS4_S4_S4_diiiiiiib,@function
_ZN5aiter24add_rmsnorm_quant_kernelIDF16_aLi512ELi16ELb1ELb1ELb0ELi1EEEvPT0_PT_PfS4_S4_S4_diiiiiiib: ; @_ZN5aiter24add_rmsnorm_quant_kernelIDF16_aLi512ELi16ELb1ELb1ELb0ELi1EEEvPT0_PT_PfS4_S4_S4_diiiiiiib
; %bb.0:
	s_mov_b32 s34, s15
	s_load_b256 s[12:19], s[0:1], 0x38
	s_mov_b32 s35, 0
	s_waitcnt lgkmcnt(0)
	s_ashr_i32 s3, s12, 31
	s_mov_b32 s2, s12
	s_delay_alu instid0(SALU_CYCLE_1) | instskip(NEXT) | instid1(VALU_DEP_1)
	v_cmp_ge_i64_e64 s2, s[34:35], s[2:3]
	s_and_b32 vcc_lo, exec_lo, s2
	s_cbranch_vccnz .LBB59_44
; %bb.1:
	s_clause 0x1
	s_load_b256 s[4:11], s[0:1], 0x0
	s_load_b256 s[20:27], s[0:1], 0x20
	s_ashr_i32 s1, s14, 31
	s_mul_hi_u32 s2, s14, s34
	s_mul_i32 s1, s1, s34
	s_mul_i32 s0, s14, s34
	s_add_i32 s1, s2, s1
	s_mul_hi_u32 s3, s15, s34
	s_lshl_b64 s[0:1], s[0:1], 1
	v_lshlrev_b32_e32 v35, 5, v0
	s_mul_i32 s2, s15, s34
	s_mov_b32 s31, -1
	v_and_b32_e32 v36, 31, v0
	s_waitcnt lgkmcnt(0)
	s_add_u32 s28, s10, s0
	s_addc_u32 s0, s11, s1
	s_add_i32 s10, s13, 1
	s_ashr_i32 s11, s15, 31
	s_lshr_b32 s14, s10, 31
	s_mul_i32 s11, s11, s34
	s_add_i32 s10, s10, s14
	s_and_b32 s29, s0, 0xffff
	s_lshl_b32 s0, s10, 1
	s_add_i32 s3, s3, s11
	s_and_b32 s30, s0, -4
	s_lshl_b64 s[2:3], s[2:3], 1
	s_and_b32 s1, s23, 0xffff
	s_clause 0x1
	buffer_load_b128 v[13:16], v35, s[28:31], 0 offen
	buffer_load_b128 v[21:24], v35, s[28:31], 16 offen
	s_add_u32 s28, s20, s2
	s_addc_u32 s0, s21, s3
	s_mov_b32 s3, s31
	s_and_b32 s29, s0, 0xffff
	s_clause 0x1
	buffer_load_b128 v[17:20], v35, s[28:31], 0 offen
	buffer_load_b128 v[25:28], v35, s[28:31], 16 offen
	s_mov_b32 s0, s22
	s_mov_b32 s2, s30
	s_waitcnt vmcnt(3)
	v_cvt_f32_f16_e32 v12, v13
	v_lshrrev_b32_e32 v9, 16, v13
	v_cvt_f32_f16_e32 v13, v14
	s_waitcnt vmcnt(1)
	v_lshrrev_b32_e32 v10, 16, v17
	v_cvt_f32_f16_e32 v17, v17
	v_cvt_f32_f16_e32 v9, v9
	s_delay_alu instid0(VALU_DEP_3) | instskip(NEXT) | instid1(VALU_DEP_3)
	v_cvt_f32_f16_e32 v10, v10
	v_add_f32_e32 v12, v12, v17
	s_clause 0x1
	buffer_load_b128 v[5:8], v35, s[0:3], 0 offen
	buffer_load_b128 v[1:4], v35, s[0:3], 16 offen
	v_cvt_f32_f16_e32 v17, v15
	s_ashr_i32 s0, s16, 31
	v_add_f32_e32 v11, v9, v10
	v_lshrrev_b32_e32 v9, 16, v14
	v_cvt_f32_f16_e32 v10, v18
	v_lshrrev_b32_e32 v14, 16, v18
	v_lshrrev_b32_e32 v18, 16, v19
	s_mul_hi_u32 s1, s16, s34
	v_cvt_f32_f16_e32 v9, v9
	v_add_f32_e32 v13, v13, v10
	v_cvt_f32_f16_e32 v14, v14
	v_lshrrev_b32_e32 v10, 16, v15
	v_cvt_f32_f16_e32 v15, v19
	v_cvt_f32_f16_e32 v18, v18
	;; [unrolled: 1-line block ×3, first 2 shown]
	v_lshrrev_b32_e32 v20, 16, v20
	v_cvt_f32_f16_e32 v10, v10
	v_add_f32_e32 v15, v17, v15
	v_add_f32_e32 v14, v9, v14
	v_cvt_f32_f16_e32 v9, v16
	v_lshrrev_b32_e32 v17, 16, v16
	v_add_f32_e32 v16, v10, v18
	v_cvt_f32_f16_e32 v10, v21
	v_cvt_f32_f16_e32 v20, v20
	s_mul_i32 s2, s0, s34
	v_cvt_f32_f16_e32 v18, v17
	v_add_f32_e32 v17, v9, v19
	v_lshrrev_b32_e32 v9, 16, v21
	s_waitcnt vmcnt(2)
	v_cvt_f32_f16_e32 v19, v25
	v_lshrrev_b32_e32 v21, 16, v25
	v_add_f32_e32 v18, v18, v20
	v_cvt_f32_f16_e32 v25, v22
	v_cvt_f32_f16_e32 v9, v9
	v_add_f32_e32 v19, v10, v19
	v_cvt_f32_f16_e32 v20, v21
	v_mul_f32_e32 v29, v11, v11
	v_lshrrev_b32_e32 v10, 16, v22
	v_lshrrev_b32_e32 v22, 16, v26
	v_cvt_f32_f16_e32 v21, v26
	v_add_f32_e32 v20, v9, v20
	v_cvt_f32_f16_e32 v9, v23
	v_cvt_f32_f16_e32 v10, v10
	;; [unrolled: 1-line block ×3, first 2 shown]
	v_fmac_f32_e32 v29, v12, v12
	v_lshrrev_b32_e32 v23, 16, v23
	v_lshrrev_b32_e32 v26, 16, v27
	s_delay_alu instid0(VALU_DEP_4) | instskip(SKIP_1) | instid1(VALU_DEP_4)
	v_dual_add_f32 v21, v25, v21 :: v_dual_add_f32 v22, v10, v22
	v_cvt_f32_f16_e32 v25, v27
	v_cvt_f32_f16_e32 v27, v23
	s_delay_alu instid0(VALU_DEP_4)
	v_cvt_f32_f16_e32 v26, v26
	v_fmac_f32_e32 v29, v13, v13
	v_cvt_f32_f16_e32 v10, v24
	v_add_f32_e32 v23, v9, v25
	v_lshrrev_b32_e32 v9, 16, v24
	v_add_f32_e32 v24, v27, v26
	v_fmac_f32_e32 v29, v14, v14
	v_cvt_f32_f16_e32 v25, v28
	v_lshrrev_b32_e32 v28, 16, v28
	v_cvt_f32_f16_e32 v9, v9
	s_mul_i32 s0, s16, s34
	v_fmac_f32_e32 v29, v15, v15
	v_add_f32_e32 v25, v10, v25
	v_cvt_f32_f16_e32 v26, v28
	s_add_i32 s1, s1, s2
	v_cvt_f16_f32_e32 v10, v12
	v_fmac_f32_e32 v29, v16, v16
	s_lshl_b64 s[0:1], s[0:1], 1
	v_add_f32_e32 v26, v9, v26
	v_cvt_f16_f32_e32 v27, v13
	v_cvt_f16_f32_e32 v28, v15
	v_fmac_f32_e32 v29, v17, v17
	v_cvt_f16_f32_e32 v30, v17
	v_cvt_f16_f32_e32 v31, v19
	v_cvt_f16_f32_e32 v32, v21
	v_cvt_f16_f32_e32 v33, v23
	v_fmac_f32_e32 v29, v18, v18
	v_cvt_f16_f32_e32 v34, v25
	v_cvt_f16_f32_e32 v37, v11
	;; [unrolled: 5-line block ×3, first 2 shown]
	v_cvt_f16_f32_e32 v42, v22
	v_cvt_f16_f32_e32 v43, v24
	v_fmac_f32_e32 v29, v20, v20
	v_cvt_f16_f32_e32 v44, v26
	s_add_u32 s28, s6, s0
	s_addc_u32 s0, s7, s1
	v_pack_b32_f16 v30, v30, v40
	v_fmac_f32_e32 v29, v21, v21
	s_and_b32 s29, s0, 0xffff
	v_pack_b32_f16 v34, v34, v44
	v_pack_b32_f16 v33, v33, v43
	;; [unrolled: 1-line block ×3, first 2 shown]
	v_fmac_f32_e32 v29, v22, v22
	v_pack_b32_f16 v31, v31, v41
	v_cmp_eq_u32_e64 s0, 31, v36
	s_delay_alu instid0(VALU_DEP_3) | instskip(NEXT) | instid1(VALU_DEP_1)
	v_fmac_f32_e32 v29, v23, v23
	v_fmac_f32_e32 v29, v24, v24
	s_delay_alu instid0(VALU_DEP_1) | instskip(NEXT) | instid1(VALU_DEP_1)
	v_fmac_f32_e32 v29, v25, v25
	v_fmac_f32_e32 v29, v26, v26
	s_delay_alu instid0(VALU_DEP_1) | instskip(NEXT) | instid1(VALU_DEP_1)
	v_mov_b32_dpp v9, v29 quad_perm:[1,0,3,2] row_mask:0xf bank_mask:0xf
	v_add_f32_e32 v9, v29, v9
	s_delay_alu instid0(VALU_DEP_1) | instskip(NEXT) | instid1(VALU_DEP_1)
	v_mov_b32_dpp v29, v9 quad_perm:[2,3,0,1] row_mask:0xf bank_mask:0xf
	v_add_f32_e32 v9, v9, v29
	v_pack_b32_f16 v29, v28, v39
	v_pack_b32_f16 v28, v27, v38
	;; [unrolled: 1-line block ×3, first 2 shown]
	s_delay_alu instid0(VALU_DEP_4)
	v_mov_b32_dpp v45, v9 row_xmask:7 row_mask:0xf bank_mask:0xf
	buffer_store_b128 v[27:30], v35, s[28:31], 0 offen
	;;#ASMSTART
	s_nop 0
	;;#ASMEND
	v_add_f32_e32 v9, v9, v45
	buffer_store_b128 v[31:34], v35, s[28:31], 16 offen
	;;#ASMSTART
	s_nop 0
	;;#ASMEND
	v_mov_b32_dpp v10, v9 row_xmask:15 row_mask:0xf bank_mask:0xf
	s_and_saveexec_b32 s1, s0
	s_cbranch_execz .LBB59_3
; %bb.2:
	s_delay_alu instid0(VALU_DEP_1) | instskip(SKIP_2) | instid1(VALU_DEP_2)
	v_add_f32_e32 v9, v9, v10
	s_mov_b32 s2, 0x76543210
	v_lshrrev_b32_e32 v10, 3, v0
	v_permlanex16_b32 v27, v9, s2, 0xfedcba98 op_sel:[1,1]
	s_delay_alu instid0(VALU_DEP_1)
	v_dual_add_f32 v9, v9, v27 :: v_dual_and_b32 v10, 0x7c, v10
	ds_store_b32 v10, v9 offset:64
.LBB59_3:
	s_or_b32 exec_lo, exec_lo, s1
	v_and_b32_e32 v9, 15, v0
	s_waitcnt vmcnt(0) lgkmcnt(0)
	s_waitcnt_vscnt null, 0x0
	s_barrier
	buffer_gl0_inv
	v_cvt_f32_i32_e32 v28, s13
	v_lshlrev_b32_e32 v10, 2, v9
	v_cvt_f32_f16_e32 v33, v2
	v_lshrrev_b32_e32 v2, 16, v2
	v_cvt_f32_f16_e32 v35, v4
	v_lshrrev_b32_e32 v4, 16, v4
	ds_load_b32 v9, v10 offset:64
	v_cvt_f32_f16_e32 v34, v3
	v_cvt_f32_f16_e32 v2, v2
	v_lshrrev_b32_e32 v3, 16, v3
	v_cvt_f32_f16_e32 v38, v4
	s_cmp_lg_u32 s18, 0
	v_mov_b32_e32 v36, 0x2edbe6ff
	s_waitcnt lgkmcnt(0)
	v_mov_b32_dpp v27, v9 quad_perm:[1,0,3,2] row_mask:0xf bank_mask:0xf
	s_delay_alu instid0(VALU_DEP_1) | instskip(NEXT) | instid1(VALU_DEP_1)
	v_add_f32_e32 v9, v9, v27
	v_mov_b32_dpp v27, v9 quad_perm:[2,3,0,1] row_mask:0xf bank_mask:0xf
	s_delay_alu instid0(VALU_DEP_1) | instskip(NEXT) | instid1(VALU_DEP_1)
	v_add_f32_e32 v9, v9, v27
	v_mov_b32_dpp v27, v9 row_xmask:7 row_mask:0xf bank_mask:0xf
	s_delay_alu instid0(VALU_DEP_1) | instskip(NEXT) | instid1(VALU_DEP_1)
	v_add_f32_e32 v9, v9, v27
	v_mov_b32_dpp v27, v9 row_xmask:15 row_mask:0xf bank_mask:0xf
	s_delay_alu instid0(VALU_DEP_1) | instskip(NEXT) | instid1(VALU_DEP_1)
	v_add_f32_e32 v9, v9, v27
	v_div_scale_f32 v27, null, v28, v28, v9
	v_div_scale_f32 v31, vcc_lo, v9, v28, v9
	s_delay_alu instid0(VALU_DEP_2) | instskip(SKIP_2) | instid1(VALU_DEP_1)
	v_rcp_f32_e32 v29, v27
	s_waitcnt_depctr 0xfff
	v_fma_f32 v30, -v27, v29, 1.0
	v_fmac_f32_e32 v29, v30, v29
	s_delay_alu instid0(VALU_DEP_1) | instskip(NEXT) | instid1(VALU_DEP_1)
	v_mul_f32_e32 v30, v31, v29
	v_fma_f32 v32, -v27, v30, v31
	s_delay_alu instid0(VALU_DEP_1) | instskip(SKIP_2) | instid1(VALU_DEP_3)
	v_fmac_f32_e32 v30, v32, v29
	v_cvt_f32_f16_e32 v32, v1
	v_lshrrev_b32_e32 v1, 16, v1
	v_fma_f32 v27, -v27, v30, v31
	v_cvt_f32_f16_e32 v31, v8
	v_lshrrev_b32_e32 v8, 16, v8
	s_delay_alu instid0(VALU_DEP_4) | instskip(NEXT) | instid1(VALU_DEP_4)
	v_cvt_f32_f16_e32 v1, v1
	v_div_fmas_f32 v27, v27, v29, v30
	v_cvt_f32_f16_e32 v30, v6
	s_delay_alu instid0(VALU_DEP_4) | instskip(SKIP_1) | instid1(VALU_DEP_4)
	v_cvt_f32_f16_e32 v8, v8
	v_lshrrev_b32_e32 v6, 16, v6
	v_div_fixup_f32 v9, v27, v28, v9
	s_delay_alu instid0(VALU_DEP_2) | instskip(NEXT) | instid1(VALU_DEP_2)
	v_cvt_f32_f16_e32 v6, v6
	v_cvt_f64_f32_e32 v[27:28], v9
	s_delay_alu instid0(VALU_DEP_1) | instskip(NEXT) | instid1(VALU_DEP_1)
	v_add_f64 v[27:28], v[27:28], s[24:25]
	v_cvt_f32_f64_e32 v27, v[27:28]
	v_cvt_f32_f16_e32 v28, v5
	v_lshrrev_b32_e32 v5, 16, v5
	s_delay_alu instid0(VALU_DEP_1) | instskip(NEXT) | instid1(VALU_DEP_4)
	v_cvt_f32_f16_e32 v5, v5
	v_mul_f32_e32 v29, 0x4b800000, v27
	v_cmp_gt_f32_e32 vcc_lo, 0x800000, v27
	s_delay_alu instid0(VALU_DEP_2) | instskip(SKIP_2) | instid1(VALU_DEP_3)
	v_cndmask_b32_e32 v27, v27, v29, vcc_lo
	v_cvt_f32_f16_e32 v29, v7
	v_lshrrev_b32_e32 v7, 16, v7
	v_rsq_f32_e32 v27, v27
	s_delay_alu instid0(VALU_DEP_1) | instskip(SKIP_2) | instid1(VALU_DEP_1)
	v_cvt_f32_f16_e32 v7, v7
	s_waitcnt_depctr 0xfff
	v_mul_f32_e32 v37, 0x45800000, v27
	v_cndmask_b32_e32 v27, v27, v37, vcc_lo
	v_cvt_f32_f16_e32 v37, v3
	s_delay_alu instid0(VALU_DEP_2) | instskip(SKIP_2) | instid1(VALU_DEP_3)
	v_mul_f32_e32 v4, v11, v27
	v_mul_f32_e32 v22, v22, v27
	;; [unrolled: 1-line block ×4, first 2 shown]
	s_delay_alu instid0(VALU_DEP_3)
	v_dual_mul_f32 v4, v22, v2 :: v_dual_lshlrev_b32 v9, 4, v0
	v_mul_f32_e32 v3, v12, v27
	v_mul_f32_e32 v12, v14, v27
	;; [unrolled: 1-line block ×6, first 2 shown]
	v_dual_mul_f32 v39, v17, v27 :: v_dual_and_b32 v2, 0x7fffffff, v20
	v_dual_mul_f32 v40, v18, v27 :: v_dual_mul_f32 v17, v12, v6
	s_delay_alu instid0(VALU_DEP_3) | instskip(SKIP_2) | instid1(VALU_DEP_4)
	v_dual_mul_f32 v6, v26, v38 :: v_dual_mul_f32 v15, v13, v29
	v_mul_f32_e32 v12, v42, v1
	v_mul_f32_e32 v14, v16, v27
	v_dual_mul_f32 v41, v19, v27 :: v_dual_and_b32 v22, 0x7fffffff, v17
	v_mul_f32_e32 v19, v3, v28
	s_delay_alu instid0(VALU_DEP_4) | instskip(NEXT) | instid1(VALU_DEP_4)
	v_dual_mul_f32 v25, v25, v27 :: v_dual_and_b32 v28, 0x7fffffff, v12
	v_mul_f32_e32 v16, v14, v7
	v_dual_mul_f32 v21, v21, v27 :: v_dual_mul_f32 v14, v40, v8
	v_dual_mul_f32 v23, v23, v27 :: v_dual_mul_f32 v8, v24, v37
	v_mul_f32_e32 v18, v11, v30
	v_dual_mul_f32 v13, v39, v31 :: v_dual_and_b32 v30, 0x7fffffff, v4
	v_mul_f32_e32 v11, v41, v32
	v_and_b32_e32 v1, 0x7fffffff, v19
	v_dual_mul_f32 v3, v21, v33 :: v_dual_and_b32 v24, 0x7fffffff, v16
	;;#ASMSTART
	v_max3_f32 v1, v36, v1, v2

	;;#ASMEND
	v_dual_mul_f32 v5, v25, v35 :: v_dual_and_b32 v32, 0x7fffffff, v8
	v_and_b32_e32 v21, 0x7fffffff, v18
	v_and_b32_e32 v26, 0x7fffffff, v14
	v_mul_f32_e32 v7, v23, v34
	;;#ASMSTART
	v_max3_f32 v1, v1, v21, v22

	;;#ASMEND
	v_and_b32_e32 v23, 0x7fffffff, v15
	;;#ASMSTART
	v_max3_f32 v1, v1, v23, v24

	;;#ASMEND
	v_and_b32_e32 v25, 0x7fffffff, v13
	;; [unrolled: 5-line block ×5, first 2 shown]
	v_and_b32_e32 v33, 0x7fffffff, v5
	v_and_b32_e32 v34, 0x7fffffff, v6
	;;#ASMSTART
	v_max3_f32 v1, v1, v31, v32

	;;#ASMEND
	;;#ASMSTART
	v_max3_f32 v21, v1, v33, v34

	;;#ASMEND
	s_cbranch_scc0 .LBB59_10
; %bb.4:
	s_ashr_i32 s7, s18, 31
	s_delay_alu instid0(SALU_CYCLE_1) | instskip(NEXT) | instid1(SALU_CYCLE_1)
	s_lshr_b32 s1, s7, 28
	s_add_i32 s1, s18, s1
	s_delay_alu instid0(SALU_CYCLE_1) | instskip(NEXT) | instid1(SALU_CYCLE_1)
	s_ashr_i32 s1, s1, 4
	s_cmp_lt_i32 s1, 8
	s_cbranch_scc1 .LBB59_11
; %bb.5:
	s_cmp_lt_i32 s1, 16
	s_cbranch_scc1 .LBB59_12
; %bb.6:
	;; [unrolled: 3-line block ×3, first 2 shown]
	v_mov_b32_e32 v1, v21
	s_cmp_eq_u32 s1, 32
	s_cbranch_scc0 .LBB59_9
; %bb.8:
	s_delay_alu instid0(VALU_DEP_1) | instskip(SKIP_1) | instid1(VALU_DEP_1)
	v_mov_b32_dpp v1, v21 quad_perm:[1,0,3,2] row_mask:0xf bank_mask:0xf
	s_mov_b32 s2, 0x76543210
	v_cmp_gt_f32_e32 vcc_lo, v21, v1
	v_cndmask_b32_e32 v1, v1, v21, vcc_lo
	s_delay_alu instid0(VALU_DEP_1) | instskip(NEXT) | instid1(VALU_DEP_1)
	v_mov_b32_dpp v2, v1 quad_perm:[2,3,0,1] row_mask:0xf bank_mask:0xf
	v_cmp_gt_f32_e32 vcc_lo, v1, v2
	v_cndmask_b32_e32 v1, v2, v1, vcc_lo
	s_delay_alu instid0(VALU_DEP_1) | instskip(NEXT) | instid1(VALU_DEP_1)
	v_mov_b32_dpp v2, v1 row_xmask:7 row_mask:0xf bank_mask:0xf
	v_cmp_gt_f32_e32 vcc_lo, v1, v2
	v_cndmask_b32_e32 v1, v2, v1, vcc_lo
	s_delay_alu instid0(VALU_DEP_1) | instskip(NEXT) | instid1(VALU_DEP_1)
	v_mov_b32_dpp v2, v1 row_xmask:15 row_mask:0xf bank_mask:0xf
	v_cmp_gt_f32_e32 vcc_lo, v1, v2
	v_cndmask_b32_e32 v1, v2, v1, vcc_lo
	s_delay_alu instid0(VALU_DEP_1) | instskip(NEXT) | instid1(VALU_DEP_1)
	v_permlanex16_b32 v2, v1, s2, 0xfedcba98 op_sel:[1,1]
	v_cmp_gt_f32_e32 vcc_lo, v1, v2
	v_cndmask_b32_e32 v1, v2, v1, vcc_lo
.LBB59_9:
	s_mov_b32 s2, 0
	s_branch .LBB59_14
.LBB59_10:
	s_mov_b32 s1, 0
                                        ; implicit-def: $vgpr22
                                        ; implicit-def: $vgpr1_vgpr2
	s_and_b32 vcc_lo, exec_lo, s31
	s_cbranch_vccnz .LBB59_38
	s_branch .LBB59_41
.LBB59_11:
                                        ; implicit-def: $vgpr1
	s_branch .LBB59_21
.LBB59_12:
                                        ; implicit-def: $vgpr1
	s_branch .LBB59_18
.LBB59_13:
	s_mov_b32 s2, -1
                                        ; implicit-def: $vgpr1
.LBB59_14:
	s_delay_alu instid0(SALU_CYCLE_1)
	s_and_not1_b32 vcc_lo, exec_lo, s2
	s_cbranch_vccnz .LBB59_17
; %bb.15:
	v_mov_b32_e32 v1, v21
	s_cmp_eq_u32 s1, 16
	s_cbranch_scc0 .LBB59_17
; %bb.16:
	s_delay_alu instid0(VALU_DEP_1) | instskip(NEXT) | instid1(VALU_DEP_1)
	v_mov_b32_dpp v1, v21 quad_perm:[1,0,3,2] row_mask:0xf bank_mask:0xf
	v_cmp_gt_f32_e32 vcc_lo, v21, v1
	v_cndmask_b32_e32 v1, v1, v21, vcc_lo
	s_delay_alu instid0(VALU_DEP_1) | instskip(NEXT) | instid1(VALU_DEP_1)
	v_mov_b32_dpp v2, v1 quad_perm:[2,3,0,1] row_mask:0xf bank_mask:0xf
	v_cmp_gt_f32_e32 vcc_lo, v1, v2
	v_cndmask_b32_e32 v1, v2, v1, vcc_lo
	s_delay_alu instid0(VALU_DEP_1) | instskip(NEXT) | instid1(VALU_DEP_1)
	v_mov_b32_dpp v2, v1 row_half_mirror row_mask:0xf bank_mask:0xf
	v_cmp_gt_f32_e32 vcc_lo, v1, v2
	v_cndmask_b32_e32 v1, v2, v1, vcc_lo
	s_delay_alu instid0(VALU_DEP_1) | instskip(NEXT) | instid1(VALU_DEP_1)
	v_mov_b32_dpp v2, v1 row_mirror row_mask:0xf bank_mask:0xf
	v_cmp_gt_f32_e32 vcc_lo, v1, v2
	v_cndmask_b32_e32 v1, v2, v1, vcc_lo
.LBB59_17:
	s_cbranch_execnz .LBB59_20
.LBB59_18:
	v_mov_b32_e32 v1, v21
	s_cmp_eq_u32 s1, 8
	s_cbranch_scc0 .LBB59_20
; %bb.19:
	s_delay_alu instid0(VALU_DEP_1) | instskip(NEXT) | instid1(VALU_DEP_1)
	v_mov_b32_dpp v1, v21 quad_perm:[1,0,3,2] row_mask:0xf bank_mask:0xf
	v_cmp_gt_f32_e32 vcc_lo, v21, v1
	v_cndmask_b32_e32 v1, v1, v21, vcc_lo
	s_delay_alu instid0(VALU_DEP_1) | instskip(NEXT) | instid1(VALU_DEP_1)
	v_mov_b32_dpp v2, v1 quad_perm:[2,3,0,1] row_mask:0xf bank_mask:0xf
	v_cmp_gt_f32_e32 vcc_lo, v1, v2
	v_cndmask_b32_e32 v1, v2, v1, vcc_lo
	s_delay_alu instid0(VALU_DEP_1) | instskip(NEXT) | instid1(VALU_DEP_1)
	v_mov_b32_dpp v2, v1 row_half_mirror row_mask:0xf bank_mask:0xf
	v_cmp_gt_f32_e32 vcc_lo, v1, v2
	v_cndmask_b32_e32 v1, v2, v1, vcc_lo
.LBB59_20:
	s_cbranch_execnz .LBB59_28
.LBB59_21:
	s_cmp_lt_i32 s1, 4
	s_cbranch_scc1 .LBB59_24
; %bb.22:
	v_mov_b32_e32 v1, v21
	s_cmp_eq_u32 s1, 4
	s_cbranch_scc0 .LBB59_25
; %bb.23:
	s_delay_alu instid0(VALU_DEP_1) | instskip(NEXT) | instid1(VALU_DEP_1)
	v_mov_b32_dpp v1, v21 quad_perm:[1,0,3,2] row_mask:0xf bank_mask:0xf
	v_cmp_gt_f32_e32 vcc_lo, v21, v1
	v_cndmask_b32_e32 v1, v1, v21, vcc_lo
	s_delay_alu instid0(VALU_DEP_1) | instskip(NEXT) | instid1(VALU_DEP_1)
	v_mov_b32_dpp v2, v1 quad_perm:[2,3,0,1] row_mask:0xf bank_mask:0xf
	v_cmp_gt_f32_e32 vcc_lo, v1, v2
	v_cndmask_b32_e32 v1, v2, v1, vcc_lo
	s_cbranch_execz .LBB59_26
	s_branch .LBB59_28
.LBB59_24:
                                        ; implicit-def: $vgpr1
	s_branch .LBB59_26
.LBB59_25:
	s_cbranch_execnz .LBB59_28
.LBB59_26:
	v_mov_b32_e32 v1, v21
	s_cmp_lg_u32 s1, 2
	s_cbranch_scc1 .LBB59_28
; %bb.27:
	s_delay_alu instid0(VALU_DEP_1) | instskip(NEXT) | instid1(VALU_DEP_1)
	v_mov_b32_dpp v1, v21 quad_perm:[1,0,3,2] row_mask:0xf bank_mask:0xf
	v_cmp_gt_f32_e32 vcc_lo, v21, v1
	v_cndmask_b32_e32 v1, v1, v21, vcc_lo
.LBB59_28:
	v_cvt_f32_u32_e32 v2, s1
	s_sub_i32 s2, 0, s1
	s_mov_b32 s31, 0
	s_delay_alu instid0(VALU_DEP_1) | instskip(SKIP_2) | instid1(VALU_DEP_1)
	v_rcp_iflag_f32_e32 v2, v2
	s_waitcnt_depctr 0xfff
	v_mul_f32_e32 v2, 0x4f7ffffe, v2
	v_cvt_u32_f32_e32 v2, v2
	s_delay_alu instid0(VALU_DEP_1) | instskip(NEXT) | instid1(VALU_DEP_1)
	v_mul_lo_u32 v22, s2, v2
	v_mul_hi_u32 v22, v2, v22
	s_delay_alu instid0(VALU_DEP_1) | instskip(NEXT) | instid1(VALU_DEP_1)
	v_add_nc_u32_e32 v2, v2, v22
	v_mul_hi_u32 v2, v0, v2
	s_delay_alu instid0(VALU_DEP_1) | instskip(NEXT) | instid1(VALU_DEP_1)
	v_mul_lo_u32 v22, v2, s1
	v_sub_nc_u32_e32 v22, v0, v22
	s_delay_alu instid0(VALU_DEP_1) | instskip(SKIP_1) | instid1(VALU_DEP_2)
	v_subrev_nc_u32_e32 v24, s1, v22
	v_cmp_le_u32_e32 vcc_lo, s1, v22
	v_dual_cndmask_b32 v22, v22, v24 :: v_dual_add_nc_u32 v23, 1, v2
	s_delay_alu instid0(VALU_DEP_1) | instskip(NEXT) | instid1(VALU_DEP_2)
	v_cndmask_b32_e32 v2, v2, v23, vcc_lo
	v_cmp_le_u32_e32 vcc_lo, s1, v22
	s_delay_alu instid0(VALU_DEP_2) | instskip(NEXT) | instid1(VALU_DEP_1)
	v_dual_mul_f32 v22, 0x3c010204, v1 :: v_dual_add_nc_u32 v23, 1, v2
	v_cndmask_b32_e32 v23, v2, v23, vcc_lo
	v_cmp_gt_u32_e32 vcc_lo, s13, v9
	s_delay_alu instid0(VALU_DEP_2) | instskip(NEXT) | instid1(VALU_DEP_1)
	v_mul_lo_u32 v2, v23, s1
	v_sub_nc_u32_e32 v2, v0, v2
	s_delay_alu instid0(VALU_DEP_1) | instskip(NEXT) | instid1(VALU_DEP_1)
	v_cmp_eq_u32_e64 s1, 0, v2
                                        ; implicit-def: $vgpr1_vgpr2
	s_and_b32 s2, s1, vcc_lo
	s_mov_b32 s1, 0
	s_and_saveexec_b32 s3, s2
	s_delay_alu instid0(SALU_CYCLE_1)
	s_xor_b32 s14, exec_lo, s3
	s_cbranch_execz .LBB59_37
; %bb.29:
	s_bitcmp0_b32 s19, 0
	s_mov_b32 s6, 0
	s_cbranch_scc0 .LBB59_34
; %bb.30:
	s_ashr_i32 s1, s13, 31
	s_mul_hi_u32 s3, s13, s34
	s_mul_i32 s1, s1, s34
	s_mul_i32 s2, s13, s34
	s_add_i32 s3, s3, s1
	s_mov_b32 s19, s7
	s_delay_alu instid0(SALU_CYCLE_1) | instskip(NEXT) | instid1(SALU_CYCLE_1)
	s_or_b64 s[10:11], s[2:3], s[18:19]
	s_mov_b32 s7, s11
	s_delay_alu instid0(SALU_CYCLE_1)
	s_cmp_lg_u64 s[6:7], 0
	s_cbranch_scc0 .LBB59_45
; %bb.31:
	s_add_u32 s10, s18, s19
	s_mov_b32 s6, s19
	s_mov_b32 s7, s19
	s_addc_u32 s11, s19, s19
	s_delay_alu instid0(SALU_CYCLE_1) | instskip(NEXT) | instid1(SALU_CYCLE_1)
	s_xor_b64 s[10:11], s[10:11], s[6:7]
	v_cvt_f32_u32_e32 v1, s10
	v_cvt_f32_u32_e32 v2, s11
	s_sub_u32 s16, 0, s10
	s_subb_u32 s19, 0, s11
	s_delay_alu instid0(VALU_DEP_1) | instskip(NEXT) | instid1(VALU_DEP_1)
	v_fmamk_f32 v1, v2, 0x4f800000, v1
	v_rcp_f32_e32 v1, v1
	s_waitcnt_depctr 0xfff
	v_mul_f32_e32 v1, 0x5f7ffffc, v1
	s_delay_alu instid0(VALU_DEP_1) | instskip(NEXT) | instid1(VALU_DEP_1)
	v_mul_f32_e32 v2, 0x2f800000, v1
	v_trunc_f32_e32 v2, v2
	s_delay_alu instid0(VALU_DEP_1) | instskip(SKIP_1) | instid1(VALU_DEP_2)
	v_fmamk_f32 v1, v2, 0xcf800000, v1
	v_cvt_u32_f32_e32 v2, v2
	v_cvt_u32_f32_e32 v1, v1
	s_delay_alu instid0(VALU_DEP_2) | instskip(NEXT) | instid1(VALU_DEP_2)
	v_readfirstlane_b32 s1, v2
	v_readfirstlane_b32 s15, v1
	s_delay_alu instid0(VALU_DEP_2) | instskip(NEXT) | instid1(VALU_DEP_1)
	s_mul_i32 s20, s16, s1
	s_mul_hi_u32 s22, s16, s15
	s_mul_i32 s21, s19, s15
	s_add_i32 s20, s22, s20
	s_mul_i32 s23, s16, s15
	s_add_i32 s20, s20, s21
	s_mul_hi_u32 s22, s15, s23
	s_mul_hi_u32 s24, s1, s23
	s_mul_i32 s21, s1, s23
	s_mul_hi_u32 s23, s15, s20
	s_mul_i32 s15, s15, s20
	s_mul_hi_u32 s25, s1, s20
	s_add_u32 s15, s22, s15
	s_addc_u32 s22, 0, s23
	s_add_u32 s15, s15, s21
	s_mul_i32 s20, s1, s20
	s_addc_u32 s15, s22, s24
	s_addc_u32 s21, s25, 0
	s_add_u32 s15, s15, s20
	s_addc_u32 s20, 0, s21
	v_add_co_u32 v1, s15, v1, s15
	s_delay_alu instid0(VALU_DEP_1) | instskip(SKIP_1) | instid1(VALU_DEP_1)
	s_cmp_lg_u32 s15, 0
	s_addc_u32 s1, s1, s20
	v_readfirstlane_b32 s15, v1
	s_mul_i32 s20, s16, s1
	s_delay_alu instid0(VALU_DEP_1)
	s_mul_hi_u32 s21, s16, s15
	s_mul_i32 s19, s19, s15
	s_add_i32 s20, s21, s20
	s_mul_i32 s16, s16, s15
	s_add_i32 s20, s20, s19
	s_mul_hi_u32 s21, s1, s16
	s_mul_i32 s22, s1, s16
	s_mul_hi_u32 s16, s15, s16
	s_mul_hi_u32 s23, s15, s20
	s_mul_i32 s15, s15, s20
	s_mul_hi_u32 s19, s1, s20
	s_add_u32 s15, s16, s15
	s_addc_u32 s16, 0, s23
	s_add_u32 s15, s15, s22
	s_mul_i32 s20, s1, s20
	s_addc_u32 s15, s16, s21
	s_addc_u32 s16, s19, 0
	s_add_u32 s15, s15, s20
	s_addc_u32 s16, 0, s16
	v_add_co_u32 v1, s15, v1, s15
	s_delay_alu instid0(VALU_DEP_1) | instskip(SKIP_2) | instid1(SALU_CYCLE_1)
	s_cmp_lg_u32 s15, 0
	s_addc_u32 s1, s1, s16
	s_ashr_i32 s20, s3, 31
	s_add_u32 s22, s2, s20
	s_addc_u32 s23, s3, s20
	v_readfirstlane_b32 s3, v1
	s_mov_b32 s21, s20
	s_delay_alu instid0(SALU_CYCLE_1) | instskip(NEXT) | instid1(SALU_CYCLE_1)
	s_xor_b64 s[22:23], s[22:23], s[20:21]
	s_mul_i32 s16, s22, s1
	s_delay_alu instid0(VALU_DEP_1)
	s_mul_hi_u32 s19, s22, s3
	s_mul_hi_u32 s15, s22, s1
	;; [unrolled: 1-line block ×3, first 2 shown]
	s_mul_i32 s3, s23, s3
	s_add_u32 s16, s19, s16
	s_addc_u32 s15, 0, s15
	s_mul_hi_u32 s24, s23, s1
	s_add_u32 s3, s16, s3
	s_mul_i32 s1, s23, s1
	s_addc_u32 s3, s15, s25
	s_addc_u32 s15, s24, 0
	s_add_u32 s3, s3, s1
	s_addc_u32 s15, 0, s15
	s_mul_hi_u32 s1, s10, s3
	s_mul_i32 s19, s10, s15
	s_mul_i32 s24, s10, s3
	s_add_i32 s1, s1, s19
	v_sub_co_u32 v1, s19, s22, s24
	s_mul_i32 s16, s11, s3
	s_delay_alu instid0(SALU_CYCLE_1) | instskip(NEXT) | instid1(VALU_DEP_1)
	s_add_i32 s1, s1, s16
	v_sub_co_u32 v2, s22, v1, s10
	s_sub_i32 s16, s23, s1
	s_cmp_lg_u32 s19, 0
	s_subb_u32 s16, s16, s11
	s_cmp_lg_u32 s22, 0
	v_cmp_le_u32_e32 vcc_lo, s10, v2
	s_subb_u32 s16, s16, 0
	s_delay_alu instid0(SALU_CYCLE_1)
	s_cmp_ge_u32 s16, s11
	v_cndmask_b32_e64 v2, 0, -1, vcc_lo
	s_cselect_b32 s22, -1, 0
	s_cmp_eq_u32 s16, s11
	s_cselect_b32 vcc_lo, -1, 0
	s_add_u32 s16, s3, 1
	v_cndmask_b32_e32 v2, s22, v2, vcc_lo
	s_addc_u32 s22, s15, 0
	s_add_u32 s24, s3, 2
	s_addc_u32 s25, s15, 0
	s_cmp_lg_u32 s19, 0
	v_cmp_le_u32_e32 vcc_lo, s10, v1
	s_subb_u32 s1, s23, s1
	v_mov_b32_e32 v24, s24
	s_cmp_ge_u32 s1, s11
	v_cndmask_b32_e64 v1, 0, -1, vcc_lo
	s_cselect_b32 s10, -1, 0
	s_cmp_eq_u32 s1, s11
	v_cmp_ne_u32_e32 vcc_lo, 0, v2
	v_mov_b32_e32 v2, s25
	s_cselect_b32 s1, -1, 0
	s_xor_b64 s[6:7], s[20:21], s[6:7]
	v_cndmask_b32_e64 v1, s10, v1, s1
	v_cndmask_b32_e32 v24, s16, v24, vcc_lo
	v_cndmask_b32_e32 v2, s22, v2, vcc_lo
	s_delay_alu instid0(VALU_DEP_3) | instskip(NEXT) | instid1(VALU_DEP_2)
	v_cmp_ne_u32_e32 vcc_lo, 0, v1
	v_cndmask_b32_e32 v1, s15, v2, vcc_lo
	s_delay_alu instid0(VALU_DEP_4) | instskip(NEXT) | instid1(VALU_DEP_2)
	v_cndmask_b32_e32 v2, s3, v24, vcc_lo
	v_xor_b32_e32 v24, s7, v1
	s_delay_alu instid0(VALU_DEP_2) | instskip(NEXT) | instid1(VALU_DEP_1)
	v_xor_b32_e32 v2, s6, v2
	v_sub_co_u32 v1, vcc_lo, v2, s6
	s_delay_alu instid0(VALU_DEP_3)
	v_subrev_co_ci_u32_e32 v2, vcc_lo, s7, v24, vcc_lo
	s_cbranch_execnz .LBB59_33
.LBB59_32:
	v_cvt_f32_u32_e32 v1, s18
	s_sub_i32 s3, 0, s18
	s_delay_alu instid0(VALU_DEP_1) | instskip(SKIP_2) | instid1(VALU_DEP_1)
	v_rcp_iflag_f32_e32 v1, v1
	s_waitcnt_depctr 0xfff
	v_mul_f32_e32 v1, 0x4f7ffffe, v1
	v_cvt_u32_f32_e32 v1, v1
	s_delay_alu instid0(VALU_DEP_1) | instskip(NEXT) | instid1(VALU_DEP_1)
	v_readfirstlane_b32 s1, v1
	s_mul_i32 s3, s3, s1
	s_delay_alu instid0(SALU_CYCLE_1) | instskip(NEXT) | instid1(SALU_CYCLE_1)
	s_mul_hi_u32 s3, s1, s3
	s_add_i32 s1, s1, s3
	s_delay_alu instid0(SALU_CYCLE_1) | instskip(NEXT) | instid1(SALU_CYCLE_1)
	s_mul_hi_u32 s1, s2, s1
	s_mul_i32 s3, s1, s18
	s_delay_alu instid0(SALU_CYCLE_1)
	s_sub_i32 s2, s2, s3
	s_add_i32 s3, s1, 1
	s_sub_i32 s6, s2, s18
	s_cmp_ge_u32 s2, s18
	s_cselect_b32 s1, s3, s1
	s_cselect_b32 s2, s6, s2
	s_add_i32 s6, s1, 1
	s_cmp_ge_u32 s2, s18
	s_mov_b32 s3, 0
	s_cselect_b32 s2, s6, s1
	s_delay_alu instid0(SALU_CYCLE_1)
	v_dual_mov_b32 v1, s2 :: v_dual_mov_b32 v2, s3
.LBB59_33:
	s_delay_alu instid0(VALU_DEP_1) | instskip(NEXT) | instid1(VALU_DEP_2)
	v_add_co_u32 v1, vcc_lo, v1, v23
	v_add_co_ci_u32_e32 v2, vcc_lo, 0, v2, vcc_lo
	s_branch .LBB59_36
.LBB59_34:
                                        ; implicit-def: $vgpr1_vgpr2
	s_cbranch_execz .LBB59_36
; %bb.35:
	v_mul_lo_u32 v1, v23, s12
	s_delay_alu instid0(VALU_DEP_1) | instskip(SKIP_1) | instid1(VALU_DEP_2)
	v_ashrrev_i32_e32 v2, 31, v1
	v_add_co_u32 v1, vcc_lo, v1, s34
	v_add_co_ci_u32_e32 v2, vcc_lo, 0, v2, vcc_lo
.LBB59_36:
	s_mov_b32 s1, exec_lo
.LBB59_37:
	s_or_b32 exec_lo, exec_lo, s14
	s_delay_alu instid0(SALU_CYCLE_1)
	s_and_b32 vcc_lo, exec_lo, s31
	s_cbranch_vccz .LBB59_41
.LBB59_38:
	v_mov_b32_dpp v1, v21 quad_perm:[1,0,3,2] row_mask:0xf bank_mask:0xf
	s_delay_alu instid0(VALU_DEP_1) | instskip(SKIP_1) | instid1(VALU_DEP_1)
	v_cmp_gt_f32_e32 vcc_lo, v21, v1
	v_cndmask_b32_e32 v1, v1, v21, vcc_lo
	v_mov_b32_dpp v2, v1 quad_perm:[2,3,0,1] row_mask:0xf bank_mask:0xf
	s_delay_alu instid0(VALU_DEP_1) | instskip(SKIP_1) | instid1(VALU_DEP_1)
	v_cmp_gt_f32_e32 vcc_lo, v1, v2
	v_cndmask_b32_e32 v1, v2, v1, vcc_lo
	v_mov_b32_dpp v2, v1 row_xmask:7 row_mask:0xf bank_mask:0xf
	s_delay_alu instid0(VALU_DEP_1) | instskip(SKIP_1) | instid1(VALU_DEP_1)
	v_cmp_gt_f32_e32 vcc_lo, v1, v2
	v_cndmask_b32_e32 v1, v2, v1, vcc_lo
	v_mov_b32_dpp v2, v1 row_xmask:15 row_mask:0xf bank_mask:0xf
	s_delay_alu instid0(VALU_DEP_1)
	v_cmp_gt_f32_e32 vcc_lo, v1, v2
	s_and_saveexec_b32 s1, s0
	s_cbranch_execz .LBB59_40
; %bb.39:
	v_cndmask_b32_e32 v1, v2, v1, vcc_lo
	v_lshrrev_b32_e32 v2, 3, v0
	s_mov_b32 s0, 0x76543210
	s_delay_alu instid0(VALU_DEP_1) | instskip(NEXT) | instid1(VALU_DEP_3)
	v_and_b32_e32 v2, 0x7c, v2
	v_permlanex16_b32 v21, v1, s0, 0xfedcba98 op_sel:[1,1]
	s_delay_alu instid0(VALU_DEP_1)
	v_cmp_gt_f32_e32 vcc_lo, v1, v21
	v_cndmask_b32_e32 v1, v21, v1, vcc_lo
	ds_store_b32 v2, v1
.LBB59_40:
	s_or_b32 exec_lo, exec_lo, s1
	s_waitcnt lgkmcnt(0)
	s_barrier
	buffer_gl0_inv
	ds_load_b32 v1, v10
	v_cmp_eq_u32_e64 s1, 0, v0
	s_waitcnt lgkmcnt(0)
	v_mov_b32_dpp v2, v1 quad_perm:[1,0,3,2] row_mask:0xf bank_mask:0xf
	s_delay_alu instid0(VALU_DEP_1) | instskip(SKIP_1) | instid1(VALU_DEP_1)
	v_cmp_gt_f32_e32 vcc_lo, v1, v2
	v_cndmask_b32_e32 v1, v2, v1, vcc_lo
	v_mov_b32_dpp v2, v1 quad_perm:[2,3,0,1] row_mask:0xf bank_mask:0xf
	s_delay_alu instid0(VALU_DEP_1) | instskip(SKIP_1) | instid1(VALU_DEP_1)
	v_cmp_gt_f32_e32 vcc_lo, v1, v2
	v_cndmask_b32_e32 v1, v2, v1, vcc_lo
	v_mov_b32_dpp v2, v1 row_xmask:7 row_mask:0xf bank_mask:0xf
	s_delay_alu instid0(VALU_DEP_1) | instskip(SKIP_1) | instid1(VALU_DEP_1)
	v_cmp_gt_f32_e32 vcc_lo, v1, v2
	v_cndmask_b32_e32 v1, v2, v1, vcc_lo
	v_mov_b32_dpp v2, v1 row_xmask:15 row_mask:0xf bank_mask:0xf
	s_delay_alu instid0(VALU_DEP_1) | instskip(SKIP_1) | instid1(VALU_DEP_1)
	v_cmp_gt_f32_e32 vcc_lo, v1, v2
	v_cndmask_b32_e32 v1, v2, v1, vcc_lo
	v_dual_mul_f32 v22, 0x3c010204, v1 :: v_dual_mov_b32 v1, s34
	v_mov_b32_e32 v2, s35
.LBB59_41:
	s_and_saveexec_b32 s0, s1
	s_cbranch_execz .LBB59_43
; %bb.42:
	s_delay_alu instid0(VALU_DEP_1) | instskip(NEXT) | instid1(VALU_DEP_1)
	v_lshlrev_b64 v[0:1], 2, v[1:2]
	v_add_co_u32 v0, vcc_lo, s8, v0
	s_delay_alu instid0(VALU_DEP_2)
	v_add_co_ci_u32_e32 v1, vcc_lo, s9, v1, vcc_lo
	global_store_b32 v[0:1], v22, off
.LBB59_43:
	s_or_b32 exec_lo, exec_lo, s0
	;;#ASMSTART
	v_rcp_f32 v0, v22
	;;#ASMEND
	v_mul_f32_e32 v6, v6, v0
	v_mul_f32_e32 v5, v5, v0
	;; [unrolled: 1-line block ×5, first 2 shown]
	v_cvt_i32_f32_e32 v6, v6
	v_cvt_i32_f32_e32 v5, v5
	v_mul_f32_e32 v10, v18, v0
	v_cvt_i32_f32_e32 v11, v11
	v_mul_f32_e32 v16, v16, v0
	v_lshlrev_b16 v6, 8, v6
	v_and_b32_e32 v5, 0xff, v5
	v_cvt_i32_f32_e32 v10, v10
	v_and_b32_e32 v11, 0xff, v11
	v_mul_f32_e32 v13, v13, v0
	v_cvt_i32_f32_e32 v7, v7
	v_or_b32_e32 v5, v5, v6
	v_and_b32_e32 v10, 0xff, v10
	v_mul_f32_e32 v12, v12, v0
	s_delay_alu instid0(VALU_DEP_4) | instskip(NEXT) | instid1(VALU_DEP_4)
	v_dual_mul_f32 v2, v20, v0 :: v_dual_and_b32 v7, 0xff, v7
	v_lshlrev_b32_e32 v5, 16, v5
	v_cvt_i32_f32_e32 v13, v13
	s_delay_alu instid0(VALU_DEP_4)
	v_cvt_i32_f32_e32 v12, v12
	v_mul_f32_e32 v15, v15, v0
	v_mul_f32_e32 v4, v4, v0
	v_cvt_i32_f32_e32 v2, v2
	v_cvt_i32_f32_e32 v16, v16
	v_lshlrev_b16 v12, 8, v12
	s_add_i32 s0, s13, 3
	v_cvt_i32_f32_e32 v4, v4
	v_lshlrev_b16 v2, 8, v2
	s_ashr_i32 s2, s0, 31
	v_or_b32_e32 v6, v11, v12
	v_dual_mul_f32 v1, v19, v0 :: v_dual_and_b32 v12, 0xff, v13
	v_cvt_i32_f32_e32 v15, v15
	s_delay_alu instid0(VALU_DEP_3) | instskip(SKIP_1) | instid1(VALU_DEP_4)
	v_dual_mul_f32 v17, v17, v0 :: v_dual_and_b32 v6, 0xffff, v6
	v_lshlrev_b16 v4, 8, v4
	v_cvt_i32_f32_e32 v1, v1
	v_mul_f32_e32 v8, v8, v0
	v_mul_f32_e32 v0, v3, v0
	s_lshr_b32 s2, s2, 30
	s_ashr_i32 s1, s17, 31
	v_and_b32_e32 v1, 0xff, v1
	v_cvt_i32_f32_e32 v8, v8
	v_cvt_i32_f32_e32 v0, v0
	s_add_i32 s0, s0, s2
	s_mul_hi_u32 s3, s17, s34
	v_or_b32_e32 v1, v1, v2
	v_lshlrev_b16 v8, 8, v8
	v_and_b32_e32 v0, 0xff, v0
	s_mul_i32 s1, s1, s34
	s_and_b32 s2, s0, -4
	s_mul_i32 s0, s17, s34
	v_or_b32_e32 v3, v7, v8
	v_and_b32_e32 v8, 0xff, v15
	v_cvt_i32_f32_e32 v17, v17
	v_lshlrev_b16 v7, 8, v16
	v_or_b32_e32 v0, v0, v4
	v_and_b32_e32 v3, 0xffff, v3
	v_cvt_i32_f32_e32 v14, v14
	v_lshlrev_b16 v13, 8, v17
	v_or_b32_e32 v4, v8, v7
	v_lshlrev_b32_e32 v0, 16, v0
	v_and_b32_e32 v8, 0xffff, v1
	v_lshlrev_b16 v11, 8, v14
	v_or_b32_e32 v2, v10, v13
	v_and_b32_e32 v4, 0xffff, v4
	s_add_i32 s3, s3, s1
	s_add_u32 s0, s4, s0
	v_or_b32_e32 v7, v12, v11
	v_lshlrev_b32_e32 v10, 16, v2
	v_or_b32_e32 v3, v3, v5
	v_or_b32_e32 v2, v6, v0
	s_addc_u32 s1, s5, s3
	v_lshlrev_b32_e32 v7, 16, v7
	v_or_b32_e32 v0, v8, v10
	s_and_b32 s1, s1, 0xffff
	s_mov_b32 s3, -1
	s_delay_alu instid0(VALU_DEP_2)
	v_or_b32_e32 v1, v4, v7
	buffer_store_b128 v[0:3], v9, s[0:3], 0 offen
	;;#ASMSTART
	s_nop 0
	;;#ASMEND
.LBB59_44:
	s_nop 0
	s_sendmsg sendmsg(MSG_DEALLOC_VGPRS)
	s_endpgm
.LBB59_45:
                                        ; implicit-def: $vgpr1_vgpr2
	s_branch .LBB59_32
	.section	.rodata,"a",@progbits
	.p2align	6, 0x0
	.amdhsa_kernel _ZN5aiter24add_rmsnorm_quant_kernelIDF16_aLi512ELi16ELb1ELb1ELb0ELi1EEEvPT0_PT_PfS4_S4_S4_diiiiiiib
		.amdhsa_group_segment_fixed_size 128
		.amdhsa_private_segment_fixed_size 0
		.amdhsa_kernarg_size 88
		.amdhsa_user_sgpr_count 15
		.amdhsa_user_sgpr_dispatch_ptr 0
		.amdhsa_user_sgpr_queue_ptr 0
		.amdhsa_user_sgpr_kernarg_segment_ptr 1
		.amdhsa_user_sgpr_dispatch_id 0
		.amdhsa_user_sgpr_private_segment_size 0
		.amdhsa_wavefront_size32 1
		.amdhsa_uses_dynamic_stack 0
		.amdhsa_enable_private_segment 0
		.amdhsa_system_sgpr_workgroup_id_x 1
		.amdhsa_system_sgpr_workgroup_id_y 0
		.amdhsa_system_sgpr_workgroup_id_z 0
		.amdhsa_system_sgpr_workgroup_info 0
		.amdhsa_system_vgpr_workitem_id 0
		.amdhsa_next_free_vgpr 46
		.amdhsa_next_free_sgpr 36
		.amdhsa_reserve_vcc 1
		.amdhsa_float_round_mode_32 0
		.amdhsa_float_round_mode_16_64 0
		.amdhsa_float_denorm_mode_32 3
		.amdhsa_float_denorm_mode_16_64 3
		.amdhsa_dx10_clamp 1
		.amdhsa_ieee_mode 1
		.amdhsa_fp16_overflow 0
		.amdhsa_workgroup_processor_mode 1
		.amdhsa_memory_ordered 1
		.amdhsa_forward_progress 0
		.amdhsa_shared_vgpr_count 0
		.amdhsa_exception_fp_ieee_invalid_op 0
		.amdhsa_exception_fp_denorm_src 0
		.amdhsa_exception_fp_ieee_div_zero 0
		.amdhsa_exception_fp_ieee_overflow 0
		.amdhsa_exception_fp_ieee_underflow 0
		.amdhsa_exception_fp_ieee_inexact 0
		.amdhsa_exception_int_div_zero 0
	.end_amdhsa_kernel
	.section	.text._ZN5aiter24add_rmsnorm_quant_kernelIDF16_aLi512ELi16ELb1ELb1ELb0ELi1EEEvPT0_PT_PfS4_S4_S4_diiiiiiib,"axG",@progbits,_ZN5aiter24add_rmsnorm_quant_kernelIDF16_aLi512ELi16ELb1ELb1ELb0ELi1EEEvPT0_PT_PfS4_S4_S4_diiiiiiib,comdat
.Lfunc_end59:
	.size	_ZN5aiter24add_rmsnorm_quant_kernelIDF16_aLi512ELi16ELb1ELb1ELb0ELi1EEEvPT0_PT_PfS4_S4_S4_diiiiiiib, .Lfunc_end59-_ZN5aiter24add_rmsnorm_quant_kernelIDF16_aLi512ELi16ELb1ELb1ELb0ELi1EEEvPT0_PT_PfS4_S4_S4_diiiiiiib
                                        ; -- End function
	.section	.AMDGPU.csdata,"",@progbits
; Kernel info:
; codeLenInByte = 4224
; NumSgprs: 38
; NumVgprs: 46
; ScratchSize: 0
; MemoryBound: 0
; FloatMode: 240
; IeeeMode: 1
; LDSByteSize: 128 bytes/workgroup (compile time only)
; SGPRBlocks: 4
; VGPRBlocks: 5
; NumSGPRsForWavesPerEU: 38
; NumVGPRsForWavesPerEU: 46
; Occupancy: 16
; WaveLimiterHint : 0
; COMPUTE_PGM_RSRC2:SCRATCH_EN: 0
; COMPUTE_PGM_RSRC2:USER_SGPR: 15
; COMPUTE_PGM_RSRC2:TRAP_HANDLER: 0
; COMPUTE_PGM_RSRC2:TGID_X_EN: 1
; COMPUTE_PGM_RSRC2:TGID_Y_EN: 0
; COMPUTE_PGM_RSRC2:TGID_Z_EN: 0
; COMPUTE_PGM_RSRC2:TIDIG_COMP_CNT: 0
	.section	.text._ZN5aiter24add_rmsnorm_quant_kernelItaLi512ELi16ELb1ELb1ELb0ELi1EEEvPT0_PT_PfS4_S4_S4_diiiiiiib,"axG",@progbits,_ZN5aiter24add_rmsnorm_quant_kernelItaLi512ELi16ELb1ELb1ELb0ELi1EEEvPT0_PT_PfS4_S4_S4_diiiiiiib,comdat
	.protected	_ZN5aiter24add_rmsnorm_quant_kernelItaLi512ELi16ELb1ELb1ELb0ELi1EEEvPT0_PT_PfS4_S4_S4_diiiiiiib ; -- Begin function _ZN5aiter24add_rmsnorm_quant_kernelItaLi512ELi16ELb1ELb1ELb0ELi1EEEvPT0_PT_PfS4_S4_S4_diiiiiiib
	.globl	_ZN5aiter24add_rmsnorm_quant_kernelItaLi512ELi16ELb1ELb1ELb0ELi1EEEvPT0_PT_PfS4_S4_S4_diiiiiiib
	.p2align	8
	.type	_ZN5aiter24add_rmsnorm_quant_kernelItaLi512ELi16ELb1ELb1ELb0ELi1EEEvPT0_PT_PfS4_S4_S4_diiiiiiib,@function
_ZN5aiter24add_rmsnorm_quant_kernelItaLi512ELi16ELb1ELb1ELb0ELi1EEEvPT0_PT_PfS4_S4_S4_diiiiiiib: ; @_ZN5aiter24add_rmsnorm_quant_kernelItaLi512ELi16ELb1ELb1ELb0ELi1EEEvPT0_PT_PfS4_S4_S4_diiiiiiib
; %bb.0:
	s_mov_b32 s34, s15
	s_load_b256 s[12:19], s[0:1], 0x38
	s_mov_b32 s35, 0
	s_waitcnt lgkmcnt(0)
	s_ashr_i32 s3, s12, 31
	s_mov_b32 s2, s12
	s_delay_alu instid0(SALU_CYCLE_1) | instskip(NEXT) | instid1(VALU_DEP_1)
	v_cmp_ge_i64_e64 s2, s[34:35], s[2:3]
	s_and_b32 vcc_lo, exec_lo, s2
	s_cbranch_vccnz .LBB60_44
; %bb.1:
	s_load_b256 s[4:11], s[0:1], 0x0
	s_ashr_i32 s2, s14, 31
	s_mul_hi_u32 s3, s14, s34
	s_mul_i32 s20, s2, s34
	s_mul_i32 s2, s14, s34
	s_add_i32 s3, s3, s20
	s_load_b256 s[20:27], s[0:1], 0x20
	s_lshl_b64 s[0:1], s[2:3], 1
	v_lshlrev_b32_e32 v35, 5, v0
	s_mov_b32 s31, -1
	s_waitcnt lgkmcnt(0)
	s_add_u32 s28, s10, s0
	s_addc_u32 s0, s11, s1
	s_add_i32 s1, s13, 1
	s_and_b32 s29, s0, 0xffff
	s_lshr_b32 s2, s1, 31
	s_ashr_i32 s0, s15, 31
	s_add_i32 s1, s1, s2
	s_mul_i32 s0, s0, s34
	s_lshl_b32 s1, s1, 1
	s_mul_i32 s2, s15, s34
	s_and_b32 s30, s1, -4
	s_mul_hi_u32 s1, s15, s34
	s_clause 0x1
	buffer_load_b128 v[9:12], v35, s[28:31], 0 offen
	buffer_load_b128 v[13:16], v35, s[28:31], 16 offen
	s_add_i32 s3, s1, s0
	s_and_b32 s1, s23, 0xffff
	s_lshl_b64 s[2:3], s[2:3], 1
	s_delay_alu instid0(SALU_CYCLE_1)
	s_add_u32 s28, s20, s2
	s_addc_u32 s0, s21, s3
	s_mov_b32 s3, s31
	s_and_b32 s29, s0, 0xffff
	s_clause 0x1
	buffer_load_b128 v[17:20], v35, s[28:31], 0 offen
	buffer_load_b128 v[21:24], v35, s[28:31], 16 offen
	s_mov_b32 s0, s22
	s_mov_b32 s2, s30
	s_waitcnt vmcnt(3)
	v_lshrrev_b32_e32 v25, 16, v9
	v_lshrrev_b32_e32 v26, 16, v10
	s_waitcnt vmcnt(2)
	v_lshrrev_b32_e32 v33, 16, v14
	v_and_b32_e32 v34, 0xffff, v14
	v_lshrrev_b32_e32 v36, 16, v15
	v_and_b32_e32 v37, 0xffff, v15
	v_lshrrev_b32_e32 v27, 16, v11
	v_lshrrev_b32_e32 v29, 16, v12
	v_and_b32_e32 v30, 0xffff, v12
	v_lshrrev_b32_e32 v31, 16, v13
	s_waitcnt vmcnt(1)
	v_and_b32_e32 v14, 0xffff, v18
	v_lshrrev_b32_e32 v15, 16, v18
	v_and_b32_e32 v32, 0xffff, v13
	v_lshrrev_b32_e32 v38, 16, v16
	v_cvt_f32_u32_e32 v12, v25
	v_and_b32_e32 v13, 0xffff, v17
	v_and_b32_e32 v25, 0xffff, v16
	v_cvt_f32_u32_e32 v14, v14
	v_and_b32_e32 v28, 0xffff, v11
	v_lshrrev_b32_e32 v11, 16, v17
	v_cvt_f32_u32_e32 v16, v26
	v_cvt_f32_u32_e32 v15, v15
	v_and_b32_e32 v9, 0xffff, v9
	v_cvt_f32_u32_e32 v13, v13
	v_cvt_f32_u32_e32 v11, v11
	v_and_b32_e32 v10, 0xffff, v10
	v_and_b32_e32 v17, 0xffff, v19
	v_cvt_f32_u32_e32 v9, v9
	v_lshrrev_b32_e32 v18, 16, v19
	v_add_f32_e32 v11, v12, v11
	v_cvt_f32_u32_e32 v10, v10
	v_cvt_f32_u32_e32 v17, v17
	v_add_f32_e32 v12, v9, v13
	s_clause 0x1
	buffer_load_b128 v[5:8], v35, s[0:3], 0 offen
	buffer_load_b128 v[1:4], v35, s[0:3], 16 offen
	v_mul_f32_e32 v9, v11, v11
	v_add_f32_e32 v13, v10, v14
	v_cvt_f32_u32_e32 v10, v28
	v_add_f32_e32 v14, v16, v15
	v_cvt_f32_u32_e32 v16, v27
	v_fmac_f32_e32 v9, v12, v12
	v_cvt_f32_u32_e32 v18, v18
	s_waitcnt vmcnt(2)
	v_and_b32_e32 v28, 0xffff, v23
	v_lshrrev_b32_e32 v23, 16, v23
	v_add_f32_e32 v15, v10, v17
	v_fmac_f32_e32 v9, v13, v13
	v_lshrrev_b32_e32 v17, 16, v20
	v_add_f32_e32 v16, v16, v18
	v_cvt_f32_u32_e32 v18, v29
	v_cvt_f32_u32_e32 v29, v23
	v_and_b32_e32 v19, 0xffff, v20
	v_dual_fmac_f32 v9, v14, v14 :: v_dual_and_b32 v20, 0xffff, v21
	v_cvt_f32_u32_e32 v10, v30
	v_cvt_f32_u32_e32 v26, v17
	s_delay_alu instid0(VALU_DEP_4) | instskip(NEXT) | instid1(VALU_DEP_4)
	v_cvt_f32_u32_e32 v19, v19
	v_fmac_f32_e32 v9, v15, v15
	v_cvt_f32_u32_e32 v20, v20
	s_ashr_i32 s0, s16, 31
	v_add_f32_e32 v18, v18, v26
	v_dual_add_f32 v17, v10, v19 :: v_dual_and_b32 v26, 0xffff, v22
	v_cvt_f32_u32_e32 v10, v32
	v_lshrrev_b32_e32 v19, 16, v21
	v_cvt_f32_u32_e32 v21, v31
	v_lshrrev_b32_e32 v22, 16, v22
	v_cvt_f32_u32_e32 v26, v26
	v_fmac_f32_e32 v9, v16, v16
	v_cvt_f32_u32_e32 v27, v19
	v_add_f32_e32 v19, v10, v20
	v_cvt_f32_u32_e32 v10, v34
	v_cvt_f32_u32_e32 v22, v22
	s_mul_hi_u32 s1, s16, s34
	v_add_f32_e32 v20, v21, v27
	v_cvt_f32_u32_e32 v27, v33
	v_add_f32_e32 v21, v10, v26
	v_cvt_f32_u32_e32 v10, v37
	v_cvt_f32_u32_e32 v26, v28
	v_and_b32_e32 v28, 0xffff, v24
	v_add_f32_e32 v22, v27, v22
	v_cvt_f32_u32_e32 v27, v36
	s_delay_alu instid0(VALU_DEP_4)
	v_dual_add_f32 v23, v10, v26 :: v_dual_and_b32 v36, 31, v0
	v_cvt_f32_u32_e32 v10, v25
	v_lshrrev_b32_e32 v25, 16, v24
	v_cvt_f32_u32_e32 v26, v28
	v_add_f32_e32 v24, v27, v29
	v_cvt_f32_u32_e32 v27, v38
	s_mul_i32 s2, s0, s34
	v_cvt_f32_u32_e32 v28, v25
	v_fmac_f32_e32 v9, v17, v17
	v_add_f32_e32 v25, v10, v26
	s_mul_i32 s0, s16, s34
	s_add_i32 s1, s1, s2
	s_delay_alu instid0(VALU_DEP_2)
	v_dual_add_f32 v26, v27, v28 :: v_dual_fmac_f32 v9, v18, v18
	s_lshl_b64 s[0:1], s[0:1], 1
	v_perm_b32 v30, v18, v17, 0x7060302
	s_add_u32 s28, s6, s0
	s_addc_u32 s0, s7, s1
	v_fmac_f32_e32 v9, v19, v19
	s_and_b32 s29, s0, 0xffff
	v_perm_b32 v29, v16, v15, 0x7060302
	v_perm_b32 v28, v14, v13, 0x7060302
	;; [unrolled: 1-line block ×3, first 2 shown]
	v_fmac_f32_e32 v9, v20, v20
	v_perm_b32 v34, v26, v25, 0x7060302
	v_perm_b32 v33, v24, v23, 0x7060302
	;; [unrolled: 1-line block ×4, first 2 shown]
	v_fmac_f32_e32 v9, v21, v21
	v_cmp_eq_u32_e64 s0, 31, v36
	buffer_store_b128 v[27:30], v35, s[28:31], 0 offen
	;;#ASMSTART
	s_nop 0
	;;#ASMEND
	buffer_store_b128 v[31:34], v35, s[28:31], 16 offen
	v_fmac_f32_e32 v9, v22, v22
	;;#ASMSTART
	s_nop 0
	;;#ASMEND
	s_delay_alu instid0(VALU_DEP_1) | instskip(NEXT) | instid1(VALU_DEP_1)
	v_fmac_f32_e32 v9, v23, v23
	v_fmac_f32_e32 v9, v24, v24
	s_delay_alu instid0(VALU_DEP_1) | instskip(NEXT) | instid1(VALU_DEP_1)
	v_fmac_f32_e32 v9, v25, v25
	v_fmac_f32_e32 v9, v26, v26
	s_delay_alu instid0(VALU_DEP_1) | instskip(NEXT) | instid1(VALU_DEP_1)
	v_mov_b32_dpp v10, v9 quad_perm:[1,0,3,2] row_mask:0xf bank_mask:0xf
	v_add_f32_e32 v9, v9, v10
	s_delay_alu instid0(VALU_DEP_1) | instskip(NEXT) | instid1(VALU_DEP_1)
	v_mov_b32_dpp v10, v9 quad_perm:[2,3,0,1] row_mask:0xf bank_mask:0xf
	v_add_f32_e32 v9, v9, v10
	s_delay_alu instid0(VALU_DEP_1) | instskip(NEXT) | instid1(VALU_DEP_1)
	v_mov_b32_dpp v10, v9 row_xmask:7 row_mask:0xf bank_mask:0xf
	v_add_f32_e32 v9, v9, v10
	s_delay_alu instid0(VALU_DEP_1)
	v_mov_b32_dpp v10, v9 row_xmask:15 row_mask:0xf bank_mask:0xf
	s_and_saveexec_b32 s1, s0
	s_cbranch_execz .LBB60_3
; %bb.2:
	s_delay_alu instid0(VALU_DEP_1) | instskip(SKIP_2) | instid1(VALU_DEP_2)
	v_add_f32_e32 v9, v9, v10
	s_mov_b32 s2, 0x76543210
	v_lshrrev_b32_e32 v10, 3, v0
	v_permlanex16_b32 v27, v9, s2, 0xfedcba98 op_sel:[1,1]
	s_delay_alu instid0(VALU_DEP_1)
	v_dual_add_f32 v9, v9, v27 :: v_dual_and_b32 v10, 0x7c, v10
	ds_store_b32 v10, v9 offset:64
.LBB60_3:
	s_or_b32 exec_lo, exec_lo, s1
	v_and_b32_e32 v9, 15, v0
	s_waitcnt vmcnt(0) lgkmcnt(0)
	s_waitcnt_vscnt null, 0x0
	s_barrier
	buffer_gl0_inv
	v_cvt_f32_i32_e32 v28, s13
	v_lshlrev_b32_e32 v10, 2, v9
	s_cmp_lg_u32 s18, 0
	v_mov_b32_e32 v36, 0x2edbe6ff
	ds_load_b32 v9, v10 offset:64
	s_waitcnt lgkmcnt(0)
	v_mov_b32_dpp v27, v9 quad_perm:[1,0,3,2] row_mask:0xf bank_mask:0xf
	s_delay_alu instid0(VALU_DEP_1) | instskip(NEXT) | instid1(VALU_DEP_1)
	v_add_f32_e32 v9, v9, v27
	v_mov_b32_dpp v27, v9 quad_perm:[2,3,0,1] row_mask:0xf bank_mask:0xf
	s_delay_alu instid0(VALU_DEP_1) | instskip(NEXT) | instid1(VALU_DEP_1)
	v_add_f32_e32 v9, v9, v27
	v_mov_b32_dpp v27, v9 row_xmask:7 row_mask:0xf bank_mask:0xf
	s_delay_alu instid0(VALU_DEP_1) | instskip(NEXT) | instid1(VALU_DEP_1)
	v_add_f32_e32 v9, v9, v27
	v_mov_b32_dpp v27, v9 row_xmask:15 row_mask:0xf bank_mask:0xf
	s_delay_alu instid0(VALU_DEP_1) | instskip(NEXT) | instid1(VALU_DEP_1)
	v_add_f32_e32 v9, v9, v27
	v_div_scale_f32 v27, null, v28, v28, v9
	v_div_scale_f32 v31, vcc_lo, v9, v28, v9
	s_delay_alu instid0(VALU_DEP_2) | instskip(SKIP_2) | instid1(VALU_DEP_1)
	v_rcp_f32_e32 v29, v27
	s_waitcnt_depctr 0xfff
	v_fma_f32 v30, -v27, v29, 1.0
	v_fmac_f32_e32 v29, v30, v29
	s_delay_alu instid0(VALU_DEP_1) | instskip(NEXT) | instid1(VALU_DEP_1)
	v_mul_f32_e32 v30, v31, v29
	v_fma_f32 v32, -v27, v30, v31
	s_delay_alu instid0(VALU_DEP_1) | instskip(SKIP_2) | instid1(VALU_DEP_3)
	v_fmac_f32_e32 v30, v32, v29
	v_and_b32_e32 v32, 0xffff, v1
	v_lshrrev_b32_e32 v1, 16, v1
	v_fma_f32 v27, -v27, v30, v31
	s_delay_alu instid0(VALU_DEP_3) | instskip(NEXT) | instid1(VALU_DEP_3)
	v_cvt_f32_u32_e32 v32, v32
	v_cvt_f32_u32_e32 v1, v1
	s_delay_alu instid0(VALU_DEP_3) | instskip(SKIP_2) | instid1(VALU_DEP_3)
	v_div_fmas_f32 v27, v27, v29, v30
	v_and_b32_e32 v30, 0xffff, v7
	v_lshrrev_b32_e32 v7, 16, v7
	v_div_fixup_f32 v9, v27, v28, v9
	s_delay_alu instid0(VALU_DEP_3) | instskip(NEXT) | instid1(VALU_DEP_3)
	v_cvt_f32_u32_e32 v30, v30
	v_cvt_f32_u32_e32 v7, v7
	s_delay_alu instid0(VALU_DEP_3) | instskip(SKIP_1) | instid1(VALU_DEP_2)
	v_cvt_f64_f32_e32 v[27:28], v9
	v_lshlrev_b32_e32 v9, 4, v0
	v_add_f64 v[27:28], v[27:28], s[24:25]
	s_delay_alu instid0(VALU_DEP_1) | instskip(SKIP_2) | instid1(VALU_DEP_2)
	v_cvt_f32_f64_e32 v27, v[27:28]
	v_and_b32_e32 v28, 0xffff, v5
	v_lshrrev_b32_e32 v5, 16, v5
	v_cvt_f32_u32_e32 v28, v28
	s_delay_alu instid0(VALU_DEP_2) | instskip(SKIP_4) | instid1(VALU_DEP_4)
	v_cvt_f32_u32_e32 v5, v5
	v_mul_f32_e32 v33, 0x4b800000, v27
	v_cmp_gt_f32_e32 vcc_lo, 0x800000, v27
	v_and_b32_e32 v34, 0xffff, v2
	v_lshrrev_b32_e32 v2, 16, v2
	v_cndmask_b32_e32 v27, v27, v33, vcc_lo
	s_delay_alu instid0(VALU_DEP_3) | instskip(NEXT) | instid1(VALU_DEP_3)
	v_cvt_f32_u32_e32 v34, v34
	v_cvt_f32_u32_e32 v2, v2
	s_delay_alu instid0(VALU_DEP_3) | instskip(SKIP_2) | instid1(VALU_DEP_1)
	v_rsq_f32_e32 v27, v27
	s_waitcnt_depctr 0xfff
	v_mul_f32_e32 v37, 0x45800000, v27
	v_cndmask_b32_e32 v27, v27, v37, vcc_lo
	v_and_b32_e32 v29, 0xffff, v6
	v_and_b32_e32 v35, 0xffff, v4
	v_lshrrev_b32_e32 v4, 16, v4
	v_lshrrev_b32_e32 v6, 16, v6
	v_and_b32_e32 v31, 0xffff, v8
	v_lshrrev_b32_e32 v8, 16, v8
	s_delay_alu instid0(VALU_DEP_4)
	v_cvt_f32_u32_e32 v38, v4
	v_mul_f32_e32 v4, v11, v27
	v_cvt_f32_u32_e32 v29, v29
	v_mul_f32_e32 v11, v13, v27
	v_and_b32_e32 v33, 0xffff, v3
	v_lshrrev_b32_e32 v3, 16, v3
	v_cvt_f32_u32_e32 v6, v6
	v_cvt_f32_u32_e32 v8, v8
	s_delay_alu instid0(VALU_DEP_3)
	v_cvt_f32_u32_e32 v37, v3
	v_mul_f32_e32 v3, v12, v27
	v_mul_f32_e32 v12, v14, v27
	;; [unrolled: 1-line block ×3, first 2 shown]
	v_cvt_f32_u32_e32 v31, v31
	v_cvt_f32_u32_e32 v35, v35
	s_delay_alu instid0(VALU_DEP_3)
	v_mul_f32_e32 v16, v14, v7
	v_mul_f32_e32 v24, v24, v27
	;; [unrolled: 1-line block ×7, first 2 shown]
	s_delay_alu instid0(VALU_DEP_4) | instskip(SKIP_4) | instid1(VALU_DEP_4)
	v_dual_mul_f32 v17, v12, v6 :: v_dual_mul_f32 v12, v42, v1
	v_mul_f32_e32 v40, v18, v27
	v_dual_mul_f32 v20, v4, v5 :: v_dual_mul_f32 v41, v19, v27
	v_mul_f32_e32 v21, v21, v27
	v_mul_f32_e32 v19, v3, v28
	v_dual_mul_f32 v23, v23, v27 :: v_dual_mul_f32 v14, v40, v8
	v_dual_mul_f32 v25, v25, v27 :: v_dual_mul_f32 v4, v22, v2
	v_mul_f32_e32 v18, v11, v29
	v_cvt_f32_u32_e32 v33, v33
	v_and_b32_e32 v2, 0x7fffffff, v20
	v_dual_mul_f32 v11, v41, v32 :: v_dual_mul_f32 v8, v24, v37
	v_dual_mul_f32 v15, v13, v30 :: v_dual_and_b32 v22, 0x7fffffff, v17
	v_mul_f32_e32 v3, v21, v34
	v_mul_f32_e32 v6, v26, v38
	v_dual_mul_f32 v13, v39, v31 :: v_dual_and_b32 v26, 0x7fffffff, v14
	v_and_b32_e32 v28, 0x7fffffff, v12
	v_and_b32_e32 v1, 0x7fffffff, v19
	;;#ASMSTART
	v_max3_f32 v1, v36, v1, v2

	;;#ASMEND
	v_dual_mul_f32 v5, v25, v35 :: v_dual_and_b32 v32, 0x7fffffff, v8
	v_and_b32_e32 v21, 0x7fffffff, v18
	v_dual_mul_f32 v7, v23, v33 :: v_dual_and_b32 v24, 0x7fffffff, v16
	v_and_b32_e32 v30, 0x7fffffff, v4
	;;#ASMSTART
	v_max3_f32 v1, v1, v21, v22

	;;#ASMEND
	v_and_b32_e32 v23, 0x7fffffff, v15
	;;#ASMSTART
	v_max3_f32 v1, v1, v23, v24

	;;#ASMEND
	v_and_b32_e32 v25, 0x7fffffff, v13
	;;#ASMSTART
	v_max3_f32 v1, v1, v25, v26

	;;#ASMEND
	v_and_b32_e32 v27, 0x7fffffff, v11
	;;#ASMSTART
	v_max3_f32 v1, v1, v27, v28

	;;#ASMEND
	v_and_b32_e32 v29, 0x7fffffff, v3
	;;#ASMSTART
	v_max3_f32 v1, v1, v29, v30

	;;#ASMEND
	v_and_b32_e32 v31, 0x7fffffff, v7
	v_and_b32_e32 v33, 0x7fffffff, v5
	v_and_b32_e32 v34, 0x7fffffff, v6
	;;#ASMSTART
	v_max3_f32 v1, v1, v31, v32

	;;#ASMEND
	;;#ASMSTART
	v_max3_f32 v21, v1, v33, v34

	;;#ASMEND
	s_cbranch_scc0 .LBB60_10
; %bb.4:
	s_ashr_i32 s7, s18, 31
	s_delay_alu instid0(SALU_CYCLE_1) | instskip(NEXT) | instid1(SALU_CYCLE_1)
	s_lshr_b32 s1, s7, 28
	s_add_i32 s1, s18, s1
	s_delay_alu instid0(SALU_CYCLE_1) | instskip(NEXT) | instid1(SALU_CYCLE_1)
	s_ashr_i32 s1, s1, 4
	s_cmp_lt_i32 s1, 8
	s_cbranch_scc1 .LBB60_11
; %bb.5:
	s_cmp_lt_i32 s1, 16
	s_cbranch_scc1 .LBB60_12
; %bb.6:
	;; [unrolled: 3-line block ×3, first 2 shown]
	v_mov_b32_e32 v1, v21
	s_cmp_eq_u32 s1, 32
	s_cbranch_scc0 .LBB60_9
; %bb.8:
	s_delay_alu instid0(VALU_DEP_1) | instskip(SKIP_1) | instid1(VALU_DEP_1)
	v_mov_b32_dpp v1, v21 quad_perm:[1,0,3,2] row_mask:0xf bank_mask:0xf
	s_mov_b32 s2, 0x76543210
	v_cmp_gt_f32_e32 vcc_lo, v21, v1
	v_cndmask_b32_e32 v1, v1, v21, vcc_lo
	s_delay_alu instid0(VALU_DEP_1) | instskip(NEXT) | instid1(VALU_DEP_1)
	v_mov_b32_dpp v2, v1 quad_perm:[2,3,0,1] row_mask:0xf bank_mask:0xf
	v_cmp_gt_f32_e32 vcc_lo, v1, v2
	v_cndmask_b32_e32 v1, v2, v1, vcc_lo
	s_delay_alu instid0(VALU_DEP_1) | instskip(NEXT) | instid1(VALU_DEP_1)
	v_mov_b32_dpp v2, v1 row_xmask:7 row_mask:0xf bank_mask:0xf
	v_cmp_gt_f32_e32 vcc_lo, v1, v2
	v_cndmask_b32_e32 v1, v2, v1, vcc_lo
	s_delay_alu instid0(VALU_DEP_1) | instskip(NEXT) | instid1(VALU_DEP_1)
	v_mov_b32_dpp v2, v1 row_xmask:15 row_mask:0xf bank_mask:0xf
	v_cmp_gt_f32_e32 vcc_lo, v1, v2
	v_cndmask_b32_e32 v1, v2, v1, vcc_lo
	s_delay_alu instid0(VALU_DEP_1) | instskip(NEXT) | instid1(VALU_DEP_1)
	v_permlanex16_b32 v2, v1, s2, 0xfedcba98 op_sel:[1,1]
	v_cmp_gt_f32_e32 vcc_lo, v1, v2
	v_cndmask_b32_e32 v1, v2, v1, vcc_lo
.LBB60_9:
	s_mov_b32 s2, 0
	s_branch .LBB60_14
.LBB60_10:
	s_mov_b32 s1, 0
                                        ; implicit-def: $vgpr22
                                        ; implicit-def: $vgpr1_vgpr2
	s_and_b32 vcc_lo, exec_lo, s31
	s_cbranch_vccnz .LBB60_38
	s_branch .LBB60_41
.LBB60_11:
                                        ; implicit-def: $vgpr1
	s_branch .LBB60_21
.LBB60_12:
                                        ; implicit-def: $vgpr1
	s_branch .LBB60_18
.LBB60_13:
	s_mov_b32 s2, -1
                                        ; implicit-def: $vgpr1
.LBB60_14:
	s_delay_alu instid0(SALU_CYCLE_1)
	s_and_not1_b32 vcc_lo, exec_lo, s2
	s_cbranch_vccnz .LBB60_17
; %bb.15:
	v_mov_b32_e32 v1, v21
	s_cmp_eq_u32 s1, 16
	s_cbranch_scc0 .LBB60_17
; %bb.16:
	s_delay_alu instid0(VALU_DEP_1) | instskip(NEXT) | instid1(VALU_DEP_1)
	v_mov_b32_dpp v1, v21 quad_perm:[1,0,3,2] row_mask:0xf bank_mask:0xf
	v_cmp_gt_f32_e32 vcc_lo, v21, v1
	v_cndmask_b32_e32 v1, v1, v21, vcc_lo
	s_delay_alu instid0(VALU_DEP_1) | instskip(NEXT) | instid1(VALU_DEP_1)
	v_mov_b32_dpp v2, v1 quad_perm:[2,3,0,1] row_mask:0xf bank_mask:0xf
	v_cmp_gt_f32_e32 vcc_lo, v1, v2
	v_cndmask_b32_e32 v1, v2, v1, vcc_lo
	s_delay_alu instid0(VALU_DEP_1) | instskip(NEXT) | instid1(VALU_DEP_1)
	v_mov_b32_dpp v2, v1 row_half_mirror row_mask:0xf bank_mask:0xf
	v_cmp_gt_f32_e32 vcc_lo, v1, v2
	v_cndmask_b32_e32 v1, v2, v1, vcc_lo
	s_delay_alu instid0(VALU_DEP_1) | instskip(NEXT) | instid1(VALU_DEP_1)
	v_mov_b32_dpp v2, v1 row_mirror row_mask:0xf bank_mask:0xf
	v_cmp_gt_f32_e32 vcc_lo, v1, v2
	v_cndmask_b32_e32 v1, v2, v1, vcc_lo
.LBB60_17:
	s_cbranch_execnz .LBB60_20
.LBB60_18:
	v_mov_b32_e32 v1, v21
	s_cmp_eq_u32 s1, 8
	s_cbranch_scc0 .LBB60_20
; %bb.19:
	s_delay_alu instid0(VALU_DEP_1) | instskip(NEXT) | instid1(VALU_DEP_1)
	v_mov_b32_dpp v1, v21 quad_perm:[1,0,3,2] row_mask:0xf bank_mask:0xf
	v_cmp_gt_f32_e32 vcc_lo, v21, v1
	v_cndmask_b32_e32 v1, v1, v21, vcc_lo
	s_delay_alu instid0(VALU_DEP_1) | instskip(NEXT) | instid1(VALU_DEP_1)
	v_mov_b32_dpp v2, v1 quad_perm:[2,3,0,1] row_mask:0xf bank_mask:0xf
	v_cmp_gt_f32_e32 vcc_lo, v1, v2
	v_cndmask_b32_e32 v1, v2, v1, vcc_lo
	s_delay_alu instid0(VALU_DEP_1) | instskip(NEXT) | instid1(VALU_DEP_1)
	v_mov_b32_dpp v2, v1 row_half_mirror row_mask:0xf bank_mask:0xf
	v_cmp_gt_f32_e32 vcc_lo, v1, v2
	v_cndmask_b32_e32 v1, v2, v1, vcc_lo
.LBB60_20:
	s_cbranch_execnz .LBB60_28
.LBB60_21:
	s_cmp_lt_i32 s1, 4
	s_cbranch_scc1 .LBB60_24
; %bb.22:
	v_mov_b32_e32 v1, v21
	s_cmp_eq_u32 s1, 4
	s_cbranch_scc0 .LBB60_25
; %bb.23:
	s_delay_alu instid0(VALU_DEP_1) | instskip(NEXT) | instid1(VALU_DEP_1)
	v_mov_b32_dpp v1, v21 quad_perm:[1,0,3,2] row_mask:0xf bank_mask:0xf
	v_cmp_gt_f32_e32 vcc_lo, v21, v1
	v_cndmask_b32_e32 v1, v1, v21, vcc_lo
	s_delay_alu instid0(VALU_DEP_1) | instskip(NEXT) | instid1(VALU_DEP_1)
	v_mov_b32_dpp v2, v1 quad_perm:[2,3,0,1] row_mask:0xf bank_mask:0xf
	v_cmp_gt_f32_e32 vcc_lo, v1, v2
	v_cndmask_b32_e32 v1, v2, v1, vcc_lo
	s_cbranch_execz .LBB60_26
	s_branch .LBB60_28
.LBB60_24:
                                        ; implicit-def: $vgpr1
	s_branch .LBB60_26
.LBB60_25:
	s_cbranch_execnz .LBB60_28
.LBB60_26:
	v_mov_b32_e32 v1, v21
	s_cmp_lg_u32 s1, 2
	s_cbranch_scc1 .LBB60_28
; %bb.27:
	s_delay_alu instid0(VALU_DEP_1) | instskip(NEXT) | instid1(VALU_DEP_1)
	v_mov_b32_dpp v1, v21 quad_perm:[1,0,3,2] row_mask:0xf bank_mask:0xf
	v_cmp_gt_f32_e32 vcc_lo, v21, v1
	v_cndmask_b32_e32 v1, v1, v21, vcc_lo
.LBB60_28:
	v_cvt_f32_u32_e32 v2, s1
	s_sub_i32 s2, 0, s1
	s_mov_b32 s31, 0
	s_delay_alu instid0(VALU_DEP_1) | instskip(SKIP_2) | instid1(VALU_DEP_1)
	v_rcp_iflag_f32_e32 v2, v2
	s_waitcnt_depctr 0xfff
	v_mul_f32_e32 v2, 0x4f7ffffe, v2
	v_cvt_u32_f32_e32 v2, v2
	s_delay_alu instid0(VALU_DEP_1) | instskip(NEXT) | instid1(VALU_DEP_1)
	v_mul_lo_u32 v22, s2, v2
	v_mul_hi_u32 v22, v2, v22
	s_delay_alu instid0(VALU_DEP_1) | instskip(NEXT) | instid1(VALU_DEP_1)
	v_add_nc_u32_e32 v2, v2, v22
	v_mul_hi_u32 v2, v0, v2
	s_delay_alu instid0(VALU_DEP_1) | instskip(NEXT) | instid1(VALU_DEP_1)
	v_mul_lo_u32 v22, v2, s1
	v_sub_nc_u32_e32 v22, v0, v22
	s_delay_alu instid0(VALU_DEP_1) | instskip(SKIP_1) | instid1(VALU_DEP_2)
	v_subrev_nc_u32_e32 v24, s1, v22
	v_cmp_le_u32_e32 vcc_lo, s1, v22
	v_dual_cndmask_b32 v22, v22, v24 :: v_dual_add_nc_u32 v23, 1, v2
	s_delay_alu instid0(VALU_DEP_1) | instskip(NEXT) | instid1(VALU_DEP_2)
	v_cndmask_b32_e32 v2, v2, v23, vcc_lo
	v_cmp_le_u32_e32 vcc_lo, s1, v22
	s_delay_alu instid0(VALU_DEP_2) | instskip(NEXT) | instid1(VALU_DEP_1)
	v_dual_mul_f32 v22, 0x3c010204, v1 :: v_dual_add_nc_u32 v23, 1, v2
	v_cndmask_b32_e32 v23, v2, v23, vcc_lo
	v_cmp_gt_u32_e32 vcc_lo, s13, v9
	s_delay_alu instid0(VALU_DEP_2) | instskip(NEXT) | instid1(VALU_DEP_1)
	v_mul_lo_u32 v2, v23, s1
	v_sub_nc_u32_e32 v2, v0, v2
	s_delay_alu instid0(VALU_DEP_1) | instskip(NEXT) | instid1(VALU_DEP_1)
	v_cmp_eq_u32_e64 s1, 0, v2
                                        ; implicit-def: $vgpr1_vgpr2
	s_and_b32 s2, s1, vcc_lo
	s_mov_b32 s1, 0
	s_and_saveexec_b32 s3, s2
	s_delay_alu instid0(SALU_CYCLE_1)
	s_xor_b32 s14, exec_lo, s3
	s_cbranch_execz .LBB60_37
; %bb.29:
	s_bitcmp0_b32 s19, 0
	s_mov_b32 s6, 0
	s_cbranch_scc0 .LBB60_34
; %bb.30:
	s_ashr_i32 s1, s13, 31
	s_mul_hi_u32 s3, s13, s34
	s_mul_i32 s1, s1, s34
	s_mul_i32 s2, s13, s34
	s_add_i32 s3, s3, s1
	s_mov_b32 s19, s7
	s_delay_alu instid0(SALU_CYCLE_1) | instskip(NEXT) | instid1(SALU_CYCLE_1)
	s_or_b64 s[10:11], s[2:3], s[18:19]
	s_mov_b32 s7, s11
	s_delay_alu instid0(SALU_CYCLE_1)
	s_cmp_lg_u64 s[6:7], 0
	s_cbranch_scc0 .LBB60_45
; %bb.31:
	s_add_u32 s10, s18, s19
	s_mov_b32 s6, s19
	s_mov_b32 s7, s19
	s_addc_u32 s11, s19, s19
	s_delay_alu instid0(SALU_CYCLE_1) | instskip(NEXT) | instid1(SALU_CYCLE_1)
	s_xor_b64 s[10:11], s[10:11], s[6:7]
	v_cvt_f32_u32_e32 v1, s10
	v_cvt_f32_u32_e32 v2, s11
	s_sub_u32 s16, 0, s10
	s_subb_u32 s19, 0, s11
	s_delay_alu instid0(VALU_DEP_1) | instskip(NEXT) | instid1(VALU_DEP_1)
	v_fmamk_f32 v1, v2, 0x4f800000, v1
	v_rcp_f32_e32 v1, v1
	s_waitcnt_depctr 0xfff
	v_mul_f32_e32 v1, 0x5f7ffffc, v1
	s_delay_alu instid0(VALU_DEP_1) | instskip(NEXT) | instid1(VALU_DEP_1)
	v_mul_f32_e32 v2, 0x2f800000, v1
	v_trunc_f32_e32 v2, v2
	s_delay_alu instid0(VALU_DEP_1) | instskip(SKIP_1) | instid1(VALU_DEP_2)
	v_fmamk_f32 v1, v2, 0xcf800000, v1
	v_cvt_u32_f32_e32 v2, v2
	v_cvt_u32_f32_e32 v1, v1
	s_delay_alu instid0(VALU_DEP_2) | instskip(NEXT) | instid1(VALU_DEP_2)
	v_readfirstlane_b32 s1, v2
	v_readfirstlane_b32 s15, v1
	s_delay_alu instid0(VALU_DEP_2) | instskip(NEXT) | instid1(VALU_DEP_1)
	s_mul_i32 s20, s16, s1
	s_mul_hi_u32 s22, s16, s15
	s_mul_i32 s21, s19, s15
	s_add_i32 s20, s22, s20
	s_mul_i32 s23, s16, s15
	s_add_i32 s20, s20, s21
	s_mul_hi_u32 s22, s15, s23
	s_mul_hi_u32 s24, s1, s23
	s_mul_i32 s21, s1, s23
	s_mul_hi_u32 s23, s15, s20
	s_mul_i32 s15, s15, s20
	s_mul_hi_u32 s25, s1, s20
	s_add_u32 s15, s22, s15
	s_addc_u32 s22, 0, s23
	s_add_u32 s15, s15, s21
	s_mul_i32 s20, s1, s20
	s_addc_u32 s15, s22, s24
	s_addc_u32 s21, s25, 0
	s_add_u32 s15, s15, s20
	s_addc_u32 s20, 0, s21
	v_add_co_u32 v1, s15, v1, s15
	s_delay_alu instid0(VALU_DEP_1) | instskip(SKIP_1) | instid1(VALU_DEP_1)
	s_cmp_lg_u32 s15, 0
	s_addc_u32 s1, s1, s20
	v_readfirstlane_b32 s15, v1
	s_mul_i32 s20, s16, s1
	s_delay_alu instid0(VALU_DEP_1)
	s_mul_hi_u32 s21, s16, s15
	s_mul_i32 s19, s19, s15
	s_add_i32 s20, s21, s20
	s_mul_i32 s16, s16, s15
	s_add_i32 s20, s20, s19
	s_mul_hi_u32 s21, s1, s16
	s_mul_i32 s22, s1, s16
	s_mul_hi_u32 s16, s15, s16
	s_mul_hi_u32 s23, s15, s20
	s_mul_i32 s15, s15, s20
	s_mul_hi_u32 s19, s1, s20
	s_add_u32 s15, s16, s15
	s_addc_u32 s16, 0, s23
	s_add_u32 s15, s15, s22
	s_mul_i32 s20, s1, s20
	s_addc_u32 s15, s16, s21
	s_addc_u32 s16, s19, 0
	s_add_u32 s15, s15, s20
	s_addc_u32 s16, 0, s16
	v_add_co_u32 v1, s15, v1, s15
	s_delay_alu instid0(VALU_DEP_1) | instskip(SKIP_2) | instid1(SALU_CYCLE_1)
	s_cmp_lg_u32 s15, 0
	s_addc_u32 s1, s1, s16
	s_ashr_i32 s20, s3, 31
	s_add_u32 s22, s2, s20
	s_addc_u32 s23, s3, s20
	v_readfirstlane_b32 s3, v1
	s_mov_b32 s21, s20
	s_delay_alu instid0(SALU_CYCLE_1) | instskip(NEXT) | instid1(SALU_CYCLE_1)
	s_xor_b64 s[22:23], s[22:23], s[20:21]
	s_mul_i32 s16, s22, s1
	s_delay_alu instid0(VALU_DEP_1)
	s_mul_hi_u32 s19, s22, s3
	s_mul_hi_u32 s15, s22, s1
	;; [unrolled: 1-line block ×3, first 2 shown]
	s_mul_i32 s3, s23, s3
	s_add_u32 s16, s19, s16
	s_addc_u32 s15, 0, s15
	s_mul_hi_u32 s24, s23, s1
	s_add_u32 s3, s16, s3
	s_mul_i32 s1, s23, s1
	s_addc_u32 s3, s15, s25
	s_addc_u32 s15, s24, 0
	s_add_u32 s3, s3, s1
	s_addc_u32 s15, 0, s15
	s_mul_hi_u32 s1, s10, s3
	s_mul_i32 s19, s10, s15
	s_mul_i32 s24, s10, s3
	s_add_i32 s1, s1, s19
	v_sub_co_u32 v1, s19, s22, s24
	s_mul_i32 s16, s11, s3
	s_delay_alu instid0(SALU_CYCLE_1) | instskip(NEXT) | instid1(VALU_DEP_1)
	s_add_i32 s1, s1, s16
	v_sub_co_u32 v2, s22, v1, s10
	s_sub_i32 s16, s23, s1
	s_cmp_lg_u32 s19, 0
	s_subb_u32 s16, s16, s11
	s_cmp_lg_u32 s22, 0
	v_cmp_le_u32_e32 vcc_lo, s10, v2
	s_subb_u32 s16, s16, 0
	s_delay_alu instid0(SALU_CYCLE_1)
	s_cmp_ge_u32 s16, s11
	v_cndmask_b32_e64 v2, 0, -1, vcc_lo
	s_cselect_b32 s22, -1, 0
	s_cmp_eq_u32 s16, s11
	s_cselect_b32 vcc_lo, -1, 0
	s_add_u32 s16, s3, 1
	v_cndmask_b32_e32 v2, s22, v2, vcc_lo
	s_addc_u32 s22, s15, 0
	s_add_u32 s24, s3, 2
	s_addc_u32 s25, s15, 0
	s_cmp_lg_u32 s19, 0
	v_cmp_le_u32_e32 vcc_lo, s10, v1
	s_subb_u32 s1, s23, s1
	v_mov_b32_e32 v24, s24
	s_cmp_ge_u32 s1, s11
	v_cndmask_b32_e64 v1, 0, -1, vcc_lo
	s_cselect_b32 s10, -1, 0
	s_cmp_eq_u32 s1, s11
	v_cmp_ne_u32_e32 vcc_lo, 0, v2
	v_mov_b32_e32 v2, s25
	s_cselect_b32 s1, -1, 0
	s_xor_b64 s[6:7], s[20:21], s[6:7]
	v_cndmask_b32_e64 v1, s10, v1, s1
	v_cndmask_b32_e32 v24, s16, v24, vcc_lo
	v_cndmask_b32_e32 v2, s22, v2, vcc_lo
	s_delay_alu instid0(VALU_DEP_3) | instskip(NEXT) | instid1(VALU_DEP_2)
	v_cmp_ne_u32_e32 vcc_lo, 0, v1
	v_cndmask_b32_e32 v1, s15, v2, vcc_lo
	s_delay_alu instid0(VALU_DEP_4) | instskip(NEXT) | instid1(VALU_DEP_2)
	v_cndmask_b32_e32 v2, s3, v24, vcc_lo
	v_xor_b32_e32 v24, s7, v1
	s_delay_alu instid0(VALU_DEP_2) | instskip(NEXT) | instid1(VALU_DEP_1)
	v_xor_b32_e32 v2, s6, v2
	v_sub_co_u32 v1, vcc_lo, v2, s6
	s_delay_alu instid0(VALU_DEP_3)
	v_subrev_co_ci_u32_e32 v2, vcc_lo, s7, v24, vcc_lo
	s_cbranch_execnz .LBB60_33
.LBB60_32:
	v_cvt_f32_u32_e32 v1, s18
	s_sub_i32 s3, 0, s18
	s_delay_alu instid0(VALU_DEP_1) | instskip(SKIP_2) | instid1(VALU_DEP_1)
	v_rcp_iflag_f32_e32 v1, v1
	s_waitcnt_depctr 0xfff
	v_mul_f32_e32 v1, 0x4f7ffffe, v1
	v_cvt_u32_f32_e32 v1, v1
	s_delay_alu instid0(VALU_DEP_1) | instskip(NEXT) | instid1(VALU_DEP_1)
	v_readfirstlane_b32 s1, v1
	s_mul_i32 s3, s3, s1
	s_delay_alu instid0(SALU_CYCLE_1) | instskip(NEXT) | instid1(SALU_CYCLE_1)
	s_mul_hi_u32 s3, s1, s3
	s_add_i32 s1, s1, s3
	s_delay_alu instid0(SALU_CYCLE_1) | instskip(NEXT) | instid1(SALU_CYCLE_1)
	s_mul_hi_u32 s1, s2, s1
	s_mul_i32 s3, s1, s18
	s_delay_alu instid0(SALU_CYCLE_1)
	s_sub_i32 s2, s2, s3
	s_add_i32 s3, s1, 1
	s_sub_i32 s6, s2, s18
	s_cmp_ge_u32 s2, s18
	s_cselect_b32 s1, s3, s1
	s_cselect_b32 s2, s6, s2
	s_add_i32 s6, s1, 1
	s_cmp_ge_u32 s2, s18
	s_mov_b32 s3, 0
	s_cselect_b32 s2, s6, s1
	s_delay_alu instid0(SALU_CYCLE_1)
	v_dual_mov_b32 v1, s2 :: v_dual_mov_b32 v2, s3
.LBB60_33:
	s_delay_alu instid0(VALU_DEP_1) | instskip(NEXT) | instid1(VALU_DEP_2)
	v_add_co_u32 v1, vcc_lo, v1, v23
	v_add_co_ci_u32_e32 v2, vcc_lo, 0, v2, vcc_lo
	s_branch .LBB60_36
.LBB60_34:
                                        ; implicit-def: $vgpr1_vgpr2
	s_cbranch_execz .LBB60_36
; %bb.35:
	v_mul_lo_u32 v1, v23, s12
	s_delay_alu instid0(VALU_DEP_1) | instskip(SKIP_1) | instid1(VALU_DEP_2)
	v_ashrrev_i32_e32 v2, 31, v1
	v_add_co_u32 v1, vcc_lo, v1, s34
	v_add_co_ci_u32_e32 v2, vcc_lo, 0, v2, vcc_lo
.LBB60_36:
	s_mov_b32 s1, exec_lo
.LBB60_37:
	s_or_b32 exec_lo, exec_lo, s14
	s_delay_alu instid0(SALU_CYCLE_1)
	s_and_b32 vcc_lo, exec_lo, s31
	s_cbranch_vccz .LBB60_41
.LBB60_38:
	v_mov_b32_dpp v1, v21 quad_perm:[1,0,3,2] row_mask:0xf bank_mask:0xf
	s_delay_alu instid0(VALU_DEP_1) | instskip(SKIP_1) | instid1(VALU_DEP_1)
	v_cmp_gt_f32_e32 vcc_lo, v21, v1
	v_cndmask_b32_e32 v1, v1, v21, vcc_lo
	v_mov_b32_dpp v2, v1 quad_perm:[2,3,0,1] row_mask:0xf bank_mask:0xf
	s_delay_alu instid0(VALU_DEP_1) | instskip(SKIP_1) | instid1(VALU_DEP_1)
	v_cmp_gt_f32_e32 vcc_lo, v1, v2
	v_cndmask_b32_e32 v1, v2, v1, vcc_lo
	v_mov_b32_dpp v2, v1 row_xmask:7 row_mask:0xf bank_mask:0xf
	s_delay_alu instid0(VALU_DEP_1) | instskip(SKIP_1) | instid1(VALU_DEP_1)
	v_cmp_gt_f32_e32 vcc_lo, v1, v2
	v_cndmask_b32_e32 v1, v2, v1, vcc_lo
	v_mov_b32_dpp v2, v1 row_xmask:15 row_mask:0xf bank_mask:0xf
	s_delay_alu instid0(VALU_DEP_1)
	v_cmp_gt_f32_e32 vcc_lo, v1, v2
	s_and_saveexec_b32 s1, s0
	s_cbranch_execz .LBB60_40
; %bb.39:
	v_cndmask_b32_e32 v1, v2, v1, vcc_lo
	v_lshrrev_b32_e32 v2, 3, v0
	s_mov_b32 s0, 0x76543210
	s_delay_alu instid0(VALU_DEP_1) | instskip(NEXT) | instid1(VALU_DEP_3)
	v_and_b32_e32 v2, 0x7c, v2
	v_permlanex16_b32 v21, v1, s0, 0xfedcba98 op_sel:[1,1]
	s_delay_alu instid0(VALU_DEP_1)
	v_cmp_gt_f32_e32 vcc_lo, v1, v21
	v_cndmask_b32_e32 v1, v21, v1, vcc_lo
	ds_store_b32 v2, v1
.LBB60_40:
	s_or_b32 exec_lo, exec_lo, s1
	s_waitcnt lgkmcnt(0)
	s_barrier
	buffer_gl0_inv
	ds_load_b32 v1, v10
	v_cmp_eq_u32_e64 s1, 0, v0
	s_waitcnt lgkmcnt(0)
	v_mov_b32_dpp v2, v1 quad_perm:[1,0,3,2] row_mask:0xf bank_mask:0xf
	s_delay_alu instid0(VALU_DEP_1) | instskip(SKIP_1) | instid1(VALU_DEP_1)
	v_cmp_gt_f32_e32 vcc_lo, v1, v2
	v_cndmask_b32_e32 v1, v2, v1, vcc_lo
	v_mov_b32_dpp v2, v1 quad_perm:[2,3,0,1] row_mask:0xf bank_mask:0xf
	s_delay_alu instid0(VALU_DEP_1) | instskip(SKIP_1) | instid1(VALU_DEP_1)
	v_cmp_gt_f32_e32 vcc_lo, v1, v2
	v_cndmask_b32_e32 v1, v2, v1, vcc_lo
	v_mov_b32_dpp v2, v1 row_xmask:7 row_mask:0xf bank_mask:0xf
	s_delay_alu instid0(VALU_DEP_1) | instskip(SKIP_1) | instid1(VALU_DEP_1)
	v_cmp_gt_f32_e32 vcc_lo, v1, v2
	v_cndmask_b32_e32 v1, v2, v1, vcc_lo
	v_mov_b32_dpp v2, v1 row_xmask:15 row_mask:0xf bank_mask:0xf
	s_delay_alu instid0(VALU_DEP_1) | instskip(SKIP_1) | instid1(VALU_DEP_1)
	v_cmp_gt_f32_e32 vcc_lo, v1, v2
	v_cndmask_b32_e32 v1, v2, v1, vcc_lo
	v_dual_mul_f32 v22, 0x3c010204, v1 :: v_dual_mov_b32 v1, s34
	v_mov_b32_e32 v2, s35
.LBB60_41:
	s_and_saveexec_b32 s0, s1
	s_cbranch_execz .LBB60_43
; %bb.42:
	s_delay_alu instid0(VALU_DEP_1) | instskip(NEXT) | instid1(VALU_DEP_1)
	v_lshlrev_b64 v[0:1], 2, v[1:2]
	v_add_co_u32 v0, vcc_lo, s8, v0
	s_delay_alu instid0(VALU_DEP_2)
	v_add_co_ci_u32_e32 v1, vcc_lo, s9, v1, vcc_lo
	global_store_b32 v[0:1], v22, off
.LBB60_43:
	s_or_b32 exec_lo, exec_lo, s0
	;;#ASMSTART
	v_rcp_f32 v0, v22
	;;#ASMEND
	v_mul_f32_e32 v6, v6, v0
	v_mul_f32_e32 v5, v5, v0
	;; [unrolled: 1-line block ×5, first 2 shown]
	v_cvt_i32_f32_e32 v6, v6
	v_cvt_i32_f32_e32 v5, v5
	v_mul_f32_e32 v10, v18, v0
	v_cvt_i32_f32_e32 v11, v11
	v_mul_f32_e32 v16, v16, v0
	v_lshlrev_b16 v6, 8, v6
	v_and_b32_e32 v5, 0xff, v5
	v_cvt_i32_f32_e32 v10, v10
	v_and_b32_e32 v11, 0xff, v11
	v_mul_f32_e32 v13, v13, v0
	v_cvt_i32_f32_e32 v7, v7
	v_or_b32_e32 v5, v5, v6
	v_and_b32_e32 v10, 0xff, v10
	v_mul_f32_e32 v12, v12, v0
	s_delay_alu instid0(VALU_DEP_4) | instskip(NEXT) | instid1(VALU_DEP_4)
	v_dual_mul_f32 v2, v20, v0 :: v_dual_and_b32 v7, 0xff, v7
	v_lshlrev_b32_e32 v5, 16, v5
	v_cvt_i32_f32_e32 v13, v13
	s_delay_alu instid0(VALU_DEP_4)
	v_cvt_i32_f32_e32 v12, v12
	v_mul_f32_e32 v15, v15, v0
	v_mul_f32_e32 v4, v4, v0
	v_cvt_i32_f32_e32 v2, v2
	v_cvt_i32_f32_e32 v16, v16
	v_lshlrev_b16 v12, 8, v12
	s_add_i32 s0, s13, 3
	v_cvt_i32_f32_e32 v4, v4
	v_lshlrev_b16 v2, 8, v2
	s_ashr_i32 s2, s0, 31
	v_or_b32_e32 v6, v11, v12
	v_dual_mul_f32 v1, v19, v0 :: v_dual_and_b32 v12, 0xff, v13
	v_cvt_i32_f32_e32 v15, v15
	s_delay_alu instid0(VALU_DEP_3) | instskip(SKIP_1) | instid1(VALU_DEP_4)
	v_dual_mul_f32 v17, v17, v0 :: v_dual_and_b32 v6, 0xffff, v6
	v_lshlrev_b16 v4, 8, v4
	v_cvt_i32_f32_e32 v1, v1
	v_mul_f32_e32 v8, v8, v0
	v_mul_f32_e32 v0, v3, v0
	s_lshr_b32 s2, s2, 30
	s_ashr_i32 s1, s17, 31
	v_and_b32_e32 v1, 0xff, v1
	v_cvt_i32_f32_e32 v8, v8
	v_cvt_i32_f32_e32 v0, v0
	s_add_i32 s0, s0, s2
	s_mul_hi_u32 s3, s17, s34
	v_or_b32_e32 v1, v1, v2
	v_lshlrev_b16 v8, 8, v8
	v_and_b32_e32 v0, 0xff, v0
	s_mul_i32 s1, s1, s34
	s_and_b32 s2, s0, -4
	s_mul_i32 s0, s17, s34
	v_or_b32_e32 v3, v7, v8
	v_and_b32_e32 v8, 0xff, v15
	v_cvt_i32_f32_e32 v17, v17
	v_lshlrev_b16 v7, 8, v16
	v_or_b32_e32 v0, v0, v4
	v_and_b32_e32 v3, 0xffff, v3
	v_cvt_i32_f32_e32 v14, v14
	v_lshlrev_b16 v13, 8, v17
	v_or_b32_e32 v4, v8, v7
	v_lshlrev_b32_e32 v0, 16, v0
	v_and_b32_e32 v8, 0xffff, v1
	v_lshlrev_b16 v11, 8, v14
	v_or_b32_e32 v2, v10, v13
	v_and_b32_e32 v4, 0xffff, v4
	s_add_i32 s3, s3, s1
	s_add_u32 s0, s4, s0
	v_or_b32_e32 v7, v12, v11
	v_lshlrev_b32_e32 v10, 16, v2
	v_or_b32_e32 v3, v3, v5
	v_or_b32_e32 v2, v6, v0
	s_addc_u32 s1, s5, s3
	v_lshlrev_b32_e32 v7, 16, v7
	v_or_b32_e32 v0, v8, v10
	s_and_b32 s1, s1, 0xffff
	s_mov_b32 s3, -1
	s_delay_alu instid0(VALU_DEP_2)
	v_or_b32_e32 v1, v4, v7
	buffer_store_b128 v[0:3], v9, s[0:3], 0 offen
	;;#ASMSTART
	s_nop 0
	;;#ASMEND
.LBB60_44:
	s_nop 0
	s_sendmsg sendmsg(MSG_DEALLOC_VGPRS)
	s_endpgm
.LBB60_45:
                                        ; implicit-def: $vgpr1_vgpr2
	s_branch .LBB60_32
	.section	.rodata,"a",@progbits
	.p2align	6, 0x0
	.amdhsa_kernel _ZN5aiter24add_rmsnorm_quant_kernelItaLi512ELi16ELb1ELb1ELb0ELi1EEEvPT0_PT_PfS4_S4_S4_diiiiiiib
		.amdhsa_group_segment_fixed_size 128
		.amdhsa_private_segment_fixed_size 0
		.amdhsa_kernarg_size 88
		.amdhsa_user_sgpr_count 15
		.amdhsa_user_sgpr_dispatch_ptr 0
		.amdhsa_user_sgpr_queue_ptr 0
		.amdhsa_user_sgpr_kernarg_segment_ptr 1
		.amdhsa_user_sgpr_dispatch_id 0
		.amdhsa_user_sgpr_private_segment_size 0
		.amdhsa_wavefront_size32 1
		.amdhsa_uses_dynamic_stack 0
		.amdhsa_enable_private_segment 0
		.amdhsa_system_sgpr_workgroup_id_x 1
		.amdhsa_system_sgpr_workgroup_id_y 0
		.amdhsa_system_sgpr_workgroup_id_z 0
		.amdhsa_system_sgpr_workgroup_info 0
		.amdhsa_system_vgpr_workitem_id 0
		.amdhsa_next_free_vgpr 43
		.amdhsa_next_free_sgpr 36
		.amdhsa_reserve_vcc 1
		.amdhsa_float_round_mode_32 0
		.amdhsa_float_round_mode_16_64 0
		.amdhsa_float_denorm_mode_32 3
		.amdhsa_float_denorm_mode_16_64 3
		.amdhsa_dx10_clamp 1
		.amdhsa_ieee_mode 1
		.amdhsa_fp16_overflow 0
		.amdhsa_workgroup_processor_mode 1
		.amdhsa_memory_ordered 1
		.amdhsa_forward_progress 0
		.amdhsa_shared_vgpr_count 0
		.amdhsa_exception_fp_ieee_invalid_op 0
		.amdhsa_exception_fp_denorm_src 0
		.amdhsa_exception_fp_ieee_div_zero 0
		.amdhsa_exception_fp_ieee_overflow 0
		.amdhsa_exception_fp_ieee_underflow 0
		.amdhsa_exception_fp_ieee_inexact 0
		.amdhsa_exception_int_div_zero 0
	.end_amdhsa_kernel
	.section	.text._ZN5aiter24add_rmsnorm_quant_kernelItaLi512ELi16ELb1ELb1ELb0ELi1EEEvPT0_PT_PfS4_S4_S4_diiiiiiib,"axG",@progbits,_ZN5aiter24add_rmsnorm_quant_kernelItaLi512ELi16ELb1ELb1ELb0ELi1EEEvPT0_PT_PfS4_S4_S4_diiiiiiib,comdat
.Lfunc_end60:
	.size	_ZN5aiter24add_rmsnorm_quant_kernelItaLi512ELi16ELb1ELb1ELb0ELi1EEEvPT0_PT_PfS4_S4_S4_diiiiiiib, .Lfunc_end60-_ZN5aiter24add_rmsnorm_quant_kernelItaLi512ELi16ELb1ELb1ELb0ELi1EEEvPT0_PT_PfS4_S4_S4_diiiiiiib
                                        ; -- End function
	.section	.AMDGPU.csdata,"",@progbits
; Kernel info:
; codeLenInByte = 4396
; NumSgprs: 38
; NumVgprs: 43
; ScratchSize: 0
; MemoryBound: 0
; FloatMode: 240
; IeeeMode: 1
; LDSByteSize: 128 bytes/workgroup (compile time only)
; SGPRBlocks: 4
; VGPRBlocks: 5
; NumSGPRsForWavesPerEU: 38
; NumVGPRsForWavesPerEU: 43
; Occupancy: 16
; WaveLimiterHint : 0
; COMPUTE_PGM_RSRC2:SCRATCH_EN: 0
; COMPUTE_PGM_RSRC2:USER_SGPR: 15
; COMPUTE_PGM_RSRC2:TRAP_HANDLER: 0
; COMPUTE_PGM_RSRC2:TGID_X_EN: 1
; COMPUTE_PGM_RSRC2:TGID_Y_EN: 0
; COMPUTE_PGM_RSRC2:TGID_Z_EN: 0
; COMPUTE_PGM_RSRC2:TIDIG_COMP_CNT: 0
	.section	.text._ZN5aiter24add_rmsnorm_quant_kernelIDF16_aLi1024ELi8ELb1ELb1ELb1ELi1EEEvPT0_PT_PfS4_S4_S4_diiiiiiib,"axG",@progbits,_ZN5aiter24add_rmsnorm_quant_kernelIDF16_aLi1024ELi8ELb1ELb1ELb1ELi1EEEvPT0_PT_PfS4_S4_S4_diiiiiiib,comdat
	.protected	_ZN5aiter24add_rmsnorm_quant_kernelIDF16_aLi1024ELi8ELb1ELb1ELb1ELi1EEEvPT0_PT_PfS4_S4_S4_diiiiiiib ; -- Begin function _ZN5aiter24add_rmsnorm_quant_kernelIDF16_aLi1024ELi8ELb1ELb1ELb1ELi1EEEvPT0_PT_PfS4_S4_S4_diiiiiiib
	.globl	_ZN5aiter24add_rmsnorm_quant_kernelIDF16_aLi1024ELi8ELb1ELb1ELb1ELi1EEEvPT0_PT_PfS4_S4_S4_diiiiiiib
	.p2align	8
	.type	_ZN5aiter24add_rmsnorm_quant_kernelIDF16_aLi1024ELi8ELb1ELb1ELb1ELi1EEEvPT0_PT_PfS4_S4_S4_diiiiiiib,@function
_ZN5aiter24add_rmsnorm_quant_kernelIDF16_aLi1024ELi8ELb1ELb1ELb1ELi1EEEvPT0_PT_PfS4_S4_S4_diiiiiiib: ; @_ZN5aiter24add_rmsnorm_quant_kernelIDF16_aLi1024ELi8ELb1ELb1ELb1ELi1EEEvPT0_PT_PfS4_S4_S4_diiiiiiib
; %bb.0:
	s_load_b256 s[4:11], s[0:1], 0x38
	s_mov_b32 s34, s15
	s_mov_b32 s35, 0
	s_waitcnt lgkmcnt(0)
	s_ashr_i32 s3, s4, 31
	s_mov_b32 s2, s4
	s_delay_alu instid0(SALU_CYCLE_1) | instskip(NEXT) | instid1(VALU_DEP_1)
	v_cmp_ge_i64_e64 s2, s[34:35], s[2:3]
	s_and_b32 vcc_lo, exec_lo, s2
	s_cbranch_vccnz .LBB61_44
; %bb.1:
	s_clause 0x1
	s_load_b256 s[12:19], s[0:1], 0x0
	s_load_b256 s[20:27], s[0:1], 0x20
	s_ashr_i32 s1, s6, 31
	s_mul_hi_u32 s2, s6, s34
	s_mul_i32 s1, s1, s34
	s_mul_i32 s0, s6, s34
	s_add_i32 s1, s2, s1
	s_mul_hi_u32 s3, s7, s34
	s_lshl_b64 s[0:1], s[0:1], 1
	s_mul_i32 s2, s7, s34
	v_lshlrev_b32_e32 v20, 4, v0
	s_mov_b32 s31, -1
	s_waitcnt lgkmcnt(0)
	s_add_u32 s28, s18, s0
	s_addc_u32 s0, s19, s1
	s_add_i32 s6, s5, 1
	s_ashr_i32 s7, s7, 31
	s_lshr_b32 s18, s6, 31
	s_mul_i32 s7, s7, s34
	s_add_i32 s6, s6, s18
	s_and_b32 s29, s0, 0xffff
	s_lshl_b32 s0, s6, 1
	s_add_i32 s3, s3, s7
	s_and_b32 s30, s0, -4
	s_lshl_b64 s[2:3], s[2:3], 1
	s_and_b32 s1, s23, 0xffff
	buffer_load_b128 v[9:12], v20, s[28:31], 0 offen glc slc
	s_add_u32 s28, s20, s2
	s_addc_u32 s0, s21, s3
	s_mov_b32 s3, s31
	s_and_b32 s29, s0, 0xffff
	s_mov_b32 s0, s22
	buffer_load_b128 v[13:16], v20, s[28:31], 0 offen glc slc
	s_mov_b32 s2, s30
	s_waitcnt vmcnt(1)
	v_lshrrev_b32_e32 v5, 16, v9
	v_cvt_f32_f16_e32 v8, v9
	v_cvt_f32_f16_e32 v9, v10
	s_delay_alu instid0(VALU_DEP_3) | instskip(SKIP_3) | instid1(VALU_DEP_2)
	v_cvt_f32_f16_e32 v5, v5
	s_waitcnt vmcnt(0)
	v_lshrrev_b32_e32 v6, 16, v13
	v_cvt_f32_f16_e32 v13, v13
	v_cvt_f32_f16_e32 v6, v6
	s_delay_alu instid0(VALU_DEP_1)
	v_add_f32_e32 v7, v5, v6
	buffer_load_b128 v[1:4], v20, s[0:3], 0 offen
	v_lshrrev_b32_e32 v5, 16, v10
	v_cvt_f32_f16_e32 v6, v14
	v_lshrrev_b32_e32 v10, 16, v14
	v_dual_add_f32 v8, v8, v13 :: v_dual_mul_f32 v17, v7, v7
	v_cvt_f32_f16_e32 v13, v11
	v_cvt_f32_f16_e32 v5, v5
	s_delay_alu instid0(VALU_DEP_4)
	v_cvt_f32_f16_e32 v10, v10
	v_add_f32_e32 v9, v9, v6
	v_fmac_f32_e32 v17, v8, v8
	v_lshrrev_b32_e32 v6, 16, v11
	v_cvt_f32_f16_e32 v11, v15
	v_add_f32_e32 v10, v5, v10
	v_lshrrev_b32_e32 v14, 16, v15
	v_cvt_f32_f16_e32 v15, v16
	v_cvt_f32_f16_e32 v6, v6
	v_add_f32_e32 v11, v13, v11
	v_lshrrev_b32_e32 v13, 16, v12
	v_cvt_f32_f16_e32 v14, v14
	v_fmac_f32_e32 v17, v9, v9
	v_lshrrev_b32_e32 v16, 16, v16
	v_cvt_f32_f16_e32 v5, v12
	s_ashr_i32 s0, s8, 31
	v_add_f32_e32 v12, v6, v14
	v_fmac_f32_e32 v17, v10, v10
	v_cvt_f32_f16_e32 v6, v13
	v_cvt_f32_f16_e32 v14, v16
	v_add_f32_e32 v13, v5, v15
	s_mul_hi_u32 s1, s8, s34
	s_mul_i32 s2, s0, s34
	s_mul_i32 s0, s8, s34
	v_dual_add_f32 v14, v6, v14 :: v_dual_fmac_f32 v17, v11, v11
	s_add_i32 s1, s1, s2
	v_cvt_f16_f32_e32 v16, v8
	s_lshl_b64 s[0:1], s[0:1], 1
	v_cvt_f16_f32_e32 v18, v13
	v_fmac_f32_e32 v17, v12, v12
	v_cvt_f16_f32_e32 v19, v14
	v_cvt_f16_f32_e32 v22, v12
	;; [unrolled: 1-line block ×4, first 2 shown]
	v_fmac_f32_e32 v17, v13, v13
	s_add_u32 s28, s14, s0
	s_addc_u32 s0, s15, s1
	v_pack_b32_f16 v19, v18, v19
	v_pack_b32_f16 v16, v16, v24
	v_fmac_f32_e32 v17, v14, v14
	s_and_b32 s29, s0, 0xffff
	s_mov_b32 s1, 0x76543210
	s_delay_alu instid0(VALU_DEP_1) | instskip(NEXT) | instid1(VALU_DEP_1)
	v_mov_b32_dpp v5, v17 quad_perm:[1,0,3,2] row_mask:0xf bank_mask:0xf
	v_dual_add_f32 v6, v17, v5 :: v_dual_and_b32 v5, 31, v0
	v_cvt_f16_f32_e32 v17, v11
	s_delay_alu instid0(VALU_DEP_2) | instskip(NEXT) | instid1(VALU_DEP_3)
	v_mov_b32_dpp v15, v6 quad_perm:[2,3,0,1] row_mask:0xf bank_mask:0xf
	v_cmp_eq_u32_e64 s0, 31, v5
	s_delay_alu instid0(VALU_DEP_3) | instskip(NEXT) | instid1(VALU_DEP_3)
	v_pack_b32_f16 v18, v17, v22
	v_add_f32_e32 v6, v6, v15
	v_cvt_f16_f32_e32 v15, v9
	s_delay_alu instid0(VALU_DEP_2) | instskip(NEXT) | instid1(VALU_DEP_2)
	v_mov_b32_dpp v21, v6 row_xmask:7 row_mask:0xf bank_mask:0xf
	v_pack_b32_f16 v17, v15, v23
	s_delay_alu instid0(VALU_DEP_2)
	v_add_f32_e32 v6, v6, v21
	buffer_store_b128 v[16:19], v20, s[28:31], 0 offen glc slc
	;;#ASMSTART
	s_nop 0
	;;#ASMEND
	v_mov_b32_dpp v15, v6 row_xmask:15 row_mask:0xf bank_mask:0xf
	s_and_saveexec_b32 s2, s0
	s_cbranch_execz .LBB61_3
; %bb.2:
	s_delay_alu instid0(VALU_DEP_1) | instskip(SKIP_1) | instid1(VALU_DEP_2)
	v_add_f32_e32 v6, v6, v15
	v_lshrrev_b32_e32 v15, 3, v0
	v_permlanex16_b32 v16, v6, s1, 0xfedcba98 op_sel:[1,1]
	s_delay_alu instid0(VALU_DEP_1)
	v_dual_add_f32 v6, v6, v16 :: v_dual_and_b32 v15, 0x7c, v15
	ds_store_b32 v15, v6 offset:128
.LBB61_3:
	s_or_b32 exec_lo, exec_lo, s2
	v_lshlrev_b32_e32 v6, 2, v5
	s_waitcnt vmcnt(0) lgkmcnt(0)
	s_waitcnt_vscnt null, 0x0
	s_barrier
	buffer_gl0_inv
	v_cvt_f32_i32_e32 v16, s5
	ds_load_b32 v5, v6 offset:128
	s_cmp_lg_u32 s10, 0
	s_waitcnt lgkmcnt(0)
	v_mov_b32_dpp v15, v5 quad_perm:[1,0,3,2] row_mask:0xf bank_mask:0xf
	s_delay_alu instid0(VALU_DEP_1) | instskip(NEXT) | instid1(VALU_DEP_1)
	v_add_f32_e32 v5, v5, v15
	v_mov_b32_dpp v15, v5 quad_perm:[2,3,0,1] row_mask:0xf bank_mask:0xf
	s_delay_alu instid0(VALU_DEP_1) | instskip(NEXT) | instid1(VALU_DEP_1)
	v_add_f32_e32 v5, v5, v15
	v_mov_b32_dpp v15, v5 row_xmask:7 row_mask:0xf bank_mask:0xf
	s_delay_alu instid0(VALU_DEP_1) | instskip(NEXT) | instid1(VALU_DEP_1)
	v_add_f32_e32 v5, v5, v15
	v_mov_b32_dpp v15, v5 row_xmask:15 row_mask:0xf bank_mask:0xf
	s_delay_alu instid0(VALU_DEP_1) | instskip(NEXT) | instid1(VALU_DEP_1)
	v_add_f32_e32 v5, v5, v15
	v_permlanex16_b32 v15, v5, s1, 0xfedcba98 op_sel:[1,1]
	s_delay_alu instid0(VALU_DEP_1) | instskip(NEXT) | instid1(VALU_DEP_1)
	v_add_f32_e32 v5, v5, v15
	v_div_scale_f32 v15, null, v16, v16, v5
	v_div_scale_f32 v19, vcc_lo, v5, v16, v5
	s_delay_alu instid0(VALU_DEP_2) | instskip(SKIP_2) | instid1(VALU_DEP_1)
	v_rcp_f32_e32 v17, v15
	s_waitcnt_depctr 0xfff
	v_fma_f32 v18, -v15, v17, 1.0
	v_fmac_f32_e32 v17, v18, v17
	s_delay_alu instid0(VALU_DEP_1) | instskip(NEXT) | instid1(VALU_DEP_1)
	v_mul_f32_e32 v18, v19, v17
	v_fma_f32 v20, -v15, v18, v19
	s_delay_alu instid0(VALU_DEP_1) | instskip(SKIP_2) | instid1(VALU_DEP_3)
	v_fmac_f32_e32 v18, v20, v17
	v_cvt_f32_f16_e32 v20, v4
	v_lshrrev_b32_e32 v4, 16, v4
	v_fma_f32 v15, -v15, v18, v19
	s_delay_alu instid0(VALU_DEP_2) | instskip(NEXT) | instid1(VALU_DEP_2)
	v_cvt_f32_f16_e32 v4, v4
	v_div_fmas_f32 v15, v15, v17, v18
	v_cvt_f32_f16_e32 v18, v3
	v_lshrrev_b32_e32 v3, 16, v3
	v_cvt_f32_f16_e32 v17, v2
	v_lshrrev_b32_e32 v2, 16, v2
	v_div_fixup_f32 v5, v15, v16, v5
	s_delay_alu instid0(VALU_DEP_4) | instskip(NEXT) | instid1(VALU_DEP_3)
	v_cvt_f32_f16_e32 v3, v3
	v_cvt_f32_f16_e32 v2, v2
	s_delay_alu instid0(VALU_DEP_3) | instskip(NEXT) | instid1(VALU_DEP_1)
	v_cvt_f64_f32_e32 v[15:16], v5
	v_add_f64 v[15:16], v[15:16], s[24:25]
	s_delay_alu instid0(VALU_DEP_1) | instskip(SKIP_2) | instid1(VALU_DEP_1)
	v_cvt_f32_f64_e32 v5, v[15:16]
	v_cvt_f32_f16_e32 v16, v1
	v_lshrrev_b32_e32 v1, 16, v1
	v_cvt_f32_f16_e32 v1, v1
	s_delay_alu instid0(VALU_DEP_4) | instskip(SKIP_1) | instid1(VALU_DEP_2)
	v_mul_f32_e32 v15, 0x4b800000, v5
	v_cmp_gt_f32_e32 vcc_lo, 0x800000, v5
	v_cndmask_b32_e32 v5, v5, v15, vcc_lo
	s_delay_alu instid0(VALU_DEP_1) | instskip(SKIP_2) | instid1(VALU_DEP_1)
	v_rsq_f32_e32 v15, v5
	s_waitcnt_depctr 0xfff
	v_mul_f32_e32 v19, 0x45800000, v15
	v_cndmask_b32_e32 v15, v15, v19, vcc_lo
	s_delay_alu instid0(VALU_DEP_1) | instskip(SKIP_1) | instid1(VALU_DEP_2)
	v_dual_mul_f32 v10, v10, v15 :: v_dual_lshlrev_b32 v5, 3, v0
	v_mul_f32_e32 v14, v14, v15
	v_mul_f32_e32 v10, v10, v2
	s_delay_alu instid0(VALU_DEP_2) | instskip(NEXT) | instid1(VALU_DEP_2)
	v_mul_f32_e32 v4, v14, v4
	v_and_b32_e32 v14, 0x7fffffff, v10
	v_dual_mov_b32 v21, 0x2edbe6ff :: v_dual_mul_f32 v22, v12, v15
	v_mul_f32_e32 v8, v8, v15
	v_mul_f32_e32 v9, v9, v15
	;; [unrolled: 1-line block ×3, first 2 shown]
	s_delay_alu instid0(VALU_DEP_3) | instskip(SKIP_2) | instid1(VALU_DEP_3)
	v_dual_mul_f32 v13, v13, v15 :: v_dual_mul_f32 v12, v8, v16
	v_mul_f32_e32 v8, v22, v3
	v_mul_f32_e32 v7, v7, v15
	;; [unrolled: 1-line block ×3, first 2 shown]
	s_delay_alu instid0(VALU_DEP_2) | instskip(SKIP_3) | instid1(VALU_DEP_4)
	v_dual_mul_f32 v11, v7, v1 :: v_dual_and_b32 v16, 0x7fffffff, v8
	v_dual_mul_f32 v7, v19, v18 :: v_dual_and_b32 v18, 0x7fffffff, v4
	v_mul_f32_e32 v9, v9, v17
	v_and_b32_e32 v1, 0x7fffffff, v12
	v_and_b32_e32 v2, 0x7fffffff, v11
	;;#ASMSTART
	v_max3_f32 v1, v21, v1, v2

	;;#ASMEND
	v_and_b32_e32 v15, 0x7fffffff, v7
	v_and_b32_e32 v13, 0x7fffffff, v9
	;;#ASMSTART
	v_max3_f32 v1, v1, v13, v14

	;;#ASMEND
	v_and_b32_e32 v17, 0x7fffffff, v3
	;;#ASMSTART
	v_max3_f32 v1, v1, v15, v16

	;;#ASMEND
	;;#ASMSTART
	v_max3_f32 v13, v1, v17, v18

	;;#ASMEND
	s_cbranch_scc0 .LBB61_10
; %bb.4:
	s_ashr_i32 s7, s10, 31
	s_delay_alu instid0(SALU_CYCLE_1) | instskip(NEXT) | instid1(SALU_CYCLE_1)
	s_lshr_b32 s1, s7, 29
	s_add_i32 s1, s10, s1
	s_delay_alu instid0(SALU_CYCLE_1) | instskip(NEXT) | instid1(SALU_CYCLE_1)
	s_ashr_i32 s1, s1, 3
	s_cmp_lt_i32 s1, 8
	s_cbranch_scc1 .LBB61_11
; %bb.5:
	s_cmp_lt_i32 s1, 16
	s_cbranch_scc1 .LBB61_12
; %bb.6:
	;; [unrolled: 3-line block ×3, first 2 shown]
	v_mov_b32_e32 v1, v13
	s_cmp_eq_u32 s1, 32
	s_cbranch_scc0 .LBB61_9
; %bb.8:
	s_delay_alu instid0(VALU_DEP_1) | instskip(SKIP_1) | instid1(VALU_DEP_1)
	v_mov_b32_dpp v1, v13 quad_perm:[1,0,3,2] row_mask:0xf bank_mask:0xf
	s_mov_b32 s2, 0x76543210
	v_cmp_gt_f32_e32 vcc_lo, v13, v1
	v_cndmask_b32_e32 v1, v1, v13, vcc_lo
	s_delay_alu instid0(VALU_DEP_1) | instskip(NEXT) | instid1(VALU_DEP_1)
	v_mov_b32_dpp v2, v1 quad_perm:[2,3,0,1] row_mask:0xf bank_mask:0xf
	v_cmp_gt_f32_e32 vcc_lo, v1, v2
	v_cndmask_b32_e32 v1, v2, v1, vcc_lo
	s_delay_alu instid0(VALU_DEP_1) | instskip(NEXT) | instid1(VALU_DEP_1)
	v_mov_b32_dpp v2, v1 row_xmask:7 row_mask:0xf bank_mask:0xf
	v_cmp_gt_f32_e32 vcc_lo, v1, v2
	v_cndmask_b32_e32 v1, v2, v1, vcc_lo
	s_delay_alu instid0(VALU_DEP_1) | instskip(NEXT) | instid1(VALU_DEP_1)
	v_mov_b32_dpp v2, v1 row_xmask:15 row_mask:0xf bank_mask:0xf
	v_cmp_gt_f32_e32 vcc_lo, v1, v2
	v_cndmask_b32_e32 v1, v2, v1, vcc_lo
	s_delay_alu instid0(VALU_DEP_1) | instskip(NEXT) | instid1(VALU_DEP_1)
	v_permlanex16_b32 v2, v1, s2, 0xfedcba98 op_sel:[1,1]
	v_cmp_gt_f32_e32 vcc_lo, v1, v2
	v_cndmask_b32_e32 v1, v2, v1, vcc_lo
.LBB61_9:
	s_mov_b32 s2, 0
	s_branch .LBB61_14
.LBB61_10:
	s_mov_b32 s1, 0
                                        ; implicit-def: $vgpr14
                                        ; implicit-def: $vgpr1_vgpr2
	s_and_b32 vcc_lo, exec_lo, s31
	s_cbranch_vccnz .LBB61_38
	s_branch .LBB61_41
.LBB61_11:
                                        ; implicit-def: $vgpr1
	s_branch .LBB61_21
.LBB61_12:
                                        ; implicit-def: $vgpr1
	s_branch .LBB61_18
.LBB61_13:
	s_mov_b32 s2, -1
                                        ; implicit-def: $vgpr1
.LBB61_14:
	s_delay_alu instid0(SALU_CYCLE_1)
	s_and_not1_b32 vcc_lo, exec_lo, s2
	s_cbranch_vccnz .LBB61_17
; %bb.15:
	v_mov_b32_e32 v1, v13
	s_cmp_eq_u32 s1, 16
	s_cbranch_scc0 .LBB61_17
; %bb.16:
	s_delay_alu instid0(VALU_DEP_1) | instskip(NEXT) | instid1(VALU_DEP_1)
	v_mov_b32_dpp v1, v13 quad_perm:[1,0,3,2] row_mask:0xf bank_mask:0xf
	v_cmp_gt_f32_e32 vcc_lo, v13, v1
	v_cndmask_b32_e32 v1, v1, v13, vcc_lo
	s_delay_alu instid0(VALU_DEP_1) | instskip(NEXT) | instid1(VALU_DEP_1)
	v_mov_b32_dpp v2, v1 quad_perm:[2,3,0,1] row_mask:0xf bank_mask:0xf
	v_cmp_gt_f32_e32 vcc_lo, v1, v2
	v_cndmask_b32_e32 v1, v2, v1, vcc_lo
	s_delay_alu instid0(VALU_DEP_1) | instskip(NEXT) | instid1(VALU_DEP_1)
	v_mov_b32_dpp v2, v1 row_half_mirror row_mask:0xf bank_mask:0xf
	v_cmp_gt_f32_e32 vcc_lo, v1, v2
	v_cndmask_b32_e32 v1, v2, v1, vcc_lo
	s_delay_alu instid0(VALU_DEP_1) | instskip(NEXT) | instid1(VALU_DEP_1)
	v_mov_b32_dpp v2, v1 row_mirror row_mask:0xf bank_mask:0xf
	v_cmp_gt_f32_e32 vcc_lo, v1, v2
	v_cndmask_b32_e32 v1, v2, v1, vcc_lo
.LBB61_17:
	s_cbranch_execnz .LBB61_20
.LBB61_18:
	v_mov_b32_e32 v1, v13
	s_cmp_eq_u32 s1, 8
	s_cbranch_scc0 .LBB61_20
; %bb.19:
	s_delay_alu instid0(VALU_DEP_1) | instskip(NEXT) | instid1(VALU_DEP_1)
	v_mov_b32_dpp v1, v13 quad_perm:[1,0,3,2] row_mask:0xf bank_mask:0xf
	v_cmp_gt_f32_e32 vcc_lo, v13, v1
	v_cndmask_b32_e32 v1, v1, v13, vcc_lo
	s_delay_alu instid0(VALU_DEP_1) | instskip(NEXT) | instid1(VALU_DEP_1)
	v_mov_b32_dpp v2, v1 quad_perm:[2,3,0,1] row_mask:0xf bank_mask:0xf
	v_cmp_gt_f32_e32 vcc_lo, v1, v2
	v_cndmask_b32_e32 v1, v2, v1, vcc_lo
	s_delay_alu instid0(VALU_DEP_1) | instskip(NEXT) | instid1(VALU_DEP_1)
	v_mov_b32_dpp v2, v1 row_half_mirror row_mask:0xf bank_mask:0xf
	v_cmp_gt_f32_e32 vcc_lo, v1, v2
	v_cndmask_b32_e32 v1, v2, v1, vcc_lo
.LBB61_20:
	s_cbranch_execnz .LBB61_28
.LBB61_21:
	s_cmp_lt_i32 s1, 4
	s_cbranch_scc1 .LBB61_24
; %bb.22:
	v_mov_b32_e32 v1, v13
	s_cmp_eq_u32 s1, 4
	s_cbranch_scc0 .LBB61_25
; %bb.23:
	s_delay_alu instid0(VALU_DEP_1) | instskip(NEXT) | instid1(VALU_DEP_1)
	v_mov_b32_dpp v1, v13 quad_perm:[1,0,3,2] row_mask:0xf bank_mask:0xf
	v_cmp_gt_f32_e32 vcc_lo, v13, v1
	v_cndmask_b32_e32 v1, v1, v13, vcc_lo
	s_delay_alu instid0(VALU_DEP_1) | instskip(NEXT) | instid1(VALU_DEP_1)
	v_mov_b32_dpp v2, v1 quad_perm:[2,3,0,1] row_mask:0xf bank_mask:0xf
	v_cmp_gt_f32_e32 vcc_lo, v1, v2
	v_cndmask_b32_e32 v1, v2, v1, vcc_lo
	s_cbranch_execz .LBB61_26
	s_branch .LBB61_28
.LBB61_24:
                                        ; implicit-def: $vgpr1
	s_branch .LBB61_26
.LBB61_25:
	s_cbranch_execnz .LBB61_28
.LBB61_26:
	v_mov_b32_e32 v1, v13
	s_cmp_lg_u32 s1, 2
	s_cbranch_scc1 .LBB61_28
; %bb.27:
	s_delay_alu instid0(VALU_DEP_1) | instskip(NEXT) | instid1(VALU_DEP_1)
	v_mov_b32_dpp v1, v13 quad_perm:[1,0,3,2] row_mask:0xf bank_mask:0xf
	v_cmp_gt_f32_e32 vcc_lo, v13, v1
	v_cndmask_b32_e32 v1, v1, v13, vcc_lo
.LBB61_28:
	v_cvt_f32_u32_e32 v2, s1
	s_sub_i32 s2, 0, s1
	s_mov_b32 s31, 0
	s_delay_alu instid0(VALU_DEP_1) | instskip(SKIP_2) | instid1(VALU_DEP_1)
	v_rcp_iflag_f32_e32 v2, v2
	s_waitcnt_depctr 0xfff
	v_mul_f32_e32 v2, 0x4f7ffffe, v2
	v_cvt_u32_f32_e32 v2, v2
	s_delay_alu instid0(VALU_DEP_1) | instskip(NEXT) | instid1(VALU_DEP_1)
	v_mul_lo_u32 v14, s2, v2
	v_mul_hi_u32 v14, v2, v14
	s_delay_alu instid0(VALU_DEP_1) | instskip(NEXT) | instid1(VALU_DEP_1)
	v_add_nc_u32_e32 v2, v2, v14
	v_mul_hi_u32 v2, v0, v2
	s_delay_alu instid0(VALU_DEP_1) | instskip(NEXT) | instid1(VALU_DEP_1)
	v_mul_lo_u32 v14, v2, s1
	v_sub_nc_u32_e32 v14, v0, v14
	s_delay_alu instid0(VALU_DEP_1) | instskip(SKIP_1) | instid1(VALU_DEP_2)
	v_subrev_nc_u32_e32 v16, s1, v14
	v_cmp_le_u32_e32 vcc_lo, s1, v14
	v_dual_cndmask_b32 v14, v14, v16 :: v_dual_add_nc_u32 v15, 1, v2
	s_delay_alu instid0(VALU_DEP_1) | instskip(NEXT) | instid1(VALU_DEP_2)
	v_cndmask_b32_e32 v2, v2, v15, vcc_lo
	v_cmp_le_u32_e32 vcc_lo, s1, v14
	s_delay_alu instid0(VALU_DEP_2) | instskip(NEXT) | instid1(VALU_DEP_1)
	v_dual_mul_f32 v14, 0x3c010204, v1 :: v_dual_add_nc_u32 v15, 1, v2
	v_cndmask_b32_e32 v15, v2, v15, vcc_lo
	v_cmp_gt_u32_e32 vcc_lo, s5, v5
	s_delay_alu instid0(VALU_DEP_2) | instskip(NEXT) | instid1(VALU_DEP_1)
	v_mul_lo_u32 v2, v15, s1
	v_sub_nc_u32_e32 v2, v0, v2
	s_delay_alu instid0(VALU_DEP_1) | instskip(NEXT) | instid1(VALU_DEP_1)
	v_cmp_eq_u32_e64 s1, 0, v2
                                        ; implicit-def: $vgpr1_vgpr2
	s_and_b32 s2, s1, vcc_lo
	s_mov_b32 s1, 0
	s_and_saveexec_b32 s3, s2
	s_delay_alu instid0(SALU_CYCLE_1)
	s_xor_b32 s8, exec_lo, s3
	s_cbranch_execz .LBB61_37
; %bb.29:
	s_bitcmp0_b32 s11, 0
	s_mov_b32 s6, 0
	s_cbranch_scc0 .LBB61_34
; %bb.30:
	s_ashr_i32 s1, s5, 31
	s_mul_hi_u32 s3, s5, s34
	s_mul_i32 s1, s1, s34
	s_mul_i32 s2, s5, s34
	s_add_i32 s3, s3, s1
	s_mov_b32 s11, s7
	s_delay_alu instid0(SALU_CYCLE_1) | instskip(NEXT) | instid1(SALU_CYCLE_1)
	s_or_b64 s[14:15], s[2:3], s[10:11]
	s_mov_b32 s7, s15
	s_delay_alu instid0(SALU_CYCLE_1)
	s_cmp_lg_u64 s[6:7], 0
	s_cbranch_scc0 .LBB61_45
; %bb.31:
	s_add_u32 s14, s10, s11
	s_mov_b32 s6, s11
	s_mov_b32 s7, s11
	s_addc_u32 s15, s11, s11
	s_delay_alu instid0(SALU_CYCLE_1) | instskip(NEXT) | instid1(SALU_CYCLE_1)
	s_xor_b64 s[14:15], s[14:15], s[6:7]
	v_cvt_f32_u32_e32 v1, s14
	v_cvt_f32_u32_e32 v2, s15
	s_sub_u32 s18, 0, s14
	s_subb_u32 s19, 0, s15
	s_delay_alu instid0(VALU_DEP_1) | instskip(NEXT) | instid1(VALU_DEP_1)
	v_fmamk_f32 v1, v2, 0x4f800000, v1
	v_rcp_f32_e32 v1, v1
	s_waitcnt_depctr 0xfff
	v_mul_f32_e32 v1, 0x5f7ffffc, v1
	s_delay_alu instid0(VALU_DEP_1) | instskip(NEXT) | instid1(VALU_DEP_1)
	v_mul_f32_e32 v2, 0x2f800000, v1
	v_trunc_f32_e32 v2, v2
	s_delay_alu instid0(VALU_DEP_1) | instskip(SKIP_1) | instid1(VALU_DEP_2)
	v_fmamk_f32 v1, v2, 0xcf800000, v1
	v_cvt_u32_f32_e32 v2, v2
	v_cvt_u32_f32_e32 v1, v1
	s_delay_alu instid0(VALU_DEP_2) | instskip(NEXT) | instid1(VALU_DEP_2)
	v_readfirstlane_b32 s1, v2
	v_readfirstlane_b32 s11, v1
	s_delay_alu instid0(VALU_DEP_2) | instskip(NEXT) | instid1(VALU_DEP_1)
	s_mul_i32 s20, s18, s1
	s_mul_hi_u32 s22, s18, s11
	s_mul_i32 s21, s19, s11
	s_add_i32 s20, s22, s20
	s_mul_i32 s23, s18, s11
	s_add_i32 s20, s20, s21
	s_mul_hi_u32 s22, s11, s23
	s_mul_hi_u32 s24, s1, s23
	s_mul_i32 s21, s1, s23
	s_mul_hi_u32 s23, s11, s20
	s_mul_i32 s11, s11, s20
	s_mul_hi_u32 s25, s1, s20
	s_add_u32 s11, s22, s11
	s_addc_u32 s22, 0, s23
	s_add_u32 s11, s11, s21
	s_mul_i32 s20, s1, s20
	s_addc_u32 s11, s22, s24
	s_addc_u32 s21, s25, 0
	s_add_u32 s11, s11, s20
	s_addc_u32 s20, 0, s21
	v_add_co_u32 v1, s11, v1, s11
	s_delay_alu instid0(VALU_DEP_1) | instskip(SKIP_1) | instid1(VALU_DEP_1)
	s_cmp_lg_u32 s11, 0
	s_addc_u32 s1, s1, s20
	v_readfirstlane_b32 s11, v1
	s_mul_i32 s20, s18, s1
	s_delay_alu instid0(VALU_DEP_1)
	s_mul_hi_u32 s21, s18, s11
	s_mul_i32 s19, s19, s11
	s_add_i32 s20, s21, s20
	s_mul_i32 s18, s18, s11
	s_add_i32 s20, s20, s19
	s_mul_hi_u32 s21, s1, s18
	s_mul_i32 s22, s1, s18
	s_mul_hi_u32 s18, s11, s18
	s_mul_hi_u32 s23, s11, s20
	s_mul_i32 s11, s11, s20
	s_mul_hi_u32 s19, s1, s20
	s_add_u32 s11, s18, s11
	s_addc_u32 s18, 0, s23
	s_add_u32 s11, s11, s22
	s_mul_i32 s20, s1, s20
	s_addc_u32 s11, s18, s21
	s_addc_u32 s18, s19, 0
	s_add_u32 s11, s11, s20
	s_addc_u32 s18, 0, s18
	v_add_co_u32 v1, s11, v1, s11
	s_delay_alu instid0(VALU_DEP_1) | instskip(SKIP_2) | instid1(SALU_CYCLE_1)
	s_cmp_lg_u32 s11, 0
	s_addc_u32 s1, s1, s18
	s_ashr_i32 s18, s3, 31
	s_add_u32 s20, s2, s18
	s_addc_u32 s21, s3, s18
	v_readfirstlane_b32 s3, v1
	s_mov_b32 s19, s18
	s_delay_alu instid0(SALU_CYCLE_1) | instskip(NEXT) | instid1(SALU_CYCLE_1)
	s_xor_b64 s[20:21], s[20:21], s[18:19]
	s_mul_i32 s22, s20, s1
	s_delay_alu instid0(VALU_DEP_1)
	s_mul_hi_u32 s23, s20, s3
	s_mul_hi_u32 s11, s20, s1
	;; [unrolled: 1-line block ×3, first 2 shown]
	s_mul_i32 s3, s21, s3
	s_add_u32 s22, s23, s22
	s_addc_u32 s11, 0, s11
	s_mul_hi_u32 s24, s21, s1
	s_add_u32 s3, s22, s3
	s_mul_i32 s1, s21, s1
	s_addc_u32 s3, s11, s25
	s_addc_u32 s11, s24, 0
	s_add_u32 s3, s3, s1
	s_addc_u32 s11, 0, s11
	s_mul_i32 s24, s14, s3
	s_mul_hi_u32 s1, s14, s3
	s_mul_i32 s23, s14, s11
	v_sub_co_u32 v1, s20, s20, s24
	s_mul_i32 s22, s15, s3
	s_add_i32 s1, s1, s23
	s_delay_alu instid0(SALU_CYCLE_1) | instskip(NEXT) | instid1(VALU_DEP_1)
	s_add_i32 s1, s1, s22
	v_sub_co_u32 v2, s23, v1, s14
	s_sub_i32 s22, s21, s1
	s_cmp_lg_u32 s20, 0
	s_subb_u32 s22, s22, s15
	s_cmp_lg_u32 s23, 0
	v_cmp_le_u32_e32 vcc_lo, s14, v2
	s_subb_u32 s22, s22, 0
	s_delay_alu instid0(SALU_CYCLE_1)
	s_cmp_ge_u32 s22, s15
	v_cndmask_b32_e64 v2, 0, -1, vcc_lo
	s_cselect_b32 s23, -1, 0
	s_cmp_eq_u32 s22, s15
	s_cselect_b32 vcc_lo, -1, 0
	s_add_u32 s22, s3, 1
	v_cndmask_b32_e32 v2, s23, v2, vcc_lo
	s_addc_u32 s23, s11, 0
	s_add_u32 s24, s3, 2
	s_addc_u32 s25, s11, 0
	s_cmp_lg_u32 s20, 0
	v_cmp_le_u32_e32 vcc_lo, s14, v1
	s_subb_u32 s1, s21, s1
	v_mov_b32_e32 v16, s24
	s_cmp_ge_u32 s1, s15
	v_cndmask_b32_e64 v1, 0, -1, vcc_lo
	s_cselect_b32 s14, -1, 0
	s_cmp_eq_u32 s1, s15
	v_cmp_ne_u32_e32 vcc_lo, 0, v2
	v_mov_b32_e32 v2, s25
	s_cselect_b32 s1, -1, 0
	s_xor_b64 s[6:7], s[18:19], s[6:7]
	v_cndmask_b32_e64 v1, s14, v1, s1
	v_cndmask_b32_e32 v16, s22, v16, vcc_lo
	v_cndmask_b32_e32 v2, s23, v2, vcc_lo
	s_delay_alu instid0(VALU_DEP_3) | instskip(NEXT) | instid1(VALU_DEP_2)
	v_cmp_ne_u32_e32 vcc_lo, 0, v1
	v_cndmask_b32_e32 v1, s11, v2, vcc_lo
	s_delay_alu instid0(VALU_DEP_4) | instskip(NEXT) | instid1(VALU_DEP_2)
	v_cndmask_b32_e32 v2, s3, v16, vcc_lo
	v_xor_b32_e32 v16, s7, v1
	s_delay_alu instid0(VALU_DEP_2) | instskip(NEXT) | instid1(VALU_DEP_1)
	v_xor_b32_e32 v2, s6, v2
	v_sub_co_u32 v1, vcc_lo, v2, s6
	s_delay_alu instid0(VALU_DEP_3)
	v_subrev_co_ci_u32_e32 v2, vcc_lo, s7, v16, vcc_lo
	s_cbranch_execnz .LBB61_33
.LBB61_32:
	v_cvt_f32_u32_e32 v1, s10
	s_sub_i32 s3, 0, s10
	s_delay_alu instid0(VALU_DEP_1) | instskip(SKIP_2) | instid1(VALU_DEP_1)
	v_rcp_iflag_f32_e32 v1, v1
	s_waitcnt_depctr 0xfff
	v_mul_f32_e32 v1, 0x4f7ffffe, v1
	v_cvt_u32_f32_e32 v1, v1
	s_delay_alu instid0(VALU_DEP_1) | instskip(NEXT) | instid1(VALU_DEP_1)
	v_readfirstlane_b32 s1, v1
	s_mul_i32 s3, s3, s1
	s_delay_alu instid0(SALU_CYCLE_1) | instskip(NEXT) | instid1(SALU_CYCLE_1)
	s_mul_hi_u32 s3, s1, s3
	s_add_i32 s1, s1, s3
	s_delay_alu instid0(SALU_CYCLE_1) | instskip(NEXT) | instid1(SALU_CYCLE_1)
	s_mul_hi_u32 s1, s2, s1
	s_mul_i32 s3, s1, s10
	s_delay_alu instid0(SALU_CYCLE_1)
	s_sub_i32 s2, s2, s3
	s_add_i32 s3, s1, 1
	s_sub_i32 s6, s2, s10
	s_cmp_ge_u32 s2, s10
	s_cselect_b32 s1, s3, s1
	s_cselect_b32 s2, s6, s2
	s_add_i32 s6, s1, 1
	s_cmp_ge_u32 s2, s10
	s_mov_b32 s3, 0
	s_cselect_b32 s2, s6, s1
	s_delay_alu instid0(SALU_CYCLE_1)
	v_dual_mov_b32 v1, s2 :: v_dual_mov_b32 v2, s3
.LBB61_33:
	s_delay_alu instid0(VALU_DEP_1) | instskip(NEXT) | instid1(VALU_DEP_2)
	v_add_co_u32 v1, vcc_lo, v1, v15
	v_add_co_ci_u32_e32 v2, vcc_lo, 0, v2, vcc_lo
	s_branch .LBB61_36
.LBB61_34:
                                        ; implicit-def: $vgpr1_vgpr2
	s_cbranch_execz .LBB61_36
; %bb.35:
	v_mul_lo_u32 v1, v15, s4
	s_delay_alu instid0(VALU_DEP_1) | instskip(SKIP_1) | instid1(VALU_DEP_2)
	v_ashrrev_i32_e32 v2, 31, v1
	v_add_co_u32 v1, vcc_lo, v1, s34
	v_add_co_ci_u32_e32 v2, vcc_lo, 0, v2, vcc_lo
.LBB61_36:
	s_mov_b32 s1, exec_lo
.LBB61_37:
	s_or_b32 exec_lo, exec_lo, s8
	s_delay_alu instid0(SALU_CYCLE_1)
	s_and_b32 vcc_lo, exec_lo, s31
	s_cbranch_vccz .LBB61_41
.LBB61_38:
	v_mov_b32_dpp v1, v13 quad_perm:[1,0,3,2] row_mask:0xf bank_mask:0xf
	s_mov_b32 s1, 0x76543210
	s_delay_alu instid0(VALU_DEP_1) | instskip(SKIP_1) | instid1(VALU_DEP_1)
	v_cmp_gt_f32_e32 vcc_lo, v13, v1
	v_cndmask_b32_e32 v1, v1, v13, vcc_lo
	v_mov_b32_dpp v2, v1 quad_perm:[2,3,0,1] row_mask:0xf bank_mask:0xf
	s_delay_alu instid0(VALU_DEP_1) | instskip(SKIP_1) | instid1(VALU_DEP_1)
	v_cmp_gt_f32_e32 vcc_lo, v1, v2
	v_cndmask_b32_e32 v1, v2, v1, vcc_lo
	v_mov_b32_dpp v2, v1 row_xmask:7 row_mask:0xf bank_mask:0xf
	s_delay_alu instid0(VALU_DEP_1) | instskip(SKIP_1) | instid1(VALU_DEP_1)
	v_cmp_gt_f32_e32 vcc_lo, v1, v2
	v_cndmask_b32_e32 v1, v2, v1, vcc_lo
	v_mov_b32_dpp v2, v1 row_xmask:15 row_mask:0xf bank_mask:0xf
	s_delay_alu instid0(VALU_DEP_1)
	v_cmp_gt_f32_e32 vcc_lo, v1, v2
	s_and_saveexec_b32 s2, s0
	s_cbranch_execz .LBB61_40
; %bb.39:
	v_cndmask_b32_e32 v1, v2, v1, vcc_lo
	v_lshrrev_b32_e32 v2, 3, v0
	s_delay_alu instid0(VALU_DEP_1) | instskip(NEXT) | instid1(VALU_DEP_3)
	v_and_b32_e32 v2, 0x7c, v2
	v_permlanex16_b32 v13, v1, s1, 0xfedcba98 op_sel:[1,1]
	s_delay_alu instid0(VALU_DEP_1)
	v_cmp_gt_f32_e32 vcc_lo, v1, v13
	v_cndmask_b32_e32 v1, v13, v1, vcc_lo
	ds_store_b32 v2, v1
.LBB61_40:
	s_or_b32 exec_lo, exec_lo, s2
	s_waitcnt lgkmcnt(0)
	s_barrier
	buffer_gl0_inv
	ds_load_b32 v1, v6
	s_waitcnt lgkmcnt(0)
	v_mov_b32_dpp v2, v1 quad_perm:[1,0,3,2] row_mask:0xf bank_mask:0xf
	s_delay_alu instid0(VALU_DEP_1) | instskip(SKIP_1) | instid1(VALU_DEP_1)
	v_cmp_gt_f32_e32 vcc_lo, v1, v2
	v_cndmask_b32_e32 v1, v2, v1, vcc_lo
	v_mov_b32_dpp v2, v1 quad_perm:[2,3,0,1] row_mask:0xf bank_mask:0xf
	s_delay_alu instid0(VALU_DEP_1) | instskip(SKIP_1) | instid1(VALU_DEP_1)
	v_cmp_gt_f32_e32 vcc_lo, v1, v2
	v_cndmask_b32_e32 v1, v2, v1, vcc_lo
	v_mov_b32_dpp v2, v1 row_xmask:7 row_mask:0xf bank_mask:0xf
	s_delay_alu instid0(VALU_DEP_1) | instskip(SKIP_1) | instid1(VALU_DEP_1)
	v_cmp_gt_f32_e32 vcc_lo, v1, v2
	v_cndmask_b32_e32 v1, v2, v1, vcc_lo
	v_mov_b32_dpp v2, v1 row_xmask:15 row_mask:0xf bank_mask:0xf
	s_delay_alu instid0(VALU_DEP_1) | instskip(SKIP_1) | instid1(VALU_DEP_1)
	v_cmp_gt_f32_e32 vcc_lo, v1, v2
	v_cndmask_b32_e32 v1, v2, v1, vcc_lo
	v_permlanex16_b32 v2, v1, s1, 0xfedcba98 op_sel:[1,1]
	v_cmp_eq_u32_e64 s1, 0, v0
	s_delay_alu instid0(VALU_DEP_2) | instskip(SKIP_1) | instid1(VALU_DEP_1)
	v_cmp_gt_f32_e32 vcc_lo, v1, v2
	v_cndmask_b32_e32 v1, v2, v1, vcc_lo
	v_dual_mul_f32 v14, 0x3c010204, v1 :: v_dual_mov_b32 v1, s34
	v_mov_b32_e32 v2, s35
.LBB61_41:
	s_and_saveexec_b32 s0, s1
	s_cbranch_execz .LBB61_43
; %bb.42:
	s_delay_alu instid0(VALU_DEP_1) | instskip(NEXT) | instid1(VALU_DEP_1)
	v_lshlrev_b64 v[0:1], 2, v[1:2]
	v_add_co_u32 v0, vcc_lo, s16, v0
	s_delay_alu instid0(VALU_DEP_2)
	v_add_co_ci_u32_e32 v1, vcc_lo, s17, v1, vcc_lo
	global_store_b32 v[0:1], v14, off
.LBB61_43:
	s_or_b32 exec_lo, exec_lo, s0
	;;#ASMSTART
	v_rcp_f32 v0, v14
	;;#ASMEND
	v_mul_f32_e32 v7, v7, v0
	v_mul_f32_e32 v1, v12, v0
	;; [unrolled: 1-line block ×4, first 2 shown]
	s_add_i32 s0, s5, 3
	v_cvt_i32_f32_e32 v7, v7
	v_mul_f32_e32 v2, v11, v0
	v_cvt_i32_f32_e32 v1, v1
	v_mul_f32_e32 v6, v9, v0
	v_cvt_i32_f32_e32 v4, v4
	v_and_b32_e32 v7, 0xff, v7
	v_cvt_i32_f32_e32 v2, v2
	v_and_b32_e32 v1, 0xff, v1
	s_ashr_i32 s1, s0, 31
	v_lshlrev_b16 v4, 8, v4
	s_lshr_b32 s1, s1, 30
	v_lshlrev_b16 v2, 8, v2
	s_add_i32 s0, s0, s1
	s_ashr_i32 s1, s9, 31
	s_and_b32 s2, s0, -4
	s_mul_hi_u32 s0, s9, s34
	v_or_b32_e32 v1, v1, v2
	v_mul_f32_e32 v9, v10, v0
	v_mul_f32_e32 v0, v3, v0
	v_cvt_i32_f32_e32 v3, v6
	s_mul_i32 s1, s1, s34
	s_mul_i32 s3, s9, s34
	s_add_i32 s1, s0, s1
	v_cvt_i32_f32_e32 v0, v0
	v_and_b32_e32 v3, 0xff, v3
	v_cvt_i32_f32_e32 v6, v8
	s_add_u32 s0, s12, s3
	s_addc_u32 s1, s13, s1
	v_and_b32_e32 v0, 0xff, v0
	s_and_b32 s1, s1, 0xffff
	v_lshlrev_b16 v6, 8, v6
	s_mov_b32 s3, -1
	s_delay_alu instid0(VALU_DEP_2) | instskip(SKIP_3) | instid1(VALU_DEP_4)
	v_or_b32_e32 v0, v0, v4
	v_and_b32_e32 v4, 0xffff, v1
	v_cvt_i32_f32_e32 v8, v9
	v_or_b32_e32 v6, v7, v6
	v_lshlrev_b32_e32 v0, 16, v0
	s_delay_alu instid0(VALU_DEP_3) | instskip(NEXT) | instid1(VALU_DEP_1)
	v_lshlrev_b16 v8, 8, v8
	v_or_b32_e32 v2, v3, v8
	s_delay_alu instid0(VALU_DEP_4) | instskip(NEXT) | instid1(VALU_DEP_2)
	v_and_b32_e32 v3, 0xffff, v6
	v_lshlrev_b32_e32 v2, 16, v2
	s_delay_alu instid0(VALU_DEP_2) | instskip(NEXT) | instid1(VALU_DEP_2)
	v_or_b32_e32 v1, v3, v0
	v_or_b32_e32 v0, v4, v2
	buffer_store_b64 v[0:1], v5, s[0:3], 0 offen
	;;#ASMSTART
	s_nop 0
	;;#ASMEND
.LBB61_44:
	s_nop 0
	s_sendmsg sendmsg(MSG_DEALLOC_VGPRS)
	s_endpgm
.LBB61_45:
                                        ; implicit-def: $vgpr1_vgpr2
	s_branch .LBB61_32
	.section	.rodata,"a",@progbits
	.p2align	6, 0x0
	.amdhsa_kernel _ZN5aiter24add_rmsnorm_quant_kernelIDF16_aLi1024ELi8ELb1ELb1ELb1ELi1EEEvPT0_PT_PfS4_S4_S4_diiiiiiib
		.amdhsa_group_segment_fixed_size 256
		.amdhsa_private_segment_fixed_size 0
		.amdhsa_kernarg_size 88
		.amdhsa_user_sgpr_count 15
		.amdhsa_user_sgpr_dispatch_ptr 0
		.amdhsa_user_sgpr_queue_ptr 0
		.amdhsa_user_sgpr_kernarg_segment_ptr 1
		.amdhsa_user_sgpr_dispatch_id 0
		.amdhsa_user_sgpr_private_segment_size 0
		.amdhsa_wavefront_size32 1
		.amdhsa_uses_dynamic_stack 0
		.amdhsa_enable_private_segment 0
		.amdhsa_system_sgpr_workgroup_id_x 1
		.amdhsa_system_sgpr_workgroup_id_y 0
		.amdhsa_system_sgpr_workgroup_id_z 0
		.amdhsa_system_sgpr_workgroup_info 0
		.amdhsa_system_vgpr_workitem_id 0
		.amdhsa_next_free_vgpr 25
		.amdhsa_next_free_sgpr 36
		.amdhsa_reserve_vcc 1
		.amdhsa_float_round_mode_32 0
		.amdhsa_float_round_mode_16_64 0
		.amdhsa_float_denorm_mode_32 3
		.amdhsa_float_denorm_mode_16_64 3
		.amdhsa_dx10_clamp 1
		.amdhsa_ieee_mode 1
		.amdhsa_fp16_overflow 0
		.amdhsa_workgroup_processor_mode 1
		.amdhsa_memory_ordered 1
		.amdhsa_forward_progress 0
		.amdhsa_shared_vgpr_count 0
		.amdhsa_exception_fp_ieee_invalid_op 0
		.amdhsa_exception_fp_denorm_src 0
		.amdhsa_exception_fp_ieee_div_zero 0
		.amdhsa_exception_fp_ieee_overflow 0
		.amdhsa_exception_fp_ieee_underflow 0
		.amdhsa_exception_fp_ieee_inexact 0
		.amdhsa_exception_int_div_zero 0
	.end_amdhsa_kernel
	.section	.text._ZN5aiter24add_rmsnorm_quant_kernelIDF16_aLi1024ELi8ELb1ELb1ELb1ELi1EEEvPT0_PT_PfS4_S4_S4_diiiiiiib,"axG",@progbits,_ZN5aiter24add_rmsnorm_quant_kernelIDF16_aLi1024ELi8ELb1ELb1ELb1ELi1EEEvPT0_PT_PfS4_S4_S4_diiiiiiib,comdat
.Lfunc_end61:
	.size	_ZN5aiter24add_rmsnorm_quant_kernelIDF16_aLi1024ELi8ELb1ELb1ELb1ELi1EEEvPT0_PT_PfS4_S4_S4_diiiiiiib, .Lfunc_end61-_ZN5aiter24add_rmsnorm_quant_kernelIDF16_aLi1024ELi8ELb1ELb1ELb1ELi1EEEvPT0_PT_PfS4_S4_S4_diiiiiiib
                                        ; -- End function
	.section	.AMDGPU.csdata,"",@progbits
; Kernel info:
; codeLenInByte = 3536
; NumSgprs: 38
; NumVgprs: 25
; ScratchSize: 0
; MemoryBound: 0
; FloatMode: 240
; IeeeMode: 1
; LDSByteSize: 256 bytes/workgroup (compile time only)
; SGPRBlocks: 4
; VGPRBlocks: 3
; NumSGPRsForWavesPerEU: 38
; NumVGPRsForWavesPerEU: 25
; Occupancy: 16
; WaveLimiterHint : 0
; COMPUTE_PGM_RSRC2:SCRATCH_EN: 0
; COMPUTE_PGM_RSRC2:USER_SGPR: 15
; COMPUTE_PGM_RSRC2:TRAP_HANDLER: 0
; COMPUTE_PGM_RSRC2:TGID_X_EN: 1
; COMPUTE_PGM_RSRC2:TGID_Y_EN: 0
; COMPUTE_PGM_RSRC2:TGID_Z_EN: 0
; COMPUTE_PGM_RSRC2:TIDIG_COMP_CNT: 0
	.section	.text._ZN5aiter24add_rmsnorm_quant_kernelItaLi1024ELi8ELb1ELb1ELb1ELi1EEEvPT0_PT_PfS4_S4_S4_diiiiiiib,"axG",@progbits,_ZN5aiter24add_rmsnorm_quant_kernelItaLi1024ELi8ELb1ELb1ELb1ELi1EEEvPT0_PT_PfS4_S4_S4_diiiiiiib,comdat
	.protected	_ZN5aiter24add_rmsnorm_quant_kernelItaLi1024ELi8ELb1ELb1ELb1ELi1EEEvPT0_PT_PfS4_S4_S4_diiiiiiib ; -- Begin function _ZN5aiter24add_rmsnorm_quant_kernelItaLi1024ELi8ELb1ELb1ELb1ELi1EEEvPT0_PT_PfS4_S4_S4_diiiiiiib
	.globl	_ZN5aiter24add_rmsnorm_quant_kernelItaLi1024ELi8ELb1ELb1ELb1ELi1EEEvPT0_PT_PfS4_S4_S4_diiiiiiib
	.p2align	8
	.type	_ZN5aiter24add_rmsnorm_quant_kernelItaLi1024ELi8ELb1ELb1ELb1ELi1EEEvPT0_PT_PfS4_S4_S4_diiiiiiib,@function
_ZN5aiter24add_rmsnorm_quant_kernelItaLi1024ELi8ELb1ELb1ELb1ELi1EEEvPT0_PT_PfS4_S4_S4_diiiiiiib: ; @_ZN5aiter24add_rmsnorm_quant_kernelItaLi1024ELi8ELb1ELb1ELb1ELi1EEEvPT0_PT_PfS4_S4_S4_diiiiiiib
; %bb.0:
	s_load_b256 s[4:11], s[0:1], 0x38
	s_mov_b32 s34, s15
	s_mov_b32 s35, 0
	s_waitcnt lgkmcnt(0)
	s_ashr_i32 s3, s4, 31
	s_mov_b32 s2, s4
	s_delay_alu instid0(SALU_CYCLE_1) | instskip(NEXT) | instid1(VALU_DEP_1)
	v_cmp_ge_i64_e64 s2, s[34:35], s[2:3]
	s_and_b32 vcc_lo, exec_lo, s2
	s_cbranch_vccnz .LBB62_44
; %bb.1:
	s_clause 0x1
	s_load_b256 s[12:19], s[0:1], 0x0
	s_load_b256 s[20:27], s[0:1], 0x20
	s_ashr_i32 s1, s6, 31
	s_mul_hi_u32 s2, s6, s34
	s_mul_i32 s1, s1, s34
	s_mul_i32 s0, s6, s34
	s_add_i32 s1, s2, s1
	s_mul_hi_u32 s3, s7, s34
	s_lshl_b64 s[0:1], s[0:1], 1
	s_mul_i32 s2, s7, s34
	v_lshlrev_b32_e32 v20, 4, v0
	s_mov_b32 s31, -1
	s_waitcnt lgkmcnt(0)
	s_add_u32 s28, s18, s0
	s_addc_u32 s0, s19, s1
	s_add_i32 s6, s5, 1
	s_ashr_i32 s7, s7, 31
	s_lshr_b32 s18, s6, 31
	s_mul_i32 s7, s7, s34
	s_add_i32 s6, s6, s18
	s_and_b32 s29, s0, 0xffff
	s_lshl_b32 s0, s6, 1
	s_add_i32 s3, s3, s7
	s_and_b32 s30, s0, -4
	s_lshl_b64 s[2:3], s[2:3], 1
	s_and_b32 s1, s23, 0xffff
	buffer_load_b128 v[5:8], v20, s[28:31], 0 offen glc slc
	s_add_u32 s28, s20, s2
	s_addc_u32 s0, s21, s3
	s_mov_b32 s3, s31
	s_and_b32 s29, s0, 0xffff
	s_mov_b32 s0, s22
	buffer_load_b128 v[9:12], v20, s[28:31], 0 offen glc slc
	s_mov_b32 s2, s30
	s_waitcnt vmcnt(1)
	v_lshrrev_b32_e32 v15, 16, v7
	v_and_b32_e32 v17, 0xffff, v7
	v_lshrrev_b32_e32 v14, 16, v6
	v_lshrrev_b32_e32 v18, 16, v8
	s_waitcnt vmcnt(0)
	v_and_b32_e32 v7, 0xffff, v9
	v_lshrrev_b32_e32 v16, 16, v9
	s_delay_alu instid0(VALU_DEP_2) | instskip(SKIP_2) | instid1(VALU_DEP_4)
	v_cvt_f32_u32_e32 v19, v7
	v_and_b32_e32 v13, 0xffff, v5
	v_lshrrev_b32_e32 v5, 16, v5
	v_cvt_f32_u32_e32 v9, v16
	v_and_b32_e32 v16, 0xffff, v8
	s_delay_alu instid0(VALU_DEP_4) | instskip(NEXT) | instid1(VALU_DEP_4)
	v_cvt_f32_u32_e32 v8, v13
	v_cvt_f32_u32_e32 v5, v5
	s_delay_alu instid0(VALU_DEP_2) | instskip(NEXT) | instid1(VALU_DEP_2)
	v_dual_add_f32 v8, v8, v19 :: v_dual_and_b32 v13, 0xffff, v10
	v_add_f32_e32 v7, v5, v9
	buffer_load_b128 v[1:4], v20, s[0:3], 0 offen
	v_and_b32_e32 v6, 0xffff, v6
	v_cvt_f32_u32_e32 v9, v13
	v_and_b32_e32 v13, 0xffff, v11
	v_mul_f32_e32 v19, v7, v7
	v_lshrrev_b32_e32 v11, 16, v11
	v_cvt_f32_u32_e32 v5, v6
	v_lshrrev_b32_e32 v6, 16, v10
	v_cvt_f32_u32_e32 v10, v14
	v_fmac_f32_e32 v19, v8, v8
	v_cvt_f32_u32_e32 v13, v13
	v_add_f32_e32 v9, v5, v9
	v_cvt_f32_u32_e32 v6, v6
	v_and_b32_e32 v14, 0xffff, v12
	s_ashr_i32 s0, s8, 31
	s_mul_hi_u32 s1, s8, s34
	s_delay_alu instid0(VALU_DEP_2)
	v_dual_fmac_f32 v19, v9, v9 :: v_dual_add_f32 v10, v10, v6
	v_cvt_f32_u32_e32 v5, v17
	v_cvt_f32_u32_e32 v6, v15
	;; [unrolled: 1-line block ×4, first 2 shown]
	v_fmac_f32_e32 v19, v10, v10
	v_add_f32_e32 v11, v5, v13
	v_cvt_f32_u32_e32 v5, v16
	v_lshrrev_b32_e32 v13, 16, v12
	v_add_f32_e32 v12, v6, v15
	v_cvt_f32_u32_e32 v6, v18
	v_fmac_f32_e32 v19, v11, v11
	s_mul_i32 s2, s0, s34
	v_cvt_f32_u32_e32 v15, v13
	v_add_f32_e32 v13, v5, v14
	s_mul_i32 s0, s8, s34
	v_fmac_f32_e32 v19, v12, v12
	s_add_i32 s1, s1, s2
	v_add_f32_e32 v14, v6, v15
	s_lshl_b64 s[0:1], s[0:1], 1
	v_perm_b32 v18, v12, v11, 0x7060302
	v_fmac_f32_e32 v19, v13, v13
	s_add_u32 s28, s14, s0
	s_addc_u32 s0, s15, s1
	v_perm_b32 v17, v10, v9, 0x7060302
	v_perm_b32 v16, v7, v8, 0x7060302
	v_fmac_f32_e32 v19, v14, v14
	s_and_b32 s29, s0, 0xffff
	s_mov_b32 s1, 0x76543210
	s_delay_alu instid0(VALU_DEP_1) | instskip(NEXT) | instid1(VALU_DEP_1)
	v_mov_b32_dpp v5, v19 quad_perm:[1,0,3,2] row_mask:0xf bank_mask:0xf
	v_add_f32_e32 v5, v19, v5
	v_perm_b32 v19, v14, v13, 0x7060302
	s_delay_alu instid0(VALU_DEP_2) | instskip(SKIP_3) | instid1(VALU_DEP_1)
	v_mov_b32_dpp v6, v5 quad_perm:[2,3,0,1] row_mask:0xf bank_mask:0xf
	buffer_store_b128 v[16:19], v20, s[28:31], 0 offen glc slc
	;;#ASMSTART
	s_nop 0
	;;#ASMEND
	v_dual_add_f32 v6, v5, v6 :: v_dual_and_b32 v5, 31, v0
	v_mov_b32_dpp v15, v6 row_xmask:7 row_mask:0xf bank_mask:0xf
	s_delay_alu instid0(VALU_DEP_2) | instskip(NEXT) | instid1(VALU_DEP_2)
	v_cmp_eq_u32_e64 s0, 31, v5
	v_add_f32_e32 v6, v6, v15
	s_delay_alu instid0(VALU_DEP_1) | instskip(NEXT) | instid1(VALU_DEP_3)
	v_mov_b32_dpp v15, v6 row_xmask:15 row_mask:0xf bank_mask:0xf
	s_and_saveexec_b32 s2, s0
	s_cbranch_execz .LBB62_3
; %bb.2:
	s_delay_alu instid0(VALU_DEP_1) | instskip(SKIP_1) | instid1(VALU_DEP_2)
	v_add_f32_e32 v6, v6, v15
	v_lshrrev_b32_e32 v15, 3, v0
	v_permlanex16_b32 v16, v6, s1, 0xfedcba98 op_sel:[1,1]
	s_delay_alu instid0(VALU_DEP_1)
	v_dual_add_f32 v6, v6, v16 :: v_dual_and_b32 v15, 0x7c, v15
	ds_store_b32 v15, v6 offset:128
.LBB62_3:
	s_or_b32 exec_lo, exec_lo, s2
	v_lshlrev_b32_e32 v6, 2, v5
	s_waitcnt vmcnt(0) lgkmcnt(0)
	s_waitcnt_vscnt null, 0x0
	s_barrier
	buffer_gl0_inv
	v_cvt_f32_i32_e32 v16, s5
	ds_load_b32 v5, v6 offset:128
	s_cmp_lg_u32 s10, 0
	s_waitcnt lgkmcnt(0)
	v_mov_b32_dpp v15, v5 quad_perm:[1,0,3,2] row_mask:0xf bank_mask:0xf
	s_delay_alu instid0(VALU_DEP_1) | instskip(NEXT) | instid1(VALU_DEP_1)
	v_add_f32_e32 v5, v5, v15
	v_mov_b32_dpp v15, v5 quad_perm:[2,3,0,1] row_mask:0xf bank_mask:0xf
	s_delay_alu instid0(VALU_DEP_1) | instskip(NEXT) | instid1(VALU_DEP_1)
	v_add_f32_e32 v5, v5, v15
	v_mov_b32_dpp v15, v5 row_xmask:7 row_mask:0xf bank_mask:0xf
	s_delay_alu instid0(VALU_DEP_1) | instskip(NEXT) | instid1(VALU_DEP_1)
	v_add_f32_e32 v5, v5, v15
	v_mov_b32_dpp v15, v5 row_xmask:15 row_mask:0xf bank_mask:0xf
	s_delay_alu instid0(VALU_DEP_1) | instskip(NEXT) | instid1(VALU_DEP_1)
	v_add_f32_e32 v5, v5, v15
	v_permlanex16_b32 v15, v5, s1, 0xfedcba98 op_sel:[1,1]
	s_delay_alu instid0(VALU_DEP_1) | instskip(NEXT) | instid1(VALU_DEP_1)
	v_add_f32_e32 v5, v5, v15
	v_div_scale_f32 v15, null, v16, v16, v5
	v_div_scale_f32 v19, vcc_lo, v5, v16, v5
	s_delay_alu instid0(VALU_DEP_2) | instskip(SKIP_2) | instid1(VALU_DEP_1)
	v_rcp_f32_e32 v17, v15
	s_waitcnt_depctr 0xfff
	v_fma_f32 v18, -v15, v17, 1.0
	v_fmac_f32_e32 v17, v18, v17
	s_delay_alu instid0(VALU_DEP_1) | instskip(NEXT) | instid1(VALU_DEP_1)
	v_mul_f32_e32 v18, v19, v17
	v_fma_f32 v20, -v15, v18, v19
	s_delay_alu instid0(VALU_DEP_1) | instskip(SKIP_1) | instid1(VALU_DEP_2)
	v_fmac_f32_e32 v18, v20, v17
	v_mov_b32_e32 v20, 0x2edbe6ff
	v_fma_f32 v15, -v15, v18, v19
	s_delay_alu instid0(VALU_DEP_1)
	v_div_fmas_f32 v15, v15, v17, v18
	v_and_b32_e32 v18, 0xffff, v3
	v_and_b32_e32 v17, 0xffff, v2
	v_lshrrev_b32_e32 v2, 16, v2
	v_lshrrev_b32_e32 v3, 16, v3
	v_div_fixup_f32 v5, v15, v16, v5
	v_cvt_f32_u32_e32 v18, v18
	s_delay_alu instid0(VALU_DEP_4) | instskip(NEXT) | instid1(VALU_DEP_4)
	v_cvt_f32_u32_e32 v2, v2
	v_cvt_f32_u32_e32 v3, v3
	s_delay_alu instid0(VALU_DEP_4) | instskip(NEXT) | instid1(VALU_DEP_1)
	v_cvt_f64_f32_e32 v[15:16], v5
	v_add_f64 v[15:16], v[15:16], s[24:25]
	s_delay_alu instid0(VALU_DEP_1) | instskip(SKIP_2) | instid1(VALU_DEP_2)
	v_cvt_f32_f64_e32 v5, v[15:16]
	v_and_b32_e32 v16, 0xffff, v1
	v_lshrrev_b32_e32 v1, 16, v1
	v_cvt_f32_u32_e32 v16, v16
	s_delay_alu instid0(VALU_DEP_2) | instskip(SKIP_2) | instid1(VALU_DEP_2)
	v_cvt_f32_u32_e32 v1, v1
	v_mul_f32_e32 v15, 0x4b800000, v5
	v_cmp_gt_f32_e32 vcc_lo, 0x800000, v5
	v_cndmask_b32_e32 v15, v5, v15, vcc_lo
	s_delay_alu instid0(VALU_DEP_1) | instskip(SKIP_2) | instid1(VALU_DEP_1)
	v_rsq_f32_e32 v15, v15
	s_waitcnt_depctr 0xfff
	v_mul_f32_e32 v21, 0x45800000, v15
	v_cndmask_b32_e32 v15, v15, v21, vcc_lo
	s_delay_alu instid0(VALU_DEP_1) | instskip(SKIP_2) | instid1(VALU_DEP_3)
	v_dual_mul_f32 v8, v8, v15 :: v_dual_lshlrev_b32 v5, 3, v0
	v_mul_f32_e32 v22, v15, v12
	v_cvt_f32_u32_e32 v17, v17
	v_mul_f32_e32 v12, v8, v16
	s_delay_alu instid0(VALU_DEP_3) | instskip(SKIP_3) | instid1(VALU_DEP_4)
	v_dual_mul_f32 v8, v22, v3 :: v_dual_and_b32 v19, 0xffff, v4
	v_mul_f32_e32 v10, v15, v10
	v_lshrrev_b32_e32 v4, 16, v4
	v_mul_f32_e32 v14, v15, v14
	v_dual_mul_f32 v13, v15, v13 :: v_dual_and_b32 v16, 0x7fffffff, v8
	s_delay_alu instid0(VALU_DEP_4) | instskip(NEXT) | instid1(VALU_DEP_4)
	v_mul_f32_e32 v10, v10, v2
	v_cvt_f32_u32_e32 v4, v4
	v_mul_f32_e32 v7, v7, v15
	v_mul_f32_e32 v21, v15, v11
	v_cvt_f32_u32_e32 v19, v19
	s_delay_alu instid0(VALU_DEP_4) | instskip(NEXT) | instid1(VALU_DEP_4)
	v_mul_f32_e32 v4, v14, v4
	v_dual_mul_f32 v11, v7, v1 :: v_dual_and_b32 v14, 0x7fffffff, v10
	s_delay_alu instid0(VALU_DEP_4) | instskip(NEXT) | instid1(VALU_DEP_3)
	v_mul_f32_e32 v7, v21, v18
	v_dual_mul_f32 v3, v13, v19 :: v_dual_and_b32 v18, 0x7fffffff, v4
	s_delay_alu instid0(VALU_DEP_3) | instskip(SKIP_3) | instid1(VALU_DEP_3)
	v_dual_mul_f32 v9, v15, v9 :: v_dual_and_b32 v2, 0x7fffffff, v11
	v_and_b32_e32 v1, 0x7fffffff, v12
	;;#ASMSTART
	v_max3_f32 v1, v20, v1, v2

	;;#ASMEND
	v_and_b32_e32 v15, 0x7fffffff, v7
	v_mul_f32_e32 v9, v9, v17
	v_and_b32_e32 v17, 0x7fffffff, v3
	s_delay_alu instid0(VALU_DEP_2)
	v_and_b32_e32 v13, 0x7fffffff, v9
	;;#ASMSTART
	v_max3_f32 v1, v1, v13, v14

	;;#ASMEND
	;;#ASMSTART
	v_max3_f32 v1, v1, v15, v16

	;;#ASMEND
	;; [unrolled: 4-line block ×3, first 2 shown]
	s_cbranch_scc0 .LBB62_10
; %bb.4:
	s_ashr_i32 s7, s10, 31
	s_delay_alu instid0(SALU_CYCLE_1) | instskip(NEXT) | instid1(SALU_CYCLE_1)
	s_lshr_b32 s1, s7, 29
	s_add_i32 s1, s10, s1
	s_delay_alu instid0(SALU_CYCLE_1) | instskip(NEXT) | instid1(SALU_CYCLE_1)
	s_ashr_i32 s1, s1, 3
	s_cmp_lt_i32 s1, 8
	s_cbranch_scc1 .LBB62_11
; %bb.5:
	s_cmp_lt_i32 s1, 16
	s_cbranch_scc1 .LBB62_12
; %bb.6:
	;; [unrolled: 3-line block ×3, first 2 shown]
	v_mov_b32_e32 v1, v13
	s_cmp_eq_u32 s1, 32
	s_cbranch_scc0 .LBB62_9
; %bb.8:
	s_delay_alu instid0(VALU_DEP_1) | instskip(SKIP_1) | instid1(VALU_DEP_1)
	v_mov_b32_dpp v1, v13 quad_perm:[1,0,3,2] row_mask:0xf bank_mask:0xf
	s_mov_b32 s2, 0x76543210
	v_cmp_gt_f32_e32 vcc_lo, v13, v1
	v_cndmask_b32_e32 v1, v1, v13, vcc_lo
	s_delay_alu instid0(VALU_DEP_1) | instskip(NEXT) | instid1(VALU_DEP_1)
	v_mov_b32_dpp v2, v1 quad_perm:[2,3,0,1] row_mask:0xf bank_mask:0xf
	v_cmp_gt_f32_e32 vcc_lo, v1, v2
	v_cndmask_b32_e32 v1, v2, v1, vcc_lo
	s_delay_alu instid0(VALU_DEP_1) | instskip(NEXT) | instid1(VALU_DEP_1)
	v_mov_b32_dpp v2, v1 row_xmask:7 row_mask:0xf bank_mask:0xf
	v_cmp_gt_f32_e32 vcc_lo, v1, v2
	v_cndmask_b32_e32 v1, v2, v1, vcc_lo
	s_delay_alu instid0(VALU_DEP_1) | instskip(NEXT) | instid1(VALU_DEP_1)
	v_mov_b32_dpp v2, v1 row_xmask:15 row_mask:0xf bank_mask:0xf
	v_cmp_gt_f32_e32 vcc_lo, v1, v2
	v_cndmask_b32_e32 v1, v2, v1, vcc_lo
	s_delay_alu instid0(VALU_DEP_1) | instskip(NEXT) | instid1(VALU_DEP_1)
	v_permlanex16_b32 v2, v1, s2, 0xfedcba98 op_sel:[1,1]
	v_cmp_gt_f32_e32 vcc_lo, v1, v2
	v_cndmask_b32_e32 v1, v2, v1, vcc_lo
.LBB62_9:
	s_mov_b32 s2, 0
	s_branch .LBB62_14
.LBB62_10:
	s_mov_b32 s1, 0
                                        ; implicit-def: $vgpr14
                                        ; implicit-def: $vgpr1_vgpr2
	s_and_b32 vcc_lo, exec_lo, s31
	s_cbranch_vccnz .LBB62_38
	s_branch .LBB62_41
.LBB62_11:
                                        ; implicit-def: $vgpr1
	s_branch .LBB62_21
.LBB62_12:
                                        ; implicit-def: $vgpr1
	s_branch .LBB62_18
.LBB62_13:
	s_mov_b32 s2, -1
                                        ; implicit-def: $vgpr1
.LBB62_14:
	s_delay_alu instid0(SALU_CYCLE_1)
	s_and_not1_b32 vcc_lo, exec_lo, s2
	s_cbranch_vccnz .LBB62_17
; %bb.15:
	v_mov_b32_e32 v1, v13
	s_cmp_eq_u32 s1, 16
	s_cbranch_scc0 .LBB62_17
; %bb.16:
	s_delay_alu instid0(VALU_DEP_1) | instskip(NEXT) | instid1(VALU_DEP_1)
	v_mov_b32_dpp v1, v13 quad_perm:[1,0,3,2] row_mask:0xf bank_mask:0xf
	v_cmp_gt_f32_e32 vcc_lo, v13, v1
	v_cndmask_b32_e32 v1, v1, v13, vcc_lo
	s_delay_alu instid0(VALU_DEP_1) | instskip(NEXT) | instid1(VALU_DEP_1)
	v_mov_b32_dpp v2, v1 quad_perm:[2,3,0,1] row_mask:0xf bank_mask:0xf
	v_cmp_gt_f32_e32 vcc_lo, v1, v2
	v_cndmask_b32_e32 v1, v2, v1, vcc_lo
	s_delay_alu instid0(VALU_DEP_1) | instskip(NEXT) | instid1(VALU_DEP_1)
	v_mov_b32_dpp v2, v1 row_half_mirror row_mask:0xf bank_mask:0xf
	v_cmp_gt_f32_e32 vcc_lo, v1, v2
	v_cndmask_b32_e32 v1, v2, v1, vcc_lo
	s_delay_alu instid0(VALU_DEP_1) | instskip(NEXT) | instid1(VALU_DEP_1)
	v_mov_b32_dpp v2, v1 row_mirror row_mask:0xf bank_mask:0xf
	v_cmp_gt_f32_e32 vcc_lo, v1, v2
	v_cndmask_b32_e32 v1, v2, v1, vcc_lo
.LBB62_17:
	s_cbranch_execnz .LBB62_20
.LBB62_18:
	v_mov_b32_e32 v1, v13
	s_cmp_eq_u32 s1, 8
	s_cbranch_scc0 .LBB62_20
; %bb.19:
	s_delay_alu instid0(VALU_DEP_1) | instskip(NEXT) | instid1(VALU_DEP_1)
	v_mov_b32_dpp v1, v13 quad_perm:[1,0,3,2] row_mask:0xf bank_mask:0xf
	v_cmp_gt_f32_e32 vcc_lo, v13, v1
	v_cndmask_b32_e32 v1, v1, v13, vcc_lo
	s_delay_alu instid0(VALU_DEP_1) | instskip(NEXT) | instid1(VALU_DEP_1)
	v_mov_b32_dpp v2, v1 quad_perm:[2,3,0,1] row_mask:0xf bank_mask:0xf
	v_cmp_gt_f32_e32 vcc_lo, v1, v2
	v_cndmask_b32_e32 v1, v2, v1, vcc_lo
	s_delay_alu instid0(VALU_DEP_1) | instskip(NEXT) | instid1(VALU_DEP_1)
	v_mov_b32_dpp v2, v1 row_half_mirror row_mask:0xf bank_mask:0xf
	v_cmp_gt_f32_e32 vcc_lo, v1, v2
	v_cndmask_b32_e32 v1, v2, v1, vcc_lo
.LBB62_20:
	s_cbranch_execnz .LBB62_28
.LBB62_21:
	s_cmp_lt_i32 s1, 4
	s_cbranch_scc1 .LBB62_24
; %bb.22:
	v_mov_b32_e32 v1, v13
	s_cmp_eq_u32 s1, 4
	s_cbranch_scc0 .LBB62_25
; %bb.23:
	s_delay_alu instid0(VALU_DEP_1) | instskip(NEXT) | instid1(VALU_DEP_1)
	v_mov_b32_dpp v1, v13 quad_perm:[1,0,3,2] row_mask:0xf bank_mask:0xf
	v_cmp_gt_f32_e32 vcc_lo, v13, v1
	v_cndmask_b32_e32 v1, v1, v13, vcc_lo
	s_delay_alu instid0(VALU_DEP_1) | instskip(NEXT) | instid1(VALU_DEP_1)
	v_mov_b32_dpp v2, v1 quad_perm:[2,3,0,1] row_mask:0xf bank_mask:0xf
	v_cmp_gt_f32_e32 vcc_lo, v1, v2
	v_cndmask_b32_e32 v1, v2, v1, vcc_lo
	s_cbranch_execz .LBB62_26
	s_branch .LBB62_28
.LBB62_24:
                                        ; implicit-def: $vgpr1
	s_branch .LBB62_26
.LBB62_25:
	s_cbranch_execnz .LBB62_28
.LBB62_26:
	v_mov_b32_e32 v1, v13
	s_cmp_lg_u32 s1, 2
	s_cbranch_scc1 .LBB62_28
; %bb.27:
	s_delay_alu instid0(VALU_DEP_1) | instskip(NEXT) | instid1(VALU_DEP_1)
	v_mov_b32_dpp v1, v13 quad_perm:[1,0,3,2] row_mask:0xf bank_mask:0xf
	v_cmp_gt_f32_e32 vcc_lo, v13, v1
	v_cndmask_b32_e32 v1, v1, v13, vcc_lo
.LBB62_28:
	v_cvt_f32_u32_e32 v2, s1
	s_sub_i32 s2, 0, s1
	s_mov_b32 s31, 0
	s_delay_alu instid0(VALU_DEP_1) | instskip(SKIP_2) | instid1(VALU_DEP_1)
	v_rcp_iflag_f32_e32 v2, v2
	s_waitcnt_depctr 0xfff
	v_mul_f32_e32 v2, 0x4f7ffffe, v2
	v_cvt_u32_f32_e32 v2, v2
	s_delay_alu instid0(VALU_DEP_1) | instskip(NEXT) | instid1(VALU_DEP_1)
	v_mul_lo_u32 v14, s2, v2
	v_mul_hi_u32 v14, v2, v14
	s_delay_alu instid0(VALU_DEP_1) | instskip(NEXT) | instid1(VALU_DEP_1)
	v_add_nc_u32_e32 v2, v2, v14
	v_mul_hi_u32 v2, v0, v2
	s_delay_alu instid0(VALU_DEP_1) | instskip(NEXT) | instid1(VALU_DEP_1)
	v_mul_lo_u32 v14, v2, s1
	v_sub_nc_u32_e32 v14, v0, v14
	s_delay_alu instid0(VALU_DEP_1) | instskip(SKIP_1) | instid1(VALU_DEP_2)
	v_subrev_nc_u32_e32 v16, s1, v14
	v_cmp_le_u32_e32 vcc_lo, s1, v14
	v_dual_cndmask_b32 v14, v14, v16 :: v_dual_add_nc_u32 v15, 1, v2
	s_delay_alu instid0(VALU_DEP_1) | instskip(NEXT) | instid1(VALU_DEP_2)
	v_cndmask_b32_e32 v2, v2, v15, vcc_lo
	v_cmp_le_u32_e32 vcc_lo, s1, v14
	s_delay_alu instid0(VALU_DEP_2) | instskip(NEXT) | instid1(VALU_DEP_1)
	v_dual_mul_f32 v14, 0x3c010204, v1 :: v_dual_add_nc_u32 v15, 1, v2
	v_cndmask_b32_e32 v15, v2, v15, vcc_lo
	v_cmp_gt_u32_e32 vcc_lo, s5, v5
	s_delay_alu instid0(VALU_DEP_2) | instskip(NEXT) | instid1(VALU_DEP_1)
	v_mul_lo_u32 v2, v15, s1
	v_sub_nc_u32_e32 v2, v0, v2
	s_delay_alu instid0(VALU_DEP_1) | instskip(NEXT) | instid1(VALU_DEP_1)
	v_cmp_eq_u32_e64 s1, 0, v2
                                        ; implicit-def: $vgpr1_vgpr2
	s_and_b32 s2, s1, vcc_lo
	s_mov_b32 s1, 0
	s_and_saveexec_b32 s3, s2
	s_delay_alu instid0(SALU_CYCLE_1)
	s_xor_b32 s8, exec_lo, s3
	s_cbranch_execz .LBB62_37
; %bb.29:
	s_bitcmp0_b32 s11, 0
	s_mov_b32 s6, 0
	s_cbranch_scc0 .LBB62_34
; %bb.30:
	s_ashr_i32 s1, s5, 31
	s_mul_hi_u32 s3, s5, s34
	s_mul_i32 s1, s1, s34
	s_mul_i32 s2, s5, s34
	s_add_i32 s3, s3, s1
	s_mov_b32 s11, s7
	s_delay_alu instid0(SALU_CYCLE_1) | instskip(NEXT) | instid1(SALU_CYCLE_1)
	s_or_b64 s[14:15], s[2:3], s[10:11]
	s_mov_b32 s7, s15
	s_delay_alu instid0(SALU_CYCLE_1)
	s_cmp_lg_u64 s[6:7], 0
	s_cbranch_scc0 .LBB62_45
; %bb.31:
	s_add_u32 s14, s10, s11
	s_mov_b32 s6, s11
	s_mov_b32 s7, s11
	s_addc_u32 s15, s11, s11
	s_delay_alu instid0(SALU_CYCLE_1) | instskip(NEXT) | instid1(SALU_CYCLE_1)
	s_xor_b64 s[14:15], s[14:15], s[6:7]
	v_cvt_f32_u32_e32 v1, s14
	v_cvt_f32_u32_e32 v2, s15
	s_sub_u32 s18, 0, s14
	s_subb_u32 s19, 0, s15
	s_delay_alu instid0(VALU_DEP_1) | instskip(NEXT) | instid1(VALU_DEP_1)
	v_fmamk_f32 v1, v2, 0x4f800000, v1
	v_rcp_f32_e32 v1, v1
	s_waitcnt_depctr 0xfff
	v_mul_f32_e32 v1, 0x5f7ffffc, v1
	s_delay_alu instid0(VALU_DEP_1) | instskip(NEXT) | instid1(VALU_DEP_1)
	v_mul_f32_e32 v2, 0x2f800000, v1
	v_trunc_f32_e32 v2, v2
	s_delay_alu instid0(VALU_DEP_1) | instskip(SKIP_1) | instid1(VALU_DEP_2)
	v_fmamk_f32 v1, v2, 0xcf800000, v1
	v_cvt_u32_f32_e32 v2, v2
	v_cvt_u32_f32_e32 v1, v1
	s_delay_alu instid0(VALU_DEP_2) | instskip(NEXT) | instid1(VALU_DEP_2)
	v_readfirstlane_b32 s1, v2
	v_readfirstlane_b32 s11, v1
	s_delay_alu instid0(VALU_DEP_2) | instskip(NEXT) | instid1(VALU_DEP_1)
	s_mul_i32 s20, s18, s1
	s_mul_hi_u32 s22, s18, s11
	s_mul_i32 s21, s19, s11
	s_add_i32 s20, s22, s20
	s_mul_i32 s23, s18, s11
	s_add_i32 s20, s20, s21
	s_mul_hi_u32 s22, s11, s23
	s_mul_hi_u32 s24, s1, s23
	s_mul_i32 s21, s1, s23
	s_mul_hi_u32 s23, s11, s20
	s_mul_i32 s11, s11, s20
	s_mul_hi_u32 s25, s1, s20
	s_add_u32 s11, s22, s11
	s_addc_u32 s22, 0, s23
	s_add_u32 s11, s11, s21
	s_mul_i32 s20, s1, s20
	s_addc_u32 s11, s22, s24
	s_addc_u32 s21, s25, 0
	s_add_u32 s11, s11, s20
	s_addc_u32 s20, 0, s21
	v_add_co_u32 v1, s11, v1, s11
	s_delay_alu instid0(VALU_DEP_1) | instskip(SKIP_1) | instid1(VALU_DEP_1)
	s_cmp_lg_u32 s11, 0
	s_addc_u32 s1, s1, s20
	v_readfirstlane_b32 s11, v1
	s_mul_i32 s20, s18, s1
	s_delay_alu instid0(VALU_DEP_1)
	s_mul_hi_u32 s21, s18, s11
	s_mul_i32 s19, s19, s11
	s_add_i32 s20, s21, s20
	s_mul_i32 s18, s18, s11
	s_add_i32 s20, s20, s19
	s_mul_hi_u32 s21, s1, s18
	s_mul_i32 s22, s1, s18
	s_mul_hi_u32 s18, s11, s18
	s_mul_hi_u32 s23, s11, s20
	s_mul_i32 s11, s11, s20
	s_mul_hi_u32 s19, s1, s20
	s_add_u32 s11, s18, s11
	s_addc_u32 s18, 0, s23
	s_add_u32 s11, s11, s22
	s_mul_i32 s20, s1, s20
	s_addc_u32 s11, s18, s21
	s_addc_u32 s18, s19, 0
	s_add_u32 s11, s11, s20
	s_addc_u32 s18, 0, s18
	v_add_co_u32 v1, s11, v1, s11
	s_delay_alu instid0(VALU_DEP_1) | instskip(SKIP_2) | instid1(SALU_CYCLE_1)
	s_cmp_lg_u32 s11, 0
	s_addc_u32 s1, s1, s18
	s_ashr_i32 s18, s3, 31
	s_add_u32 s20, s2, s18
	s_addc_u32 s21, s3, s18
	v_readfirstlane_b32 s3, v1
	s_mov_b32 s19, s18
	s_delay_alu instid0(SALU_CYCLE_1) | instskip(NEXT) | instid1(SALU_CYCLE_1)
	s_xor_b64 s[20:21], s[20:21], s[18:19]
	s_mul_i32 s22, s20, s1
	s_delay_alu instid0(VALU_DEP_1)
	s_mul_hi_u32 s23, s20, s3
	s_mul_hi_u32 s11, s20, s1
	;; [unrolled: 1-line block ×3, first 2 shown]
	s_mul_i32 s3, s21, s3
	s_add_u32 s22, s23, s22
	s_addc_u32 s11, 0, s11
	s_mul_hi_u32 s24, s21, s1
	s_add_u32 s3, s22, s3
	s_mul_i32 s1, s21, s1
	s_addc_u32 s3, s11, s25
	s_addc_u32 s11, s24, 0
	s_add_u32 s3, s3, s1
	s_addc_u32 s11, 0, s11
	s_mul_i32 s24, s14, s3
	s_mul_hi_u32 s1, s14, s3
	s_mul_i32 s23, s14, s11
	v_sub_co_u32 v1, s20, s20, s24
	s_mul_i32 s22, s15, s3
	s_add_i32 s1, s1, s23
	s_delay_alu instid0(SALU_CYCLE_1) | instskip(NEXT) | instid1(VALU_DEP_1)
	s_add_i32 s1, s1, s22
	v_sub_co_u32 v2, s23, v1, s14
	s_sub_i32 s22, s21, s1
	s_cmp_lg_u32 s20, 0
	s_subb_u32 s22, s22, s15
	s_cmp_lg_u32 s23, 0
	v_cmp_le_u32_e32 vcc_lo, s14, v2
	s_subb_u32 s22, s22, 0
	s_delay_alu instid0(SALU_CYCLE_1)
	s_cmp_ge_u32 s22, s15
	v_cndmask_b32_e64 v2, 0, -1, vcc_lo
	s_cselect_b32 s23, -1, 0
	s_cmp_eq_u32 s22, s15
	s_cselect_b32 vcc_lo, -1, 0
	s_add_u32 s22, s3, 1
	v_cndmask_b32_e32 v2, s23, v2, vcc_lo
	s_addc_u32 s23, s11, 0
	s_add_u32 s24, s3, 2
	s_addc_u32 s25, s11, 0
	s_cmp_lg_u32 s20, 0
	v_cmp_le_u32_e32 vcc_lo, s14, v1
	s_subb_u32 s1, s21, s1
	v_mov_b32_e32 v16, s24
	s_cmp_ge_u32 s1, s15
	v_cndmask_b32_e64 v1, 0, -1, vcc_lo
	s_cselect_b32 s14, -1, 0
	s_cmp_eq_u32 s1, s15
	v_cmp_ne_u32_e32 vcc_lo, 0, v2
	v_mov_b32_e32 v2, s25
	s_cselect_b32 s1, -1, 0
	s_xor_b64 s[6:7], s[18:19], s[6:7]
	v_cndmask_b32_e64 v1, s14, v1, s1
	v_cndmask_b32_e32 v16, s22, v16, vcc_lo
	v_cndmask_b32_e32 v2, s23, v2, vcc_lo
	s_delay_alu instid0(VALU_DEP_3) | instskip(NEXT) | instid1(VALU_DEP_2)
	v_cmp_ne_u32_e32 vcc_lo, 0, v1
	v_cndmask_b32_e32 v1, s11, v2, vcc_lo
	s_delay_alu instid0(VALU_DEP_4) | instskip(NEXT) | instid1(VALU_DEP_2)
	v_cndmask_b32_e32 v2, s3, v16, vcc_lo
	v_xor_b32_e32 v16, s7, v1
	s_delay_alu instid0(VALU_DEP_2) | instskip(NEXT) | instid1(VALU_DEP_1)
	v_xor_b32_e32 v2, s6, v2
	v_sub_co_u32 v1, vcc_lo, v2, s6
	s_delay_alu instid0(VALU_DEP_3)
	v_subrev_co_ci_u32_e32 v2, vcc_lo, s7, v16, vcc_lo
	s_cbranch_execnz .LBB62_33
.LBB62_32:
	v_cvt_f32_u32_e32 v1, s10
	s_sub_i32 s3, 0, s10
	s_delay_alu instid0(VALU_DEP_1) | instskip(SKIP_2) | instid1(VALU_DEP_1)
	v_rcp_iflag_f32_e32 v1, v1
	s_waitcnt_depctr 0xfff
	v_mul_f32_e32 v1, 0x4f7ffffe, v1
	v_cvt_u32_f32_e32 v1, v1
	s_delay_alu instid0(VALU_DEP_1) | instskip(NEXT) | instid1(VALU_DEP_1)
	v_readfirstlane_b32 s1, v1
	s_mul_i32 s3, s3, s1
	s_delay_alu instid0(SALU_CYCLE_1) | instskip(NEXT) | instid1(SALU_CYCLE_1)
	s_mul_hi_u32 s3, s1, s3
	s_add_i32 s1, s1, s3
	s_delay_alu instid0(SALU_CYCLE_1) | instskip(NEXT) | instid1(SALU_CYCLE_1)
	s_mul_hi_u32 s1, s2, s1
	s_mul_i32 s3, s1, s10
	s_delay_alu instid0(SALU_CYCLE_1)
	s_sub_i32 s2, s2, s3
	s_add_i32 s3, s1, 1
	s_sub_i32 s6, s2, s10
	s_cmp_ge_u32 s2, s10
	s_cselect_b32 s1, s3, s1
	s_cselect_b32 s2, s6, s2
	s_add_i32 s6, s1, 1
	s_cmp_ge_u32 s2, s10
	s_mov_b32 s3, 0
	s_cselect_b32 s2, s6, s1
	s_delay_alu instid0(SALU_CYCLE_1)
	v_dual_mov_b32 v1, s2 :: v_dual_mov_b32 v2, s3
.LBB62_33:
	s_delay_alu instid0(VALU_DEP_1) | instskip(NEXT) | instid1(VALU_DEP_2)
	v_add_co_u32 v1, vcc_lo, v1, v15
	v_add_co_ci_u32_e32 v2, vcc_lo, 0, v2, vcc_lo
	s_branch .LBB62_36
.LBB62_34:
                                        ; implicit-def: $vgpr1_vgpr2
	s_cbranch_execz .LBB62_36
; %bb.35:
	v_mul_lo_u32 v1, v15, s4
	s_delay_alu instid0(VALU_DEP_1) | instskip(SKIP_1) | instid1(VALU_DEP_2)
	v_ashrrev_i32_e32 v2, 31, v1
	v_add_co_u32 v1, vcc_lo, v1, s34
	v_add_co_ci_u32_e32 v2, vcc_lo, 0, v2, vcc_lo
.LBB62_36:
	s_mov_b32 s1, exec_lo
.LBB62_37:
	s_or_b32 exec_lo, exec_lo, s8
	s_delay_alu instid0(SALU_CYCLE_1)
	s_and_b32 vcc_lo, exec_lo, s31
	s_cbranch_vccz .LBB62_41
.LBB62_38:
	v_mov_b32_dpp v1, v13 quad_perm:[1,0,3,2] row_mask:0xf bank_mask:0xf
	s_mov_b32 s1, 0x76543210
	s_delay_alu instid0(VALU_DEP_1) | instskip(SKIP_1) | instid1(VALU_DEP_1)
	v_cmp_gt_f32_e32 vcc_lo, v13, v1
	v_cndmask_b32_e32 v1, v1, v13, vcc_lo
	v_mov_b32_dpp v2, v1 quad_perm:[2,3,0,1] row_mask:0xf bank_mask:0xf
	s_delay_alu instid0(VALU_DEP_1) | instskip(SKIP_1) | instid1(VALU_DEP_1)
	v_cmp_gt_f32_e32 vcc_lo, v1, v2
	v_cndmask_b32_e32 v1, v2, v1, vcc_lo
	v_mov_b32_dpp v2, v1 row_xmask:7 row_mask:0xf bank_mask:0xf
	s_delay_alu instid0(VALU_DEP_1) | instskip(SKIP_1) | instid1(VALU_DEP_1)
	v_cmp_gt_f32_e32 vcc_lo, v1, v2
	v_cndmask_b32_e32 v1, v2, v1, vcc_lo
	v_mov_b32_dpp v2, v1 row_xmask:15 row_mask:0xf bank_mask:0xf
	s_delay_alu instid0(VALU_DEP_1)
	v_cmp_gt_f32_e32 vcc_lo, v1, v2
	s_and_saveexec_b32 s2, s0
	s_cbranch_execz .LBB62_40
; %bb.39:
	v_cndmask_b32_e32 v1, v2, v1, vcc_lo
	v_lshrrev_b32_e32 v2, 3, v0
	s_delay_alu instid0(VALU_DEP_1) | instskip(NEXT) | instid1(VALU_DEP_3)
	v_and_b32_e32 v2, 0x7c, v2
	v_permlanex16_b32 v13, v1, s1, 0xfedcba98 op_sel:[1,1]
	s_delay_alu instid0(VALU_DEP_1)
	v_cmp_gt_f32_e32 vcc_lo, v1, v13
	v_cndmask_b32_e32 v1, v13, v1, vcc_lo
	ds_store_b32 v2, v1
.LBB62_40:
	s_or_b32 exec_lo, exec_lo, s2
	s_waitcnt lgkmcnt(0)
	s_barrier
	buffer_gl0_inv
	ds_load_b32 v1, v6
	s_waitcnt lgkmcnt(0)
	v_mov_b32_dpp v2, v1 quad_perm:[1,0,3,2] row_mask:0xf bank_mask:0xf
	s_delay_alu instid0(VALU_DEP_1) | instskip(SKIP_1) | instid1(VALU_DEP_1)
	v_cmp_gt_f32_e32 vcc_lo, v1, v2
	v_cndmask_b32_e32 v1, v2, v1, vcc_lo
	v_mov_b32_dpp v2, v1 quad_perm:[2,3,0,1] row_mask:0xf bank_mask:0xf
	s_delay_alu instid0(VALU_DEP_1) | instskip(SKIP_1) | instid1(VALU_DEP_1)
	v_cmp_gt_f32_e32 vcc_lo, v1, v2
	v_cndmask_b32_e32 v1, v2, v1, vcc_lo
	v_mov_b32_dpp v2, v1 row_xmask:7 row_mask:0xf bank_mask:0xf
	s_delay_alu instid0(VALU_DEP_1) | instskip(SKIP_1) | instid1(VALU_DEP_1)
	v_cmp_gt_f32_e32 vcc_lo, v1, v2
	v_cndmask_b32_e32 v1, v2, v1, vcc_lo
	v_mov_b32_dpp v2, v1 row_xmask:15 row_mask:0xf bank_mask:0xf
	s_delay_alu instid0(VALU_DEP_1) | instskip(SKIP_1) | instid1(VALU_DEP_1)
	v_cmp_gt_f32_e32 vcc_lo, v1, v2
	v_cndmask_b32_e32 v1, v2, v1, vcc_lo
	v_permlanex16_b32 v2, v1, s1, 0xfedcba98 op_sel:[1,1]
	v_cmp_eq_u32_e64 s1, 0, v0
	s_delay_alu instid0(VALU_DEP_2) | instskip(SKIP_1) | instid1(VALU_DEP_1)
	v_cmp_gt_f32_e32 vcc_lo, v1, v2
	v_cndmask_b32_e32 v1, v2, v1, vcc_lo
	v_dual_mul_f32 v14, 0x3c010204, v1 :: v_dual_mov_b32 v1, s34
	v_mov_b32_e32 v2, s35
.LBB62_41:
	s_and_saveexec_b32 s0, s1
	s_cbranch_execz .LBB62_43
; %bb.42:
	s_delay_alu instid0(VALU_DEP_1) | instskip(NEXT) | instid1(VALU_DEP_1)
	v_lshlrev_b64 v[0:1], 2, v[1:2]
	v_add_co_u32 v0, vcc_lo, s16, v0
	s_delay_alu instid0(VALU_DEP_2)
	v_add_co_ci_u32_e32 v1, vcc_lo, s17, v1, vcc_lo
	global_store_b32 v[0:1], v14, off
.LBB62_43:
	s_or_b32 exec_lo, exec_lo, s0
	;;#ASMSTART
	v_rcp_f32 v0, v14
	;;#ASMEND
	v_mul_f32_e32 v7, v7, v0
	v_mul_f32_e32 v1, v12, v0
	;; [unrolled: 1-line block ×4, first 2 shown]
	s_add_i32 s0, s5, 3
	v_cvt_i32_f32_e32 v7, v7
	v_mul_f32_e32 v2, v11, v0
	v_cvt_i32_f32_e32 v1, v1
	v_mul_f32_e32 v6, v9, v0
	v_cvt_i32_f32_e32 v4, v4
	v_and_b32_e32 v7, 0xff, v7
	v_cvt_i32_f32_e32 v2, v2
	v_and_b32_e32 v1, 0xff, v1
	s_ashr_i32 s1, s0, 31
	v_lshlrev_b16 v4, 8, v4
	s_lshr_b32 s1, s1, 30
	v_lshlrev_b16 v2, 8, v2
	s_add_i32 s0, s0, s1
	s_ashr_i32 s1, s9, 31
	s_and_b32 s2, s0, -4
	s_mul_hi_u32 s0, s9, s34
	v_or_b32_e32 v1, v1, v2
	v_mul_f32_e32 v9, v10, v0
	v_mul_f32_e32 v0, v3, v0
	v_cvt_i32_f32_e32 v3, v6
	s_mul_i32 s1, s1, s34
	s_mul_i32 s3, s9, s34
	s_add_i32 s1, s0, s1
	v_cvt_i32_f32_e32 v0, v0
	v_and_b32_e32 v3, 0xff, v3
	v_cvt_i32_f32_e32 v6, v8
	s_add_u32 s0, s12, s3
	s_addc_u32 s1, s13, s1
	v_and_b32_e32 v0, 0xff, v0
	s_and_b32 s1, s1, 0xffff
	v_lshlrev_b16 v6, 8, v6
	s_mov_b32 s3, -1
	s_delay_alu instid0(VALU_DEP_2) | instskip(SKIP_3) | instid1(VALU_DEP_4)
	v_or_b32_e32 v0, v0, v4
	v_and_b32_e32 v4, 0xffff, v1
	v_cvt_i32_f32_e32 v8, v9
	v_or_b32_e32 v6, v7, v6
	v_lshlrev_b32_e32 v0, 16, v0
	s_delay_alu instid0(VALU_DEP_3) | instskip(NEXT) | instid1(VALU_DEP_1)
	v_lshlrev_b16 v8, 8, v8
	v_or_b32_e32 v2, v3, v8
	s_delay_alu instid0(VALU_DEP_4) | instskip(NEXT) | instid1(VALU_DEP_2)
	v_and_b32_e32 v3, 0xffff, v6
	v_lshlrev_b32_e32 v2, 16, v2
	s_delay_alu instid0(VALU_DEP_2) | instskip(NEXT) | instid1(VALU_DEP_2)
	v_or_b32_e32 v1, v3, v0
	v_or_b32_e32 v0, v4, v2
	buffer_store_b64 v[0:1], v5, s[0:3], 0 offen
	;;#ASMSTART
	s_nop 0
	;;#ASMEND
.LBB62_44:
	s_nop 0
	s_sendmsg sendmsg(MSG_DEALLOC_VGPRS)
	s_endpgm
.LBB62_45:
                                        ; implicit-def: $vgpr1_vgpr2
	s_branch .LBB62_32
	.section	.rodata,"a",@progbits
	.p2align	6, 0x0
	.amdhsa_kernel _ZN5aiter24add_rmsnorm_quant_kernelItaLi1024ELi8ELb1ELb1ELb1ELi1EEEvPT0_PT_PfS4_S4_S4_diiiiiiib
		.amdhsa_group_segment_fixed_size 256
		.amdhsa_private_segment_fixed_size 0
		.amdhsa_kernarg_size 88
		.amdhsa_user_sgpr_count 15
		.amdhsa_user_sgpr_dispatch_ptr 0
		.amdhsa_user_sgpr_queue_ptr 0
		.amdhsa_user_sgpr_kernarg_segment_ptr 1
		.amdhsa_user_sgpr_dispatch_id 0
		.amdhsa_user_sgpr_private_segment_size 0
		.amdhsa_wavefront_size32 1
		.amdhsa_uses_dynamic_stack 0
		.amdhsa_enable_private_segment 0
		.amdhsa_system_sgpr_workgroup_id_x 1
		.amdhsa_system_sgpr_workgroup_id_y 0
		.amdhsa_system_sgpr_workgroup_id_z 0
		.amdhsa_system_sgpr_workgroup_info 0
		.amdhsa_system_vgpr_workitem_id 0
		.amdhsa_next_free_vgpr 23
		.amdhsa_next_free_sgpr 36
		.amdhsa_reserve_vcc 1
		.amdhsa_float_round_mode_32 0
		.amdhsa_float_round_mode_16_64 0
		.amdhsa_float_denorm_mode_32 3
		.amdhsa_float_denorm_mode_16_64 3
		.amdhsa_dx10_clamp 1
		.amdhsa_ieee_mode 1
		.amdhsa_fp16_overflow 0
		.amdhsa_workgroup_processor_mode 1
		.amdhsa_memory_ordered 1
		.amdhsa_forward_progress 0
		.amdhsa_shared_vgpr_count 0
		.amdhsa_exception_fp_ieee_invalid_op 0
		.amdhsa_exception_fp_denorm_src 0
		.amdhsa_exception_fp_ieee_div_zero 0
		.amdhsa_exception_fp_ieee_overflow 0
		.amdhsa_exception_fp_ieee_underflow 0
		.amdhsa_exception_fp_ieee_inexact 0
		.amdhsa_exception_int_div_zero 0
	.end_amdhsa_kernel
	.section	.text._ZN5aiter24add_rmsnorm_quant_kernelItaLi1024ELi8ELb1ELb1ELb1ELi1EEEvPT0_PT_PfS4_S4_S4_diiiiiiib,"axG",@progbits,_ZN5aiter24add_rmsnorm_quant_kernelItaLi1024ELi8ELb1ELb1ELb1ELi1EEEvPT0_PT_PfS4_S4_S4_diiiiiiib,comdat
.Lfunc_end62:
	.size	_ZN5aiter24add_rmsnorm_quant_kernelItaLi1024ELi8ELb1ELb1ELb1ELi1EEEvPT0_PT_PfS4_S4_S4_diiiiiiib, .Lfunc_end62-_ZN5aiter24add_rmsnorm_quant_kernelItaLi1024ELi8ELb1ELb1ELb1ELi1EEEvPT0_PT_PfS4_S4_S4_diiiiiiib
                                        ; -- End function
	.section	.AMDGPU.csdata,"",@progbits
; Kernel info:
; codeLenInByte = 3628
; NumSgprs: 38
; NumVgprs: 23
; ScratchSize: 0
; MemoryBound: 0
; FloatMode: 240
; IeeeMode: 1
; LDSByteSize: 256 bytes/workgroup (compile time only)
; SGPRBlocks: 4
; VGPRBlocks: 2
; NumSGPRsForWavesPerEU: 38
; NumVGPRsForWavesPerEU: 23
; Occupancy: 16
; WaveLimiterHint : 0
; COMPUTE_PGM_RSRC2:SCRATCH_EN: 0
; COMPUTE_PGM_RSRC2:USER_SGPR: 15
; COMPUTE_PGM_RSRC2:TRAP_HANDLER: 0
; COMPUTE_PGM_RSRC2:TGID_X_EN: 1
; COMPUTE_PGM_RSRC2:TGID_Y_EN: 0
; COMPUTE_PGM_RSRC2:TGID_Z_EN: 0
; COMPUTE_PGM_RSRC2:TIDIG_COMP_CNT: 0
	.section	.text._ZN5aiter24add_rmsnorm_quant_kernelIDF16_aLi1024ELi8ELb1ELb1ELb0ELi1EEEvPT0_PT_PfS4_S4_S4_diiiiiiib,"axG",@progbits,_ZN5aiter24add_rmsnorm_quant_kernelIDF16_aLi1024ELi8ELb1ELb1ELb0ELi1EEEvPT0_PT_PfS4_S4_S4_diiiiiiib,comdat
	.protected	_ZN5aiter24add_rmsnorm_quant_kernelIDF16_aLi1024ELi8ELb1ELb1ELb0ELi1EEEvPT0_PT_PfS4_S4_S4_diiiiiiib ; -- Begin function _ZN5aiter24add_rmsnorm_quant_kernelIDF16_aLi1024ELi8ELb1ELb1ELb0ELi1EEEvPT0_PT_PfS4_S4_S4_diiiiiiib
	.globl	_ZN5aiter24add_rmsnorm_quant_kernelIDF16_aLi1024ELi8ELb1ELb1ELb0ELi1EEEvPT0_PT_PfS4_S4_S4_diiiiiiib
	.p2align	8
	.type	_ZN5aiter24add_rmsnorm_quant_kernelIDF16_aLi1024ELi8ELb1ELb1ELb0ELi1EEEvPT0_PT_PfS4_S4_S4_diiiiiiib,@function
_ZN5aiter24add_rmsnorm_quant_kernelIDF16_aLi1024ELi8ELb1ELb1ELb0ELi1EEEvPT0_PT_PfS4_S4_S4_diiiiiiib: ; @_ZN5aiter24add_rmsnorm_quant_kernelIDF16_aLi1024ELi8ELb1ELb1ELb0ELi1EEEvPT0_PT_PfS4_S4_S4_diiiiiiib
; %bb.0:
	s_load_b256 s[4:11], s[0:1], 0x38
	s_mov_b32 s34, s15
	s_mov_b32 s35, 0
	s_waitcnt lgkmcnt(0)
	s_ashr_i32 s3, s4, 31
	s_mov_b32 s2, s4
	s_delay_alu instid0(SALU_CYCLE_1) | instskip(NEXT) | instid1(VALU_DEP_1)
	v_cmp_ge_i64_e64 s2, s[34:35], s[2:3]
	s_and_b32 vcc_lo, exec_lo, s2
	s_cbranch_vccnz .LBB63_44
; %bb.1:
	s_clause 0x1
	s_load_b256 s[12:19], s[0:1], 0x0
	s_load_b256 s[20:27], s[0:1], 0x20
	s_ashr_i32 s1, s6, 31
	s_mul_hi_u32 s2, s6, s34
	s_mul_i32 s1, s1, s34
	s_mul_i32 s0, s6, s34
	s_add_i32 s1, s2, s1
	s_mul_hi_u32 s3, s7, s34
	s_lshl_b64 s[0:1], s[0:1], 1
	s_mul_i32 s2, s7, s34
	v_lshlrev_b32_e32 v20, 4, v0
	s_mov_b32 s31, -1
	s_waitcnt lgkmcnt(0)
	s_add_u32 s28, s18, s0
	s_addc_u32 s0, s19, s1
	s_add_i32 s6, s5, 1
	s_ashr_i32 s7, s7, 31
	s_lshr_b32 s18, s6, 31
	s_mul_i32 s7, s7, s34
	s_add_i32 s6, s6, s18
	s_and_b32 s29, s0, 0xffff
	s_lshl_b32 s0, s6, 1
	s_add_i32 s3, s3, s7
	s_and_b32 s30, s0, -4
	s_lshl_b64 s[2:3], s[2:3], 1
	s_and_b32 s1, s23, 0xffff
	buffer_load_b128 v[9:12], v20, s[28:31], 0 offen glc slc
	s_add_u32 s28, s20, s2
	s_addc_u32 s0, s21, s3
	s_mov_b32 s3, s31
	s_and_b32 s29, s0, 0xffff
	s_mov_b32 s0, s22
	buffer_load_b128 v[13:16], v20, s[28:31], 0 offen glc slc
	s_mov_b32 s2, s30
	s_waitcnt vmcnt(1)
	v_lshrrev_b32_e32 v5, 16, v9
	v_cvt_f32_f16_e32 v8, v9
	v_cvt_f32_f16_e32 v9, v10
	s_delay_alu instid0(VALU_DEP_3) | instskip(SKIP_3) | instid1(VALU_DEP_2)
	v_cvt_f32_f16_e32 v5, v5
	s_waitcnt vmcnt(0)
	v_lshrrev_b32_e32 v6, 16, v13
	v_cvt_f32_f16_e32 v13, v13
	v_cvt_f32_f16_e32 v6, v6
	s_delay_alu instid0(VALU_DEP_1)
	v_add_f32_e32 v7, v5, v6
	buffer_load_b128 v[1:4], v20, s[0:3], 0 offen
	v_lshrrev_b32_e32 v5, 16, v10
	v_cvt_f32_f16_e32 v6, v14
	v_lshrrev_b32_e32 v10, 16, v14
	v_dual_add_f32 v8, v8, v13 :: v_dual_mul_f32 v17, v7, v7
	v_cvt_f32_f16_e32 v13, v11
	v_cvt_f32_f16_e32 v5, v5
	s_delay_alu instid0(VALU_DEP_4)
	v_cvt_f32_f16_e32 v10, v10
	v_add_f32_e32 v9, v9, v6
	v_fmac_f32_e32 v17, v8, v8
	v_lshrrev_b32_e32 v6, 16, v11
	v_cvt_f32_f16_e32 v11, v15
	v_add_f32_e32 v10, v5, v10
	v_lshrrev_b32_e32 v14, 16, v15
	v_cvt_f32_f16_e32 v15, v16
	v_cvt_f32_f16_e32 v6, v6
	v_add_f32_e32 v11, v13, v11
	v_lshrrev_b32_e32 v13, 16, v12
	v_cvt_f32_f16_e32 v14, v14
	v_fmac_f32_e32 v17, v9, v9
	v_lshrrev_b32_e32 v16, 16, v16
	v_cvt_f32_f16_e32 v5, v12
	s_ashr_i32 s0, s8, 31
	v_add_f32_e32 v12, v6, v14
	v_fmac_f32_e32 v17, v10, v10
	v_cvt_f32_f16_e32 v6, v13
	v_cvt_f32_f16_e32 v14, v16
	v_add_f32_e32 v13, v5, v15
	s_mul_hi_u32 s1, s8, s34
	s_mul_i32 s2, s0, s34
	s_mul_i32 s0, s8, s34
	v_dual_add_f32 v14, v6, v14 :: v_dual_fmac_f32 v17, v11, v11
	s_add_i32 s1, s1, s2
	v_cvt_f16_f32_e32 v16, v8
	s_lshl_b64 s[0:1], s[0:1], 1
	v_cvt_f16_f32_e32 v18, v13
	v_fmac_f32_e32 v17, v12, v12
	v_cvt_f16_f32_e32 v19, v14
	v_cvt_f16_f32_e32 v22, v12
	;; [unrolled: 1-line block ×4, first 2 shown]
	v_fmac_f32_e32 v17, v13, v13
	s_add_u32 s28, s14, s0
	s_addc_u32 s0, s15, s1
	v_pack_b32_f16 v19, v18, v19
	v_pack_b32_f16 v16, v16, v24
	v_fmac_f32_e32 v17, v14, v14
	s_and_b32 s29, s0, 0xffff
	s_mov_b32 s1, 0x76543210
	s_delay_alu instid0(VALU_DEP_1) | instskip(NEXT) | instid1(VALU_DEP_1)
	v_mov_b32_dpp v5, v17 quad_perm:[1,0,3,2] row_mask:0xf bank_mask:0xf
	v_dual_add_f32 v6, v17, v5 :: v_dual_and_b32 v5, 31, v0
	v_cvt_f16_f32_e32 v17, v11
	s_delay_alu instid0(VALU_DEP_2) | instskip(NEXT) | instid1(VALU_DEP_3)
	v_mov_b32_dpp v15, v6 quad_perm:[2,3,0,1] row_mask:0xf bank_mask:0xf
	v_cmp_eq_u32_e64 s0, 31, v5
	s_delay_alu instid0(VALU_DEP_3) | instskip(NEXT) | instid1(VALU_DEP_3)
	v_pack_b32_f16 v18, v17, v22
	v_add_f32_e32 v6, v6, v15
	v_cvt_f16_f32_e32 v15, v9
	s_delay_alu instid0(VALU_DEP_2) | instskip(NEXT) | instid1(VALU_DEP_2)
	v_mov_b32_dpp v21, v6 row_xmask:7 row_mask:0xf bank_mask:0xf
	v_pack_b32_f16 v17, v15, v23
	s_delay_alu instid0(VALU_DEP_2)
	v_add_f32_e32 v6, v6, v21
	buffer_store_b128 v[16:19], v20, s[28:31], 0 offen glc slc
	;;#ASMSTART
	s_nop 0
	;;#ASMEND
	v_mov_b32_dpp v15, v6 row_xmask:15 row_mask:0xf bank_mask:0xf
	s_and_saveexec_b32 s2, s0
	s_cbranch_execz .LBB63_3
; %bb.2:
	s_delay_alu instid0(VALU_DEP_1) | instskip(SKIP_1) | instid1(VALU_DEP_2)
	v_add_f32_e32 v6, v6, v15
	v_lshrrev_b32_e32 v15, 3, v0
	v_permlanex16_b32 v16, v6, s1, 0xfedcba98 op_sel:[1,1]
	s_delay_alu instid0(VALU_DEP_1)
	v_dual_add_f32 v6, v6, v16 :: v_dual_and_b32 v15, 0x7c, v15
	ds_store_b32 v15, v6 offset:128
.LBB63_3:
	s_or_b32 exec_lo, exec_lo, s2
	v_lshlrev_b32_e32 v6, 2, v5
	s_waitcnt vmcnt(0) lgkmcnt(0)
	s_waitcnt_vscnt null, 0x0
	s_barrier
	buffer_gl0_inv
	v_cvt_f32_i32_e32 v16, s5
	ds_load_b32 v5, v6 offset:128
	s_cmp_lg_u32 s10, 0
	s_waitcnt lgkmcnt(0)
	v_mov_b32_dpp v15, v5 quad_perm:[1,0,3,2] row_mask:0xf bank_mask:0xf
	s_delay_alu instid0(VALU_DEP_1) | instskip(NEXT) | instid1(VALU_DEP_1)
	v_add_f32_e32 v5, v5, v15
	v_mov_b32_dpp v15, v5 quad_perm:[2,3,0,1] row_mask:0xf bank_mask:0xf
	s_delay_alu instid0(VALU_DEP_1) | instskip(NEXT) | instid1(VALU_DEP_1)
	v_add_f32_e32 v5, v5, v15
	v_mov_b32_dpp v15, v5 row_xmask:7 row_mask:0xf bank_mask:0xf
	s_delay_alu instid0(VALU_DEP_1) | instskip(NEXT) | instid1(VALU_DEP_1)
	v_add_f32_e32 v5, v5, v15
	v_mov_b32_dpp v15, v5 row_xmask:15 row_mask:0xf bank_mask:0xf
	s_delay_alu instid0(VALU_DEP_1) | instskip(NEXT) | instid1(VALU_DEP_1)
	v_add_f32_e32 v5, v5, v15
	v_permlanex16_b32 v15, v5, s1, 0xfedcba98 op_sel:[1,1]
	s_delay_alu instid0(VALU_DEP_1) | instskip(NEXT) | instid1(VALU_DEP_1)
	v_add_f32_e32 v5, v5, v15
	v_div_scale_f32 v15, null, v16, v16, v5
	v_div_scale_f32 v19, vcc_lo, v5, v16, v5
	s_delay_alu instid0(VALU_DEP_2) | instskip(SKIP_2) | instid1(VALU_DEP_1)
	v_rcp_f32_e32 v17, v15
	s_waitcnt_depctr 0xfff
	v_fma_f32 v18, -v15, v17, 1.0
	v_fmac_f32_e32 v17, v18, v17
	s_delay_alu instid0(VALU_DEP_1) | instskip(NEXT) | instid1(VALU_DEP_1)
	v_mul_f32_e32 v18, v19, v17
	v_fma_f32 v20, -v15, v18, v19
	s_delay_alu instid0(VALU_DEP_1) | instskip(SKIP_2) | instid1(VALU_DEP_3)
	v_fmac_f32_e32 v18, v20, v17
	v_cvt_f32_f16_e32 v20, v4
	v_lshrrev_b32_e32 v4, 16, v4
	v_fma_f32 v15, -v15, v18, v19
	s_delay_alu instid0(VALU_DEP_2) | instskip(NEXT) | instid1(VALU_DEP_2)
	v_cvt_f32_f16_e32 v4, v4
	v_div_fmas_f32 v15, v15, v17, v18
	v_cvt_f32_f16_e32 v18, v3
	v_lshrrev_b32_e32 v3, 16, v3
	v_cvt_f32_f16_e32 v17, v2
	v_lshrrev_b32_e32 v2, 16, v2
	v_div_fixup_f32 v5, v15, v16, v5
	s_delay_alu instid0(VALU_DEP_4) | instskip(NEXT) | instid1(VALU_DEP_3)
	v_cvt_f32_f16_e32 v3, v3
	v_cvt_f32_f16_e32 v2, v2
	s_delay_alu instid0(VALU_DEP_3) | instskip(NEXT) | instid1(VALU_DEP_1)
	v_cvt_f64_f32_e32 v[15:16], v5
	v_add_f64 v[15:16], v[15:16], s[24:25]
	s_delay_alu instid0(VALU_DEP_1) | instskip(SKIP_2) | instid1(VALU_DEP_1)
	v_cvt_f32_f64_e32 v5, v[15:16]
	v_cvt_f32_f16_e32 v16, v1
	v_lshrrev_b32_e32 v1, 16, v1
	v_cvt_f32_f16_e32 v1, v1
	s_delay_alu instid0(VALU_DEP_4) | instskip(SKIP_1) | instid1(VALU_DEP_2)
	v_mul_f32_e32 v15, 0x4b800000, v5
	v_cmp_gt_f32_e32 vcc_lo, 0x800000, v5
	v_cndmask_b32_e32 v5, v5, v15, vcc_lo
	s_delay_alu instid0(VALU_DEP_1) | instskip(SKIP_2) | instid1(VALU_DEP_1)
	v_rsq_f32_e32 v15, v5
	s_waitcnt_depctr 0xfff
	v_mul_f32_e32 v19, 0x45800000, v15
	v_cndmask_b32_e32 v15, v15, v19, vcc_lo
	s_delay_alu instid0(VALU_DEP_1) | instskip(SKIP_1) | instid1(VALU_DEP_2)
	v_dual_mul_f32 v10, v10, v15 :: v_dual_lshlrev_b32 v5, 3, v0
	v_mul_f32_e32 v14, v14, v15
	v_mul_f32_e32 v10, v10, v2
	s_delay_alu instid0(VALU_DEP_2) | instskip(NEXT) | instid1(VALU_DEP_2)
	v_mul_f32_e32 v4, v14, v4
	v_and_b32_e32 v14, 0x7fffffff, v10
	v_dual_mov_b32 v21, 0x2edbe6ff :: v_dual_mul_f32 v22, v12, v15
	v_mul_f32_e32 v8, v8, v15
	v_mul_f32_e32 v9, v9, v15
	;; [unrolled: 1-line block ×3, first 2 shown]
	s_delay_alu instid0(VALU_DEP_3) | instskip(SKIP_2) | instid1(VALU_DEP_3)
	v_dual_mul_f32 v13, v13, v15 :: v_dual_mul_f32 v12, v8, v16
	v_mul_f32_e32 v8, v22, v3
	v_mul_f32_e32 v7, v7, v15
	;; [unrolled: 1-line block ×3, first 2 shown]
	s_delay_alu instid0(VALU_DEP_2) | instskip(SKIP_3) | instid1(VALU_DEP_4)
	v_dual_mul_f32 v11, v7, v1 :: v_dual_and_b32 v16, 0x7fffffff, v8
	v_dual_mul_f32 v7, v19, v18 :: v_dual_and_b32 v18, 0x7fffffff, v4
	v_mul_f32_e32 v9, v9, v17
	v_and_b32_e32 v1, 0x7fffffff, v12
	v_and_b32_e32 v2, 0x7fffffff, v11
	;;#ASMSTART
	v_max3_f32 v1, v21, v1, v2

	;;#ASMEND
	v_and_b32_e32 v15, 0x7fffffff, v7
	v_and_b32_e32 v13, 0x7fffffff, v9
	;;#ASMSTART
	v_max3_f32 v1, v1, v13, v14

	;;#ASMEND
	v_and_b32_e32 v17, 0x7fffffff, v3
	;;#ASMSTART
	v_max3_f32 v1, v1, v15, v16

	;;#ASMEND
	;;#ASMSTART
	v_max3_f32 v13, v1, v17, v18

	;;#ASMEND
	s_cbranch_scc0 .LBB63_10
; %bb.4:
	s_ashr_i32 s7, s10, 31
	s_delay_alu instid0(SALU_CYCLE_1) | instskip(NEXT) | instid1(SALU_CYCLE_1)
	s_lshr_b32 s1, s7, 29
	s_add_i32 s1, s10, s1
	s_delay_alu instid0(SALU_CYCLE_1) | instskip(NEXT) | instid1(SALU_CYCLE_1)
	s_ashr_i32 s1, s1, 3
	s_cmp_lt_i32 s1, 8
	s_cbranch_scc1 .LBB63_11
; %bb.5:
	s_cmp_lt_i32 s1, 16
	s_cbranch_scc1 .LBB63_12
; %bb.6:
	;; [unrolled: 3-line block ×3, first 2 shown]
	v_mov_b32_e32 v1, v13
	s_cmp_eq_u32 s1, 32
	s_cbranch_scc0 .LBB63_9
; %bb.8:
	s_delay_alu instid0(VALU_DEP_1) | instskip(SKIP_1) | instid1(VALU_DEP_1)
	v_mov_b32_dpp v1, v13 quad_perm:[1,0,3,2] row_mask:0xf bank_mask:0xf
	s_mov_b32 s2, 0x76543210
	v_cmp_gt_f32_e32 vcc_lo, v13, v1
	v_cndmask_b32_e32 v1, v1, v13, vcc_lo
	s_delay_alu instid0(VALU_DEP_1) | instskip(NEXT) | instid1(VALU_DEP_1)
	v_mov_b32_dpp v2, v1 quad_perm:[2,3,0,1] row_mask:0xf bank_mask:0xf
	v_cmp_gt_f32_e32 vcc_lo, v1, v2
	v_cndmask_b32_e32 v1, v2, v1, vcc_lo
	s_delay_alu instid0(VALU_DEP_1) | instskip(NEXT) | instid1(VALU_DEP_1)
	v_mov_b32_dpp v2, v1 row_xmask:7 row_mask:0xf bank_mask:0xf
	v_cmp_gt_f32_e32 vcc_lo, v1, v2
	v_cndmask_b32_e32 v1, v2, v1, vcc_lo
	s_delay_alu instid0(VALU_DEP_1) | instskip(NEXT) | instid1(VALU_DEP_1)
	v_mov_b32_dpp v2, v1 row_xmask:15 row_mask:0xf bank_mask:0xf
	v_cmp_gt_f32_e32 vcc_lo, v1, v2
	v_cndmask_b32_e32 v1, v2, v1, vcc_lo
	s_delay_alu instid0(VALU_DEP_1) | instskip(NEXT) | instid1(VALU_DEP_1)
	v_permlanex16_b32 v2, v1, s2, 0xfedcba98 op_sel:[1,1]
	v_cmp_gt_f32_e32 vcc_lo, v1, v2
	v_cndmask_b32_e32 v1, v2, v1, vcc_lo
.LBB63_9:
	s_mov_b32 s2, 0
	s_branch .LBB63_14
.LBB63_10:
	s_mov_b32 s1, 0
                                        ; implicit-def: $vgpr14
                                        ; implicit-def: $vgpr1_vgpr2
	s_and_b32 vcc_lo, exec_lo, s31
	s_cbranch_vccnz .LBB63_38
	s_branch .LBB63_41
.LBB63_11:
                                        ; implicit-def: $vgpr1
	s_branch .LBB63_21
.LBB63_12:
                                        ; implicit-def: $vgpr1
	s_branch .LBB63_18
.LBB63_13:
	s_mov_b32 s2, -1
                                        ; implicit-def: $vgpr1
.LBB63_14:
	s_delay_alu instid0(SALU_CYCLE_1)
	s_and_not1_b32 vcc_lo, exec_lo, s2
	s_cbranch_vccnz .LBB63_17
; %bb.15:
	v_mov_b32_e32 v1, v13
	s_cmp_eq_u32 s1, 16
	s_cbranch_scc0 .LBB63_17
; %bb.16:
	s_delay_alu instid0(VALU_DEP_1) | instskip(NEXT) | instid1(VALU_DEP_1)
	v_mov_b32_dpp v1, v13 quad_perm:[1,0,3,2] row_mask:0xf bank_mask:0xf
	v_cmp_gt_f32_e32 vcc_lo, v13, v1
	v_cndmask_b32_e32 v1, v1, v13, vcc_lo
	s_delay_alu instid0(VALU_DEP_1) | instskip(NEXT) | instid1(VALU_DEP_1)
	v_mov_b32_dpp v2, v1 quad_perm:[2,3,0,1] row_mask:0xf bank_mask:0xf
	v_cmp_gt_f32_e32 vcc_lo, v1, v2
	v_cndmask_b32_e32 v1, v2, v1, vcc_lo
	s_delay_alu instid0(VALU_DEP_1) | instskip(NEXT) | instid1(VALU_DEP_1)
	v_mov_b32_dpp v2, v1 row_half_mirror row_mask:0xf bank_mask:0xf
	v_cmp_gt_f32_e32 vcc_lo, v1, v2
	v_cndmask_b32_e32 v1, v2, v1, vcc_lo
	s_delay_alu instid0(VALU_DEP_1) | instskip(NEXT) | instid1(VALU_DEP_1)
	v_mov_b32_dpp v2, v1 row_mirror row_mask:0xf bank_mask:0xf
	v_cmp_gt_f32_e32 vcc_lo, v1, v2
	v_cndmask_b32_e32 v1, v2, v1, vcc_lo
.LBB63_17:
	s_cbranch_execnz .LBB63_20
.LBB63_18:
	v_mov_b32_e32 v1, v13
	s_cmp_eq_u32 s1, 8
	s_cbranch_scc0 .LBB63_20
; %bb.19:
	s_delay_alu instid0(VALU_DEP_1) | instskip(NEXT) | instid1(VALU_DEP_1)
	v_mov_b32_dpp v1, v13 quad_perm:[1,0,3,2] row_mask:0xf bank_mask:0xf
	v_cmp_gt_f32_e32 vcc_lo, v13, v1
	v_cndmask_b32_e32 v1, v1, v13, vcc_lo
	s_delay_alu instid0(VALU_DEP_1) | instskip(NEXT) | instid1(VALU_DEP_1)
	v_mov_b32_dpp v2, v1 quad_perm:[2,3,0,1] row_mask:0xf bank_mask:0xf
	v_cmp_gt_f32_e32 vcc_lo, v1, v2
	v_cndmask_b32_e32 v1, v2, v1, vcc_lo
	s_delay_alu instid0(VALU_DEP_1) | instskip(NEXT) | instid1(VALU_DEP_1)
	v_mov_b32_dpp v2, v1 row_half_mirror row_mask:0xf bank_mask:0xf
	v_cmp_gt_f32_e32 vcc_lo, v1, v2
	v_cndmask_b32_e32 v1, v2, v1, vcc_lo
.LBB63_20:
	s_cbranch_execnz .LBB63_28
.LBB63_21:
	s_cmp_lt_i32 s1, 4
	s_cbranch_scc1 .LBB63_24
; %bb.22:
	v_mov_b32_e32 v1, v13
	s_cmp_eq_u32 s1, 4
	s_cbranch_scc0 .LBB63_25
; %bb.23:
	s_delay_alu instid0(VALU_DEP_1) | instskip(NEXT) | instid1(VALU_DEP_1)
	v_mov_b32_dpp v1, v13 quad_perm:[1,0,3,2] row_mask:0xf bank_mask:0xf
	v_cmp_gt_f32_e32 vcc_lo, v13, v1
	v_cndmask_b32_e32 v1, v1, v13, vcc_lo
	s_delay_alu instid0(VALU_DEP_1) | instskip(NEXT) | instid1(VALU_DEP_1)
	v_mov_b32_dpp v2, v1 quad_perm:[2,3,0,1] row_mask:0xf bank_mask:0xf
	v_cmp_gt_f32_e32 vcc_lo, v1, v2
	v_cndmask_b32_e32 v1, v2, v1, vcc_lo
	s_cbranch_execz .LBB63_26
	s_branch .LBB63_28
.LBB63_24:
                                        ; implicit-def: $vgpr1
	s_branch .LBB63_26
.LBB63_25:
	s_cbranch_execnz .LBB63_28
.LBB63_26:
	v_mov_b32_e32 v1, v13
	s_cmp_lg_u32 s1, 2
	s_cbranch_scc1 .LBB63_28
; %bb.27:
	s_delay_alu instid0(VALU_DEP_1) | instskip(NEXT) | instid1(VALU_DEP_1)
	v_mov_b32_dpp v1, v13 quad_perm:[1,0,3,2] row_mask:0xf bank_mask:0xf
	v_cmp_gt_f32_e32 vcc_lo, v13, v1
	v_cndmask_b32_e32 v1, v1, v13, vcc_lo
.LBB63_28:
	v_cvt_f32_u32_e32 v2, s1
	s_sub_i32 s2, 0, s1
	s_mov_b32 s31, 0
	s_delay_alu instid0(VALU_DEP_1) | instskip(SKIP_2) | instid1(VALU_DEP_1)
	v_rcp_iflag_f32_e32 v2, v2
	s_waitcnt_depctr 0xfff
	v_mul_f32_e32 v2, 0x4f7ffffe, v2
	v_cvt_u32_f32_e32 v2, v2
	s_delay_alu instid0(VALU_DEP_1) | instskip(NEXT) | instid1(VALU_DEP_1)
	v_mul_lo_u32 v14, s2, v2
	v_mul_hi_u32 v14, v2, v14
	s_delay_alu instid0(VALU_DEP_1) | instskip(NEXT) | instid1(VALU_DEP_1)
	v_add_nc_u32_e32 v2, v2, v14
	v_mul_hi_u32 v2, v0, v2
	s_delay_alu instid0(VALU_DEP_1) | instskip(NEXT) | instid1(VALU_DEP_1)
	v_mul_lo_u32 v14, v2, s1
	v_sub_nc_u32_e32 v14, v0, v14
	s_delay_alu instid0(VALU_DEP_1) | instskip(SKIP_1) | instid1(VALU_DEP_2)
	v_subrev_nc_u32_e32 v16, s1, v14
	v_cmp_le_u32_e32 vcc_lo, s1, v14
	v_dual_cndmask_b32 v14, v14, v16 :: v_dual_add_nc_u32 v15, 1, v2
	s_delay_alu instid0(VALU_DEP_1) | instskip(NEXT) | instid1(VALU_DEP_2)
	v_cndmask_b32_e32 v2, v2, v15, vcc_lo
	v_cmp_le_u32_e32 vcc_lo, s1, v14
	s_delay_alu instid0(VALU_DEP_2) | instskip(NEXT) | instid1(VALU_DEP_1)
	v_dual_mul_f32 v14, 0x3c010204, v1 :: v_dual_add_nc_u32 v15, 1, v2
	v_cndmask_b32_e32 v15, v2, v15, vcc_lo
	v_cmp_gt_u32_e32 vcc_lo, s5, v5
	s_delay_alu instid0(VALU_DEP_2) | instskip(NEXT) | instid1(VALU_DEP_1)
	v_mul_lo_u32 v2, v15, s1
	v_sub_nc_u32_e32 v2, v0, v2
	s_delay_alu instid0(VALU_DEP_1) | instskip(NEXT) | instid1(VALU_DEP_1)
	v_cmp_eq_u32_e64 s1, 0, v2
                                        ; implicit-def: $vgpr1_vgpr2
	s_and_b32 s2, s1, vcc_lo
	s_mov_b32 s1, 0
	s_and_saveexec_b32 s3, s2
	s_delay_alu instid0(SALU_CYCLE_1)
	s_xor_b32 s8, exec_lo, s3
	s_cbranch_execz .LBB63_37
; %bb.29:
	s_bitcmp0_b32 s11, 0
	s_mov_b32 s6, 0
	s_cbranch_scc0 .LBB63_34
; %bb.30:
	s_ashr_i32 s1, s5, 31
	s_mul_hi_u32 s3, s5, s34
	s_mul_i32 s1, s1, s34
	s_mul_i32 s2, s5, s34
	s_add_i32 s3, s3, s1
	s_mov_b32 s11, s7
	s_delay_alu instid0(SALU_CYCLE_1) | instskip(NEXT) | instid1(SALU_CYCLE_1)
	s_or_b64 s[14:15], s[2:3], s[10:11]
	s_mov_b32 s7, s15
	s_delay_alu instid0(SALU_CYCLE_1)
	s_cmp_lg_u64 s[6:7], 0
	s_cbranch_scc0 .LBB63_45
; %bb.31:
	s_add_u32 s14, s10, s11
	s_mov_b32 s6, s11
	s_mov_b32 s7, s11
	s_addc_u32 s15, s11, s11
	s_delay_alu instid0(SALU_CYCLE_1) | instskip(NEXT) | instid1(SALU_CYCLE_1)
	s_xor_b64 s[14:15], s[14:15], s[6:7]
	v_cvt_f32_u32_e32 v1, s14
	v_cvt_f32_u32_e32 v2, s15
	s_sub_u32 s18, 0, s14
	s_subb_u32 s19, 0, s15
	s_delay_alu instid0(VALU_DEP_1) | instskip(NEXT) | instid1(VALU_DEP_1)
	v_fmamk_f32 v1, v2, 0x4f800000, v1
	v_rcp_f32_e32 v1, v1
	s_waitcnt_depctr 0xfff
	v_mul_f32_e32 v1, 0x5f7ffffc, v1
	s_delay_alu instid0(VALU_DEP_1) | instskip(NEXT) | instid1(VALU_DEP_1)
	v_mul_f32_e32 v2, 0x2f800000, v1
	v_trunc_f32_e32 v2, v2
	s_delay_alu instid0(VALU_DEP_1) | instskip(SKIP_1) | instid1(VALU_DEP_2)
	v_fmamk_f32 v1, v2, 0xcf800000, v1
	v_cvt_u32_f32_e32 v2, v2
	v_cvt_u32_f32_e32 v1, v1
	s_delay_alu instid0(VALU_DEP_2) | instskip(NEXT) | instid1(VALU_DEP_2)
	v_readfirstlane_b32 s1, v2
	v_readfirstlane_b32 s11, v1
	s_delay_alu instid0(VALU_DEP_2) | instskip(NEXT) | instid1(VALU_DEP_1)
	s_mul_i32 s20, s18, s1
	s_mul_hi_u32 s22, s18, s11
	s_mul_i32 s21, s19, s11
	s_add_i32 s20, s22, s20
	s_mul_i32 s23, s18, s11
	s_add_i32 s20, s20, s21
	s_mul_hi_u32 s22, s11, s23
	s_mul_hi_u32 s24, s1, s23
	s_mul_i32 s21, s1, s23
	s_mul_hi_u32 s23, s11, s20
	s_mul_i32 s11, s11, s20
	s_mul_hi_u32 s25, s1, s20
	s_add_u32 s11, s22, s11
	s_addc_u32 s22, 0, s23
	s_add_u32 s11, s11, s21
	s_mul_i32 s20, s1, s20
	s_addc_u32 s11, s22, s24
	s_addc_u32 s21, s25, 0
	s_add_u32 s11, s11, s20
	s_addc_u32 s20, 0, s21
	v_add_co_u32 v1, s11, v1, s11
	s_delay_alu instid0(VALU_DEP_1) | instskip(SKIP_1) | instid1(VALU_DEP_1)
	s_cmp_lg_u32 s11, 0
	s_addc_u32 s1, s1, s20
	v_readfirstlane_b32 s11, v1
	s_mul_i32 s20, s18, s1
	s_delay_alu instid0(VALU_DEP_1)
	s_mul_hi_u32 s21, s18, s11
	s_mul_i32 s19, s19, s11
	s_add_i32 s20, s21, s20
	s_mul_i32 s18, s18, s11
	s_add_i32 s20, s20, s19
	s_mul_hi_u32 s21, s1, s18
	s_mul_i32 s22, s1, s18
	s_mul_hi_u32 s18, s11, s18
	s_mul_hi_u32 s23, s11, s20
	s_mul_i32 s11, s11, s20
	s_mul_hi_u32 s19, s1, s20
	s_add_u32 s11, s18, s11
	s_addc_u32 s18, 0, s23
	s_add_u32 s11, s11, s22
	s_mul_i32 s20, s1, s20
	s_addc_u32 s11, s18, s21
	s_addc_u32 s18, s19, 0
	s_add_u32 s11, s11, s20
	s_addc_u32 s18, 0, s18
	v_add_co_u32 v1, s11, v1, s11
	s_delay_alu instid0(VALU_DEP_1) | instskip(SKIP_2) | instid1(SALU_CYCLE_1)
	s_cmp_lg_u32 s11, 0
	s_addc_u32 s1, s1, s18
	s_ashr_i32 s18, s3, 31
	s_add_u32 s20, s2, s18
	s_addc_u32 s21, s3, s18
	v_readfirstlane_b32 s3, v1
	s_mov_b32 s19, s18
	s_delay_alu instid0(SALU_CYCLE_1) | instskip(NEXT) | instid1(SALU_CYCLE_1)
	s_xor_b64 s[20:21], s[20:21], s[18:19]
	s_mul_i32 s22, s20, s1
	s_delay_alu instid0(VALU_DEP_1)
	s_mul_hi_u32 s23, s20, s3
	s_mul_hi_u32 s11, s20, s1
	;; [unrolled: 1-line block ×3, first 2 shown]
	s_mul_i32 s3, s21, s3
	s_add_u32 s22, s23, s22
	s_addc_u32 s11, 0, s11
	s_mul_hi_u32 s24, s21, s1
	s_add_u32 s3, s22, s3
	s_mul_i32 s1, s21, s1
	s_addc_u32 s3, s11, s25
	s_addc_u32 s11, s24, 0
	s_add_u32 s3, s3, s1
	s_addc_u32 s11, 0, s11
	s_mul_i32 s24, s14, s3
	s_mul_hi_u32 s1, s14, s3
	s_mul_i32 s23, s14, s11
	v_sub_co_u32 v1, s20, s20, s24
	s_mul_i32 s22, s15, s3
	s_add_i32 s1, s1, s23
	s_delay_alu instid0(SALU_CYCLE_1) | instskip(NEXT) | instid1(VALU_DEP_1)
	s_add_i32 s1, s1, s22
	v_sub_co_u32 v2, s23, v1, s14
	s_sub_i32 s22, s21, s1
	s_cmp_lg_u32 s20, 0
	s_subb_u32 s22, s22, s15
	s_cmp_lg_u32 s23, 0
	v_cmp_le_u32_e32 vcc_lo, s14, v2
	s_subb_u32 s22, s22, 0
	s_delay_alu instid0(SALU_CYCLE_1)
	s_cmp_ge_u32 s22, s15
	v_cndmask_b32_e64 v2, 0, -1, vcc_lo
	s_cselect_b32 s23, -1, 0
	s_cmp_eq_u32 s22, s15
	s_cselect_b32 vcc_lo, -1, 0
	s_add_u32 s22, s3, 1
	v_cndmask_b32_e32 v2, s23, v2, vcc_lo
	s_addc_u32 s23, s11, 0
	s_add_u32 s24, s3, 2
	s_addc_u32 s25, s11, 0
	s_cmp_lg_u32 s20, 0
	v_cmp_le_u32_e32 vcc_lo, s14, v1
	s_subb_u32 s1, s21, s1
	v_mov_b32_e32 v16, s24
	s_cmp_ge_u32 s1, s15
	v_cndmask_b32_e64 v1, 0, -1, vcc_lo
	s_cselect_b32 s14, -1, 0
	s_cmp_eq_u32 s1, s15
	v_cmp_ne_u32_e32 vcc_lo, 0, v2
	v_mov_b32_e32 v2, s25
	s_cselect_b32 s1, -1, 0
	s_xor_b64 s[6:7], s[18:19], s[6:7]
	v_cndmask_b32_e64 v1, s14, v1, s1
	v_cndmask_b32_e32 v16, s22, v16, vcc_lo
	v_cndmask_b32_e32 v2, s23, v2, vcc_lo
	s_delay_alu instid0(VALU_DEP_3) | instskip(NEXT) | instid1(VALU_DEP_2)
	v_cmp_ne_u32_e32 vcc_lo, 0, v1
	v_cndmask_b32_e32 v1, s11, v2, vcc_lo
	s_delay_alu instid0(VALU_DEP_4) | instskip(NEXT) | instid1(VALU_DEP_2)
	v_cndmask_b32_e32 v2, s3, v16, vcc_lo
	v_xor_b32_e32 v16, s7, v1
	s_delay_alu instid0(VALU_DEP_2) | instskip(NEXT) | instid1(VALU_DEP_1)
	v_xor_b32_e32 v2, s6, v2
	v_sub_co_u32 v1, vcc_lo, v2, s6
	s_delay_alu instid0(VALU_DEP_3)
	v_subrev_co_ci_u32_e32 v2, vcc_lo, s7, v16, vcc_lo
	s_cbranch_execnz .LBB63_33
.LBB63_32:
	v_cvt_f32_u32_e32 v1, s10
	s_sub_i32 s3, 0, s10
	s_delay_alu instid0(VALU_DEP_1) | instskip(SKIP_2) | instid1(VALU_DEP_1)
	v_rcp_iflag_f32_e32 v1, v1
	s_waitcnt_depctr 0xfff
	v_mul_f32_e32 v1, 0x4f7ffffe, v1
	v_cvt_u32_f32_e32 v1, v1
	s_delay_alu instid0(VALU_DEP_1) | instskip(NEXT) | instid1(VALU_DEP_1)
	v_readfirstlane_b32 s1, v1
	s_mul_i32 s3, s3, s1
	s_delay_alu instid0(SALU_CYCLE_1) | instskip(NEXT) | instid1(SALU_CYCLE_1)
	s_mul_hi_u32 s3, s1, s3
	s_add_i32 s1, s1, s3
	s_delay_alu instid0(SALU_CYCLE_1) | instskip(NEXT) | instid1(SALU_CYCLE_1)
	s_mul_hi_u32 s1, s2, s1
	s_mul_i32 s3, s1, s10
	s_delay_alu instid0(SALU_CYCLE_1)
	s_sub_i32 s2, s2, s3
	s_add_i32 s3, s1, 1
	s_sub_i32 s6, s2, s10
	s_cmp_ge_u32 s2, s10
	s_cselect_b32 s1, s3, s1
	s_cselect_b32 s2, s6, s2
	s_add_i32 s6, s1, 1
	s_cmp_ge_u32 s2, s10
	s_mov_b32 s3, 0
	s_cselect_b32 s2, s6, s1
	s_delay_alu instid0(SALU_CYCLE_1)
	v_dual_mov_b32 v1, s2 :: v_dual_mov_b32 v2, s3
.LBB63_33:
	s_delay_alu instid0(VALU_DEP_1) | instskip(NEXT) | instid1(VALU_DEP_2)
	v_add_co_u32 v1, vcc_lo, v1, v15
	v_add_co_ci_u32_e32 v2, vcc_lo, 0, v2, vcc_lo
	s_branch .LBB63_36
.LBB63_34:
                                        ; implicit-def: $vgpr1_vgpr2
	s_cbranch_execz .LBB63_36
; %bb.35:
	v_mul_lo_u32 v1, v15, s4
	s_delay_alu instid0(VALU_DEP_1) | instskip(SKIP_1) | instid1(VALU_DEP_2)
	v_ashrrev_i32_e32 v2, 31, v1
	v_add_co_u32 v1, vcc_lo, v1, s34
	v_add_co_ci_u32_e32 v2, vcc_lo, 0, v2, vcc_lo
.LBB63_36:
	s_mov_b32 s1, exec_lo
.LBB63_37:
	s_or_b32 exec_lo, exec_lo, s8
	s_delay_alu instid0(SALU_CYCLE_1)
	s_and_b32 vcc_lo, exec_lo, s31
	s_cbranch_vccz .LBB63_41
.LBB63_38:
	v_mov_b32_dpp v1, v13 quad_perm:[1,0,3,2] row_mask:0xf bank_mask:0xf
	s_mov_b32 s1, 0x76543210
	s_delay_alu instid0(VALU_DEP_1) | instskip(SKIP_1) | instid1(VALU_DEP_1)
	v_cmp_gt_f32_e32 vcc_lo, v13, v1
	v_cndmask_b32_e32 v1, v1, v13, vcc_lo
	v_mov_b32_dpp v2, v1 quad_perm:[2,3,0,1] row_mask:0xf bank_mask:0xf
	s_delay_alu instid0(VALU_DEP_1) | instskip(SKIP_1) | instid1(VALU_DEP_1)
	v_cmp_gt_f32_e32 vcc_lo, v1, v2
	v_cndmask_b32_e32 v1, v2, v1, vcc_lo
	v_mov_b32_dpp v2, v1 row_xmask:7 row_mask:0xf bank_mask:0xf
	s_delay_alu instid0(VALU_DEP_1) | instskip(SKIP_1) | instid1(VALU_DEP_1)
	v_cmp_gt_f32_e32 vcc_lo, v1, v2
	v_cndmask_b32_e32 v1, v2, v1, vcc_lo
	v_mov_b32_dpp v2, v1 row_xmask:15 row_mask:0xf bank_mask:0xf
	s_delay_alu instid0(VALU_DEP_1)
	v_cmp_gt_f32_e32 vcc_lo, v1, v2
	s_and_saveexec_b32 s2, s0
	s_cbranch_execz .LBB63_40
; %bb.39:
	v_cndmask_b32_e32 v1, v2, v1, vcc_lo
	v_lshrrev_b32_e32 v2, 3, v0
	s_delay_alu instid0(VALU_DEP_1) | instskip(NEXT) | instid1(VALU_DEP_3)
	v_and_b32_e32 v2, 0x7c, v2
	v_permlanex16_b32 v13, v1, s1, 0xfedcba98 op_sel:[1,1]
	s_delay_alu instid0(VALU_DEP_1)
	v_cmp_gt_f32_e32 vcc_lo, v1, v13
	v_cndmask_b32_e32 v1, v13, v1, vcc_lo
	ds_store_b32 v2, v1
.LBB63_40:
	s_or_b32 exec_lo, exec_lo, s2
	s_waitcnt lgkmcnt(0)
	s_barrier
	buffer_gl0_inv
	ds_load_b32 v1, v6
	s_waitcnt lgkmcnt(0)
	v_mov_b32_dpp v2, v1 quad_perm:[1,0,3,2] row_mask:0xf bank_mask:0xf
	s_delay_alu instid0(VALU_DEP_1) | instskip(SKIP_1) | instid1(VALU_DEP_1)
	v_cmp_gt_f32_e32 vcc_lo, v1, v2
	v_cndmask_b32_e32 v1, v2, v1, vcc_lo
	v_mov_b32_dpp v2, v1 quad_perm:[2,3,0,1] row_mask:0xf bank_mask:0xf
	s_delay_alu instid0(VALU_DEP_1) | instskip(SKIP_1) | instid1(VALU_DEP_1)
	v_cmp_gt_f32_e32 vcc_lo, v1, v2
	v_cndmask_b32_e32 v1, v2, v1, vcc_lo
	v_mov_b32_dpp v2, v1 row_xmask:7 row_mask:0xf bank_mask:0xf
	s_delay_alu instid0(VALU_DEP_1) | instskip(SKIP_1) | instid1(VALU_DEP_1)
	v_cmp_gt_f32_e32 vcc_lo, v1, v2
	v_cndmask_b32_e32 v1, v2, v1, vcc_lo
	v_mov_b32_dpp v2, v1 row_xmask:15 row_mask:0xf bank_mask:0xf
	s_delay_alu instid0(VALU_DEP_1) | instskip(SKIP_1) | instid1(VALU_DEP_1)
	v_cmp_gt_f32_e32 vcc_lo, v1, v2
	v_cndmask_b32_e32 v1, v2, v1, vcc_lo
	v_permlanex16_b32 v2, v1, s1, 0xfedcba98 op_sel:[1,1]
	v_cmp_eq_u32_e64 s1, 0, v0
	s_delay_alu instid0(VALU_DEP_2) | instskip(SKIP_1) | instid1(VALU_DEP_1)
	v_cmp_gt_f32_e32 vcc_lo, v1, v2
	v_cndmask_b32_e32 v1, v2, v1, vcc_lo
	v_dual_mul_f32 v14, 0x3c010204, v1 :: v_dual_mov_b32 v1, s34
	v_mov_b32_e32 v2, s35
.LBB63_41:
	s_and_saveexec_b32 s0, s1
	s_cbranch_execz .LBB63_43
; %bb.42:
	s_delay_alu instid0(VALU_DEP_1) | instskip(NEXT) | instid1(VALU_DEP_1)
	v_lshlrev_b64 v[0:1], 2, v[1:2]
	v_add_co_u32 v0, vcc_lo, s16, v0
	s_delay_alu instid0(VALU_DEP_2)
	v_add_co_ci_u32_e32 v1, vcc_lo, s17, v1, vcc_lo
	global_store_b32 v[0:1], v14, off
.LBB63_43:
	s_or_b32 exec_lo, exec_lo, s0
	;;#ASMSTART
	v_rcp_f32 v0, v14
	;;#ASMEND
	v_mul_f32_e32 v7, v7, v0
	v_mul_f32_e32 v1, v12, v0
	;; [unrolled: 1-line block ×4, first 2 shown]
	s_add_i32 s0, s5, 3
	v_cvt_i32_f32_e32 v7, v7
	v_mul_f32_e32 v2, v11, v0
	v_cvt_i32_f32_e32 v1, v1
	v_mul_f32_e32 v6, v9, v0
	v_cvt_i32_f32_e32 v4, v4
	v_and_b32_e32 v7, 0xff, v7
	v_cvt_i32_f32_e32 v2, v2
	v_and_b32_e32 v1, 0xff, v1
	s_ashr_i32 s1, s0, 31
	v_lshlrev_b16 v4, 8, v4
	s_lshr_b32 s1, s1, 30
	v_lshlrev_b16 v2, 8, v2
	s_add_i32 s0, s0, s1
	s_ashr_i32 s1, s9, 31
	s_and_b32 s2, s0, -4
	s_mul_hi_u32 s0, s9, s34
	v_or_b32_e32 v1, v1, v2
	v_mul_f32_e32 v9, v10, v0
	v_mul_f32_e32 v0, v3, v0
	v_cvt_i32_f32_e32 v3, v6
	s_mul_i32 s1, s1, s34
	s_mul_i32 s3, s9, s34
	s_add_i32 s1, s0, s1
	v_cvt_i32_f32_e32 v0, v0
	v_and_b32_e32 v3, 0xff, v3
	v_cvt_i32_f32_e32 v6, v8
	s_add_u32 s0, s12, s3
	s_addc_u32 s1, s13, s1
	v_and_b32_e32 v0, 0xff, v0
	s_and_b32 s1, s1, 0xffff
	v_lshlrev_b16 v6, 8, v6
	s_mov_b32 s3, -1
	s_delay_alu instid0(VALU_DEP_2) | instskip(SKIP_3) | instid1(VALU_DEP_4)
	v_or_b32_e32 v0, v0, v4
	v_and_b32_e32 v4, 0xffff, v1
	v_cvt_i32_f32_e32 v8, v9
	v_or_b32_e32 v6, v7, v6
	v_lshlrev_b32_e32 v0, 16, v0
	s_delay_alu instid0(VALU_DEP_3) | instskip(NEXT) | instid1(VALU_DEP_1)
	v_lshlrev_b16 v8, 8, v8
	v_or_b32_e32 v2, v3, v8
	s_delay_alu instid0(VALU_DEP_4) | instskip(NEXT) | instid1(VALU_DEP_2)
	v_and_b32_e32 v3, 0xffff, v6
	v_lshlrev_b32_e32 v2, 16, v2
	s_delay_alu instid0(VALU_DEP_2) | instskip(NEXT) | instid1(VALU_DEP_2)
	v_or_b32_e32 v1, v3, v0
	v_or_b32_e32 v0, v4, v2
	buffer_store_b64 v[0:1], v5, s[0:3], 0 offen
	;;#ASMSTART
	s_nop 0
	;;#ASMEND
.LBB63_44:
	s_nop 0
	s_sendmsg sendmsg(MSG_DEALLOC_VGPRS)
	s_endpgm
.LBB63_45:
                                        ; implicit-def: $vgpr1_vgpr2
	s_branch .LBB63_32
	.section	.rodata,"a",@progbits
	.p2align	6, 0x0
	.amdhsa_kernel _ZN5aiter24add_rmsnorm_quant_kernelIDF16_aLi1024ELi8ELb1ELb1ELb0ELi1EEEvPT0_PT_PfS4_S4_S4_diiiiiiib
		.amdhsa_group_segment_fixed_size 256
		.amdhsa_private_segment_fixed_size 0
		.amdhsa_kernarg_size 88
		.amdhsa_user_sgpr_count 15
		.amdhsa_user_sgpr_dispatch_ptr 0
		.amdhsa_user_sgpr_queue_ptr 0
		.amdhsa_user_sgpr_kernarg_segment_ptr 1
		.amdhsa_user_sgpr_dispatch_id 0
		.amdhsa_user_sgpr_private_segment_size 0
		.amdhsa_wavefront_size32 1
		.amdhsa_uses_dynamic_stack 0
		.amdhsa_enable_private_segment 0
		.amdhsa_system_sgpr_workgroup_id_x 1
		.amdhsa_system_sgpr_workgroup_id_y 0
		.amdhsa_system_sgpr_workgroup_id_z 0
		.amdhsa_system_sgpr_workgroup_info 0
		.amdhsa_system_vgpr_workitem_id 0
		.amdhsa_next_free_vgpr 25
		.amdhsa_next_free_sgpr 36
		.amdhsa_reserve_vcc 1
		.amdhsa_float_round_mode_32 0
		.amdhsa_float_round_mode_16_64 0
		.amdhsa_float_denorm_mode_32 3
		.amdhsa_float_denorm_mode_16_64 3
		.amdhsa_dx10_clamp 1
		.amdhsa_ieee_mode 1
		.amdhsa_fp16_overflow 0
		.amdhsa_workgroup_processor_mode 1
		.amdhsa_memory_ordered 1
		.amdhsa_forward_progress 0
		.amdhsa_shared_vgpr_count 0
		.amdhsa_exception_fp_ieee_invalid_op 0
		.amdhsa_exception_fp_denorm_src 0
		.amdhsa_exception_fp_ieee_div_zero 0
		.amdhsa_exception_fp_ieee_overflow 0
		.amdhsa_exception_fp_ieee_underflow 0
		.amdhsa_exception_fp_ieee_inexact 0
		.amdhsa_exception_int_div_zero 0
	.end_amdhsa_kernel
	.section	.text._ZN5aiter24add_rmsnorm_quant_kernelIDF16_aLi1024ELi8ELb1ELb1ELb0ELi1EEEvPT0_PT_PfS4_S4_S4_diiiiiiib,"axG",@progbits,_ZN5aiter24add_rmsnorm_quant_kernelIDF16_aLi1024ELi8ELb1ELb1ELb0ELi1EEEvPT0_PT_PfS4_S4_S4_diiiiiiib,comdat
.Lfunc_end63:
	.size	_ZN5aiter24add_rmsnorm_quant_kernelIDF16_aLi1024ELi8ELb1ELb1ELb0ELi1EEEvPT0_PT_PfS4_S4_S4_diiiiiiib, .Lfunc_end63-_ZN5aiter24add_rmsnorm_quant_kernelIDF16_aLi1024ELi8ELb1ELb1ELb0ELi1EEEvPT0_PT_PfS4_S4_S4_diiiiiiib
                                        ; -- End function
	.section	.AMDGPU.csdata,"",@progbits
; Kernel info:
; codeLenInByte = 3536
; NumSgprs: 38
; NumVgprs: 25
; ScratchSize: 0
; MemoryBound: 0
; FloatMode: 240
; IeeeMode: 1
; LDSByteSize: 256 bytes/workgroup (compile time only)
; SGPRBlocks: 4
; VGPRBlocks: 3
; NumSGPRsForWavesPerEU: 38
; NumVGPRsForWavesPerEU: 25
; Occupancy: 16
; WaveLimiterHint : 0
; COMPUTE_PGM_RSRC2:SCRATCH_EN: 0
; COMPUTE_PGM_RSRC2:USER_SGPR: 15
; COMPUTE_PGM_RSRC2:TRAP_HANDLER: 0
; COMPUTE_PGM_RSRC2:TGID_X_EN: 1
; COMPUTE_PGM_RSRC2:TGID_Y_EN: 0
; COMPUTE_PGM_RSRC2:TGID_Z_EN: 0
; COMPUTE_PGM_RSRC2:TIDIG_COMP_CNT: 0
	.section	.text._ZN5aiter24add_rmsnorm_quant_kernelItaLi1024ELi8ELb1ELb1ELb0ELi1EEEvPT0_PT_PfS4_S4_S4_diiiiiiib,"axG",@progbits,_ZN5aiter24add_rmsnorm_quant_kernelItaLi1024ELi8ELb1ELb1ELb0ELi1EEEvPT0_PT_PfS4_S4_S4_diiiiiiib,comdat
	.protected	_ZN5aiter24add_rmsnorm_quant_kernelItaLi1024ELi8ELb1ELb1ELb0ELi1EEEvPT0_PT_PfS4_S4_S4_diiiiiiib ; -- Begin function _ZN5aiter24add_rmsnorm_quant_kernelItaLi1024ELi8ELb1ELb1ELb0ELi1EEEvPT0_PT_PfS4_S4_S4_diiiiiiib
	.globl	_ZN5aiter24add_rmsnorm_quant_kernelItaLi1024ELi8ELb1ELb1ELb0ELi1EEEvPT0_PT_PfS4_S4_S4_diiiiiiib
	.p2align	8
	.type	_ZN5aiter24add_rmsnorm_quant_kernelItaLi1024ELi8ELb1ELb1ELb0ELi1EEEvPT0_PT_PfS4_S4_S4_diiiiiiib,@function
_ZN5aiter24add_rmsnorm_quant_kernelItaLi1024ELi8ELb1ELb1ELb0ELi1EEEvPT0_PT_PfS4_S4_S4_diiiiiiib: ; @_ZN5aiter24add_rmsnorm_quant_kernelItaLi1024ELi8ELb1ELb1ELb0ELi1EEEvPT0_PT_PfS4_S4_S4_diiiiiiib
; %bb.0:
	s_load_b256 s[4:11], s[0:1], 0x38
	s_mov_b32 s34, s15
	s_mov_b32 s35, 0
	s_waitcnt lgkmcnt(0)
	s_ashr_i32 s3, s4, 31
	s_mov_b32 s2, s4
	s_delay_alu instid0(SALU_CYCLE_1) | instskip(NEXT) | instid1(VALU_DEP_1)
	v_cmp_ge_i64_e64 s2, s[34:35], s[2:3]
	s_and_b32 vcc_lo, exec_lo, s2
	s_cbranch_vccnz .LBB64_44
; %bb.1:
	s_clause 0x1
	s_load_b256 s[12:19], s[0:1], 0x0
	s_load_b256 s[20:27], s[0:1], 0x20
	s_ashr_i32 s1, s6, 31
	s_mul_hi_u32 s2, s6, s34
	s_mul_i32 s1, s1, s34
	s_mul_i32 s0, s6, s34
	s_add_i32 s1, s2, s1
	s_mul_hi_u32 s3, s7, s34
	s_lshl_b64 s[0:1], s[0:1], 1
	s_mul_i32 s2, s7, s34
	v_lshlrev_b32_e32 v20, 4, v0
	s_mov_b32 s31, -1
	s_waitcnt lgkmcnt(0)
	s_add_u32 s28, s18, s0
	s_addc_u32 s0, s19, s1
	s_add_i32 s6, s5, 1
	s_ashr_i32 s7, s7, 31
	s_lshr_b32 s18, s6, 31
	s_mul_i32 s7, s7, s34
	s_add_i32 s6, s6, s18
	s_and_b32 s29, s0, 0xffff
	s_lshl_b32 s0, s6, 1
	s_add_i32 s3, s3, s7
	s_and_b32 s30, s0, -4
	s_lshl_b64 s[2:3], s[2:3], 1
	s_and_b32 s1, s23, 0xffff
	buffer_load_b128 v[5:8], v20, s[28:31], 0 offen glc slc
	s_add_u32 s28, s20, s2
	s_addc_u32 s0, s21, s3
	s_mov_b32 s3, s31
	s_and_b32 s29, s0, 0xffff
	s_mov_b32 s0, s22
	buffer_load_b128 v[9:12], v20, s[28:31], 0 offen glc slc
	s_mov_b32 s2, s30
	s_waitcnt vmcnt(1)
	v_lshrrev_b32_e32 v15, 16, v7
	v_and_b32_e32 v17, 0xffff, v7
	v_lshrrev_b32_e32 v14, 16, v6
	v_lshrrev_b32_e32 v18, 16, v8
	s_waitcnt vmcnt(0)
	v_and_b32_e32 v7, 0xffff, v9
	v_lshrrev_b32_e32 v16, 16, v9
	s_delay_alu instid0(VALU_DEP_2) | instskip(SKIP_2) | instid1(VALU_DEP_4)
	v_cvt_f32_u32_e32 v19, v7
	v_and_b32_e32 v13, 0xffff, v5
	v_lshrrev_b32_e32 v5, 16, v5
	v_cvt_f32_u32_e32 v9, v16
	v_and_b32_e32 v16, 0xffff, v8
	s_delay_alu instid0(VALU_DEP_4) | instskip(NEXT) | instid1(VALU_DEP_4)
	v_cvt_f32_u32_e32 v8, v13
	v_cvt_f32_u32_e32 v5, v5
	s_delay_alu instid0(VALU_DEP_2) | instskip(NEXT) | instid1(VALU_DEP_2)
	v_dual_add_f32 v8, v8, v19 :: v_dual_and_b32 v13, 0xffff, v10
	v_add_f32_e32 v7, v5, v9
	buffer_load_b128 v[1:4], v20, s[0:3], 0 offen
	v_and_b32_e32 v6, 0xffff, v6
	v_cvt_f32_u32_e32 v9, v13
	v_and_b32_e32 v13, 0xffff, v11
	v_mul_f32_e32 v19, v7, v7
	v_lshrrev_b32_e32 v11, 16, v11
	v_cvt_f32_u32_e32 v5, v6
	v_lshrrev_b32_e32 v6, 16, v10
	v_cvt_f32_u32_e32 v10, v14
	v_fmac_f32_e32 v19, v8, v8
	v_cvt_f32_u32_e32 v13, v13
	v_add_f32_e32 v9, v5, v9
	v_cvt_f32_u32_e32 v6, v6
	v_and_b32_e32 v14, 0xffff, v12
	s_ashr_i32 s0, s8, 31
	s_mul_hi_u32 s1, s8, s34
	s_delay_alu instid0(VALU_DEP_2)
	v_dual_fmac_f32 v19, v9, v9 :: v_dual_add_f32 v10, v10, v6
	v_cvt_f32_u32_e32 v5, v17
	v_cvt_f32_u32_e32 v6, v15
	;; [unrolled: 1-line block ×4, first 2 shown]
	v_fmac_f32_e32 v19, v10, v10
	v_add_f32_e32 v11, v5, v13
	v_cvt_f32_u32_e32 v5, v16
	v_lshrrev_b32_e32 v13, 16, v12
	v_add_f32_e32 v12, v6, v15
	v_cvt_f32_u32_e32 v6, v18
	v_fmac_f32_e32 v19, v11, v11
	s_mul_i32 s2, s0, s34
	v_cvt_f32_u32_e32 v15, v13
	v_add_f32_e32 v13, v5, v14
	s_mul_i32 s0, s8, s34
	v_fmac_f32_e32 v19, v12, v12
	s_add_i32 s1, s1, s2
	v_add_f32_e32 v14, v6, v15
	s_lshl_b64 s[0:1], s[0:1], 1
	v_perm_b32 v18, v12, v11, 0x7060302
	v_fmac_f32_e32 v19, v13, v13
	s_add_u32 s28, s14, s0
	s_addc_u32 s0, s15, s1
	v_perm_b32 v17, v10, v9, 0x7060302
	v_perm_b32 v16, v7, v8, 0x7060302
	v_fmac_f32_e32 v19, v14, v14
	s_and_b32 s29, s0, 0xffff
	s_mov_b32 s1, 0x76543210
	s_delay_alu instid0(VALU_DEP_1) | instskip(NEXT) | instid1(VALU_DEP_1)
	v_mov_b32_dpp v5, v19 quad_perm:[1,0,3,2] row_mask:0xf bank_mask:0xf
	v_add_f32_e32 v5, v19, v5
	v_perm_b32 v19, v14, v13, 0x7060302
	s_delay_alu instid0(VALU_DEP_2) | instskip(SKIP_3) | instid1(VALU_DEP_1)
	v_mov_b32_dpp v6, v5 quad_perm:[2,3,0,1] row_mask:0xf bank_mask:0xf
	buffer_store_b128 v[16:19], v20, s[28:31], 0 offen glc slc
	;;#ASMSTART
	s_nop 0
	;;#ASMEND
	v_dual_add_f32 v6, v5, v6 :: v_dual_and_b32 v5, 31, v0
	v_mov_b32_dpp v15, v6 row_xmask:7 row_mask:0xf bank_mask:0xf
	s_delay_alu instid0(VALU_DEP_2) | instskip(NEXT) | instid1(VALU_DEP_2)
	v_cmp_eq_u32_e64 s0, 31, v5
	v_add_f32_e32 v6, v6, v15
	s_delay_alu instid0(VALU_DEP_1) | instskip(NEXT) | instid1(VALU_DEP_3)
	v_mov_b32_dpp v15, v6 row_xmask:15 row_mask:0xf bank_mask:0xf
	s_and_saveexec_b32 s2, s0
	s_cbranch_execz .LBB64_3
; %bb.2:
	s_delay_alu instid0(VALU_DEP_1) | instskip(SKIP_1) | instid1(VALU_DEP_2)
	v_add_f32_e32 v6, v6, v15
	v_lshrrev_b32_e32 v15, 3, v0
	v_permlanex16_b32 v16, v6, s1, 0xfedcba98 op_sel:[1,1]
	s_delay_alu instid0(VALU_DEP_1)
	v_dual_add_f32 v6, v6, v16 :: v_dual_and_b32 v15, 0x7c, v15
	ds_store_b32 v15, v6 offset:128
.LBB64_3:
	s_or_b32 exec_lo, exec_lo, s2
	v_lshlrev_b32_e32 v6, 2, v5
	s_waitcnt vmcnt(0) lgkmcnt(0)
	s_waitcnt_vscnt null, 0x0
	s_barrier
	buffer_gl0_inv
	v_cvt_f32_i32_e32 v16, s5
	ds_load_b32 v5, v6 offset:128
	s_cmp_lg_u32 s10, 0
	s_waitcnt lgkmcnt(0)
	v_mov_b32_dpp v15, v5 quad_perm:[1,0,3,2] row_mask:0xf bank_mask:0xf
	s_delay_alu instid0(VALU_DEP_1) | instskip(NEXT) | instid1(VALU_DEP_1)
	v_add_f32_e32 v5, v5, v15
	v_mov_b32_dpp v15, v5 quad_perm:[2,3,0,1] row_mask:0xf bank_mask:0xf
	s_delay_alu instid0(VALU_DEP_1) | instskip(NEXT) | instid1(VALU_DEP_1)
	v_add_f32_e32 v5, v5, v15
	v_mov_b32_dpp v15, v5 row_xmask:7 row_mask:0xf bank_mask:0xf
	s_delay_alu instid0(VALU_DEP_1) | instskip(NEXT) | instid1(VALU_DEP_1)
	v_add_f32_e32 v5, v5, v15
	v_mov_b32_dpp v15, v5 row_xmask:15 row_mask:0xf bank_mask:0xf
	s_delay_alu instid0(VALU_DEP_1) | instskip(NEXT) | instid1(VALU_DEP_1)
	v_add_f32_e32 v5, v5, v15
	v_permlanex16_b32 v15, v5, s1, 0xfedcba98 op_sel:[1,1]
	s_delay_alu instid0(VALU_DEP_1) | instskip(NEXT) | instid1(VALU_DEP_1)
	v_add_f32_e32 v5, v5, v15
	v_div_scale_f32 v15, null, v16, v16, v5
	v_div_scale_f32 v19, vcc_lo, v5, v16, v5
	s_delay_alu instid0(VALU_DEP_2) | instskip(SKIP_2) | instid1(VALU_DEP_1)
	v_rcp_f32_e32 v17, v15
	s_waitcnt_depctr 0xfff
	v_fma_f32 v18, -v15, v17, 1.0
	v_fmac_f32_e32 v17, v18, v17
	s_delay_alu instid0(VALU_DEP_1) | instskip(NEXT) | instid1(VALU_DEP_1)
	v_mul_f32_e32 v18, v19, v17
	v_fma_f32 v20, -v15, v18, v19
	s_delay_alu instid0(VALU_DEP_1) | instskip(SKIP_1) | instid1(VALU_DEP_2)
	v_fmac_f32_e32 v18, v20, v17
	v_mov_b32_e32 v20, 0x2edbe6ff
	v_fma_f32 v15, -v15, v18, v19
	s_delay_alu instid0(VALU_DEP_1)
	v_div_fmas_f32 v15, v15, v17, v18
	v_and_b32_e32 v18, 0xffff, v3
	v_and_b32_e32 v17, 0xffff, v2
	v_lshrrev_b32_e32 v2, 16, v2
	v_lshrrev_b32_e32 v3, 16, v3
	v_div_fixup_f32 v5, v15, v16, v5
	v_cvt_f32_u32_e32 v18, v18
	s_delay_alu instid0(VALU_DEP_4) | instskip(NEXT) | instid1(VALU_DEP_4)
	v_cvt_f32_u32_e32 v2, v2
	v_cvt_f32_u32_e32 v3, v3
	s_delay_alu instid0(VALU_DEP_4) | instskip(NEXT) | instid1(VALU_DEP_1)
	v_cvt_f64_f32_e32 v[15:16], v5
	v_add_f64 v[15:16], v[15:16], s[24:25]
	s_delay_alu instid0(VALU_DEP_1) | instskip(SKIP_2) | instid1(VALU_DEP_2)
	v_cvt_f32_f64_e32 v5, v[15:16]
	v_and_b32_e32 v16, 0xffff, v1
	v_lshrrev_b32_e32 v1, 16, v1
	v_cvt_f32_u32_e32 v16, v16
	s_delay_alu instid0(VALU_DEP_2) | instskip(SKIP_2) | instid1(VALU_DEP_2)
	v_cvt_f32_u32_e32 v1, v1
	v_mul_f32_e32 v15, 0x4b800000, v5
	v_cmp_gt_f32_e32 vcc_lo, 0x800000, v5
	v_cndmask_b32_e32 v15, v5, v15, vcc_lo
	s_delay_alu instid0(VALU_DEP_1) | instskip(SKIP_2) | instid1(VALU_DEP_1)
	v_rsq_f32_e32 v15, v15
	s_waitcnt_depctr 0xfff
	v_mul_f32_e32 v21, 0x45800000, v15
	v_cndmask_b32_e32 v15, v15, v21, vcc_lo
	s_delay_alu instid0(VALU_DEP_1) | instskip(SKIP_2) | instid1(VALU_DEP_3)
	v_dual_mul_f32 v8, v8, v15 :: v_dual_lshlrev_b32 v5, 3, v0
	v_mul_f32_e32 v22, v15, v12
	v_cvt_f32_u32_e32 v17, v17
	v_mul_f32_e32 v12, v8, v16
	s_delay_alu instid0(VALU_DEP_3) | instskip(SKIP_3) | instid1(VALU_DEP_4)
	v_dual_mul_f32 v8, v22, v3 :: v_dual_and_b32 v19, 0xffff, v4
	v_mul_f32_e32 v10, v15, v10
	v_lshrrev_b32_e32 v4, 16, v4
	v_mul_f32_e32 v14, v15, v14
	v_dual_mul_f32 v13, v15, v13 :: v_dual_and_b32 v16, 0x7fffffff, v8
	s_delay_alu instid0(VALU_DEP_4) | instskip(NEXT) | instid1(VALU_DEP_4)
	v_mul_f32_e32 v10, v10, v2
	v_cvt_f32_u32_e32 v4, v4
	v_mul_f32_e32 v7, v7, v15
	v_mul_f32_e32 v21, v15, v11
	v_cvt_f32_u32_e32 v19, v19
	s_delay_alu instid0(VALU_DEP_4) | instskip(NEXT) | instid1(VALU_DEP_4)
	v_mul_f32_e32 v4, v14, v4
	v_dual_mul_f32 v11, v7, v1 :: v_dual_and_b32 v14, 0x7fffffff, v10
	s_delay_alu instid0(VALU_DEP_4) | instskip(NEXT) | instid1(VALU_DEP_3)
	v_mul_f32_e32 v7, v21, v18
	v_dual_mul_f32 v3, v13, v19 :: v_dual_and_b32 v18, 0x7fffffff, v4
	s_delay_alu instid0(VALU_DEP_3) | instskip(SKIP_3) | instid1(VALU_DEP_3)
	v_dual_mul_f32 v9, v15, v9 :: v_dual_and_b32 v2, 0x7fffffff, v11
	v_and_b32_e32 v1, 0x7fffffff, v12
	;;#ASMSTART
	v_max3_f32 v1, v20, v1, v2

	;;#ASMEND
	v_and_b32_e32 v15, 0x7fffffff, v7
	v_mul_f32_e32 v9, v9, v17
	v_and_b32_e32 v17, 0x7fffffff, v3
	s_delay_alu instid0(VALU_DEP_2)
	v_and_b32_e32 v13, 0x7fffffff, v9
	;;#ASMSTART
	v_max3_f32 v1, v1, v13, v14

	;;#ASMEND
	;;#ASMSTART
	v_max3_f32 v1, v1, v15, v16

	;;#ASMEND
	;; [unrolled: 4-line block ×3, first 2 shown]
	s_cbranch_scc0 .LBB64_10
; %bb.4:
	s_ashr_i32 s7, s10, 31
	s_delay_alu instid0(SALU_CYCLE_1) | instskip(NEXT) | instid1(SALU_CYCLE_1)
	s_lshr_b32 s1, s7, 29
	s_add_i32 s1, s10, s1
	s_delay_alu instid0(SALU_CYCLE_1) | instskip(NEXT) | instid1(SALU_CYCLE_1)
	s_ashr_i32 s1, s1, 3
	s_cmp_lt_i32 s1, 8
	s_cbranch_scc1 .LBB64_11
; %bb.5:
	s_cmp_lt_i32 s1, 16
	s_cbranch_scc1 .LBB64_12
; %bb.6:
	;; [unrolled: 3-line block ×3, first 2 shown]
	v_mov_b32_e32 v1, v13
	s_cmp_eq_u32 s1, 32
	s_cbranch_scc0 .LBB64_9
; %bb.8:
	s_delay_alu instid0(VALU_DEP_1) | instskip(SKIP_1) | instid1(VALU_DEP_1)
	v_mov_b32_dpp v1, v13 quad_perm:[1,0,3,2] row_mask:0xf bank_mask:0xf
	s_mov_b32 s2, 0x76543210
	v_cmp_gt_f32_e32 vcc_lo, v13, v1
	v_cndmask_b32_e32 v1, v1, v13, vcc_lo
	s_delay_alu instid0(VALU_DEP_1) | instskip(NEXT) | instid1(VALU_DEP_1)
	v_mov_b32_dpp v2, v1 quad_perm:[2,3,0,1] row_mask:0xf bank_mask:0xf
	v_cmp_gt_f32_e32 vcc_lo, v1, v2
	v_cndmask_b32_e32 v1, v2, v1, vcc_lo
	s_delay_alu instid0(VALU_DEP_1) | instskip(NEXT) | instid1(VALU_DEP_1)
	v_mov_b32_dpp v2, v1 row_xmask:7 row_mask:0xf bank_mask:0xf
	v_cmp_gt_f32_e32 vcc_lo, v1, v2
	v_cndmask_b32_e32 v1, v2, v1, vcc_lo
	s_delay_alu instid0(VALU_DEP_1) | instskip(NEXT) | instid1(VALU_DEP_1)
	v_mov_b32_dpp v2, v1 row_xmask:15 row_mask:0xf bank_mask:0xf
	v_cmp_gt_f32_e32 vcc_lo, v1, v2
	v_cndmask_b32_e32 v1, v2, v1, vcc_lo
	s_delay_alu instid0(VALU_DEP_1) | instskip(NEXT) | instid1(VALU_DEP_1)
	v_permlanex16_b32 v2, v1, s2, 0xfedcba98 op_sel:[1,1]
	v_cmp_gt_f32_e32 vcc_lo, v1, v2
	v_cndmask_b32_e32 v1, v2, v1, vcc_lo
.LBB64_9:
	s_mov_b32 s2, 0
	s_branch .LBB64_14
.LBB64_10:
	s_mov_b32 s1, 0
                                        ; implicit-def: $vgpr14
                                        ; implicit-def: $vgpr1_vgpr2
	s_and_b32 vcc_lo, exec_lo, s31
	s_cbranch_vccnz .LBB64_38
	s_branch .LBB64_41
.LBB64_11:
                                        ; implicit-def: $vgpr1
	s_branch .LBB64_21
.LBB64_12:
                                        ; implicit-def: $vgpr1
	s_branch .LBB64_18
.LBB64_13:
	s_mov_b32 s2, -1
                                        ; implicit-def: $vgpr1
.LBB64_14:
	s_delay_alu instid0(SALU_CYCLE_1)
	s_and_not1_b32 vcc_lo, exec_lo, s2
	s_cbranch_vccnz .LBB64_17
; %bb.15:
	v_mov_b32_e32 v1, v13
	s_cmp_eq_u32 s1, 16
	s_cbranch_scc0 .LBB64_17
; %bb.16:
	s_delay_alu instid0(VALU_DEP_1) | instskip(NEXT) | instid1(VALU_DEP_1)
	v_mov_b32_dpp v1, v13 quad_perm:[1,0,3,2] row_mask:0xf bank_mask:0xf
	v_cmp_gt_f32_e32 vcc_lo, v13, v1
	v_cndmask_b32_e32 v1, v1, v13, vcc_lo
	s_delay_alu instid0(VALU_DEP_1) | instskip(NEXT) | instid1(VALU_DEP_1)
	v_mov_b32_dpp v2, v1 quad_perm:[2,3,0,1] row_mask:0xf bank_mask:0xf
	v_cmp_gt_f32_e32 vcc_lo, v1, v2
	v_cndmask_b32_e32 v1, v2, v1, vcc_lo
	s_delay_alu instid0(VALU_DEP_1) | instskip(NEXT) | instid1(VALU_DEP_1)
	v_mov_b32_dpp v2, v1 row_half_mirror row_mask:0xf bank_mask:0xf
	v_cmp_gt_f32_e32 vcc_lo, v1, v2
	v_cndmask_b32_e32 v1, v2, v1, vcc_lo
	s_delay_alu instid0(VALU_DEP_1) | instskip(NEXT) | instid1(VALU_DEP_1)
	v_mov_b32_dpp v2, v1 row_mirror row_mask:0xf bank_mask:0xf
	v_cmp_gt_f32_e32 vcc_lo, v1, v2
	v_cndmask_b32_e32 v1, v2, v1, vcc_lo
.LBB64_17:
	s_cbranch_execnz .LBB64_20
.LBB64_18:
	v_mov_b32_e32 v1, v13
	s_cmp_eq_u32 s1, 8
	s_cbranch_scc0 .LBB64_20
; %bb.19:
	s_delay_alu instid0(VALU_DEP_1) | instskip(NEXT) | instid1(VALU_DEP_1)
	v_mov_b32_dpp v1, v13 quad_perm:[1,0,3,2] row_mask:0xf bank_mask:0xf
	v_cmp_gt_f32_e32 vcc_lo, v13, v1
	v_cndmask_b32_e32 v1, v1, v13, vcc_lo
	s_delay_alu instid0(VALU_DEP_1) | instskip(NEXT) | instid1(VALU_DEP_1)
	v_mov_b32_dpp v2, v1 quad_perm:[2,3,0,1] row_mask:0xf bank_mask:0xf
	v_cmp_gt_f32_e32 vcc_lo, v1, v2
	v_cndmask_b32_e32 v1, v2, v1, vcc_lo
	s_delay_alu instid0(VALU_DEP_1) | instskip(NEXT) | instid1(VALU_DEP_1)
	v_mov_b32_dpp v2, v1 row_half_mirror row_mask:0xf bank_mask:0xf
	v_cmp_gt_f32_e32 vcc_lo, v1, v2
	v_cndmask_b32_e32 v1, v2, v1, vcc_lo
.LBB64_20:
	s_cbranch_execnz .LBB64_28
.LBB64_21:
	s_cmp_lt_i32 s1, 4
	s_cbranch_scc1 .LBB64_24
; %bb.22:
	v_mov_b32_e32 v1, v13
	s_cmp_eq_u32 s1, 4
	s_cbranch_scc0 .LBB64_25
; %bb.23:
	s_delay_alu instid0(VALU_DEP_1) | instskip(NEXT) | instid1(VALU_DEP_1)
	v_mov_b32_dpp v1, v13 quad_perm:[1,0,3,2] row_mask:0xf bank_mask:0xf
	v_cmp_gt_f32_e32 vcc_lo, v13, v1
	v_cndmask_b32_e32 v1, v1, v13, vcc_lo
	s_delay_alu instid0(VALU_DEP_1) | instskip(NEXT) | instid1(VALU_DEP_1)
	v_mov_b32_dpp v2, v1 quad_perm:[2,3,0,1] row_mask:0xf bank_mask:0xf
	v_cmp_gt_f32_e32 vcc_lo, v1, v2
	v_cndmask_b32_e32 v1, v2, v1, vcc_lo
	s_cbranch_execz .LBB64_26
	s_branch .LBB64_28
.LBB64_24:
                                        ; implicit-def: $vgpr1
	s_branch .LBB64_26
.LBB64_25:
	s_cbranch_execnz .LBB64_28
.LBB64_26:
	v_mov_b32_e32 v1, v13
	s_cmp_lg_u32 s1, 2
	s_cbranch_scc1 .LBB64_28
; %bb.27:
	s_delay_alu instid0(VALU_DEP_1) | instskip(NEXT) | instid1(VALU_DEP_1)
	v_mov_b32_dpp v1, v13 quad_perm:[1,0,3,2] row_mask:0xf bank_mask:0xf
	v_cmp_gt_f32_e32 vcc_lo, v13, v1
	v_cndmask_b32_e32 v1, v1, v13, vcc_lo
.LBB64_28:
	v_cvt_f32_u32_e32 v2, s1
	s_sub_i32 s2, 0, s1
	s_mov_b32 s31, 0
	s_delay_alu instid0(VALU_DEP_1) | instskip(SKIP_2) | instid1(VALU_DEP_1)
	v_rcp_iflag_f32_e32 v2, v2
	s_waitcnt_depctr 0xfff
	v_mul_f32_e32 v2, 0x4f7ffffe, v2
	v_cvt_u32_f32_e32 v2, v2
	s_delay_alu instid0(VALU_DEP_1) | instskip(NEXT) | instid1(VALU_DEP_1)
	v_mul_lo_u32 v14, s2, v2
	v_mul_hi_u32 v14, v2, v14
	s_delay_alu instid0(VALU_DEP_1) | instskip(NEXT) | instid1(VALU_DEP_1)
	v_add_nc_u32_e32 v2, v2, v14
	v_mul_hi_u32 v2, v0, v2
	s_delay_alu instid0(VALU_DEP_1) | instskip(NEXT) | instid1(VALU_DEP_1)
	v_mul_lo_u32 v14, v2, s1
	v_sub_nc_u32_e32 v14, v0, v14
	s_delay_alu instid0(VALU_DEP_1) | instskip(SKIP_1) | instid1(VALU_DEP_2)
	v_subrev_nc_u32_e32 v16, s1, v14
	v_cmp_le_u32_e32 vcc_lo, s1, v14
	v_dual_cndmask_b32 v14, v14, v16 :: v_dual_add_nc_u32 v15, 1, v2
	s_delay_alu instid0(VALU_DEP_1) | instskip(NEXT) | instid1(VALU_DEP_2)
	v_cndmask_b32_e32 v2, v2, v15, vcc_lo
	v_cmp_le_u32_e32 vcc_lo, s1, v14
	s_delay_alu instid0(VALU_DEP_2) | instskip(NEXT) | instid1(VALU_DEP_1)
	v_dual_mul_f32 v14, 0x3c010204, v1 :: v_dual_add_nc_u32 v15, 1, v2
	v_cndmask_b32_e32 v15, v2, v15, vcc_lo
	v_cmp_gt_u32_e32 vcc_lo, s5, v5
	s_delay_alu instid0(VALU_DEP_2) | instskip(NEXT) | instid1(VALU_DEP_1)
	v_mul_lo_u32 v2, v15, s1
	v_sub_nc_u32_e32 v2, v0, v2
	s_delay_alu instid0(VALU_DEP_1) | instskip(NEXT) | instid1(VALU_DEP_1)
	v_cmp_eq_u32_e64 s1, 0, v2
                                        ; implicit-def: $vgpr1_vgpr2
	s_and_b32 s2, s1, vcc_lo
	s_mov_b32 s1, 0
	s_and_saveexec_b32 s3, s2
	s_delay_alu instid0(SALU_CYCLE_1)
	s_xor_b32 s8, exec_lo, s3
	s_cbranch_execz .LBB64_37
; %bb.29:
	s_bitcmp0_b32 s11, 0
	s_mov_b32 s6, 0
	s_cbranch_scc0 .LBB64_34
; %bb.30:
	s_ashr_i32 s1, s5, 31
	s_mul_hi_u32 s3, s5, s34
	s_mul_i32 s1, s1, s34
	s_mul_i32 s2, s5, s34
	s_add_i32 s3, s3, s1
	s_mov_b32 s11, s7
	s_delay_alu instid0(SALU_CYCLE_1) | instskip(NEXT) | instid1(SALU_CYCLE_1)
	s_or_b64 s[14:15], s[2:3], s[10:11]
	s_mov_b32 s7, s15
	s_delay_alu instid0(SALU_CYCLE_1)
	s_cmp_lg_u64 s[6:7], 0
	s_cbranch_scc0 .LBB64_45
; %bb.31:
	s_add_u32 s14, s10, s11
	s_mov_b32 s6, s11
	s_mov_b32 s7, s11
	s_addc_u32 s15, s11, s11
	s_delay_alu instid0(SALU_CYCLE_1) | instskip(NEXT) | instid1(SALU_CYCLE_1)
	s_xor_b64 s[14:15], s[14:15], s[6:7]
	v_cvt_f32_u32_e32 v1, s14
	v_cvt_f32_u32_e32 v2, s15
	s_sub_u32 s18, 0, s14
	s_subb_u32 s19, 0, s15
	s_delay_alu instid0(VALU_DEP_1) | instskip(NEXT) | instid1(VALU_DEP_1)
	v_fmamk_f32 v1, v2, 0x4f800000, v1
	v_rcp_f32_e32 v1, v1
	s_waitcnt_depctr 0xfff
	v_mul_f32_e32 v1, 0x5f7ffffc, v1
	s_delay_alu instid0(VALU_DEP_1) | instskip(NEXT) | instid1(VALU_DEP_1)
	v_mul_f32_e32 v2, 0x2f800000, v1
	v_trunc_f32_e32 v2, v2
	s_delay_alu instid0(VALU_DEP_1) | instskip(SKIP_1) | instid1(VALU_DEP_2)
	v_fmamk_f32 v1, v2, 0xcf800000, v1
	v_cvt_u32_f32_e32 v2, v2
	v_cvt_u32_f32_e32 v1, v1
	s_delay_alu instid0(VALU_DEP_2) | instskip(NEXT) | instid1(VALU_DEP_2)
	v_readfirstlane_b32 s1, v2
	v_readfirstlane_b32 s11, v1
	s_delay_alu instid0(VALU_DEP_2) | instskip(NEXT) | instid1(VALU_DEP_1)
	s_mul_i32 s20, s18, s1
	s_mul_hi_u32 s22, s18, s11
	s_mul_i32 s21, s19, s11
	s_add_i32 s20, s22, s20
	s_mul_i32 s23, s18, s11
	s_add_i32 s20, s20, s21
	s_mul_hi_u32 s22, s11, s23
	s_mul_hi_u32 s24, s1, s23
	s_mul_i32 s21, s1, s23
	s_mul_hi_u32 s23, s11, s20
	s_mul_i32 s11, s11, s20
	s_mul_hi_u32 s25, s1, s20
	s_add_u32 s11, s22, s11
	s_addc_u32 s22, 0, s23
	s_add_u32 s11, s11, s21
	s_mul_i32 s20, s1, s20
	s_addc_u32 s11, s22, s24
	s_addc_u32 s21, s25, 0
	s_add_u32 s11, s11, s20
	s_addc_u32 s20, 0, s21
	v_add_co_u32 v1, s11, v1, s11
	s_delay_alu instid0(VALU_DEP_1) | instskip(SKIP_1) | instid1(VALU_DEP_1)
	s_cmp_lg_u32 s11, 0
	s_addc_u32 s1, s1, s20
	v_readfirstlane_b32 s11, v1
	s_mul_i32 s20, s18, s1
	s_delay_alu instid0(VALU_DEP_1)
	s_mul_hi_u32 s21, s18, s11
	s_mul_i32 s19, s19, s11
	s_add_i32 s20, s21, s20
	s_mul_i32 s18, s18, s11
	s_add_i32 s20, s20, s19
	s_mul_hi_u32 s21, s1, s18
	s_mul_i32 s22, s1, s18
	s_mul_hi_u32 s18, s11, s18
	s_mul_hi_u32 s23, s11, s20
	s_mul_i32 s11, s11, s20
	s_mul_hi_u32 s19, s1, s20
	s_add_u32 s11, s18, s11
	s_addc_u32 s18, 0, s23
	s_add_u32 s11, s11, s22
	s_mul_i32 s20, s1, s20
	s_addc_u32 s11, s18, s21
	s_addc_u32 s18, s19, 0
	s_add_u32 s11, s11, s20
	s_addc_u32 s18, 0, s18
	v_add_co_u32 v1, s11, v1, s11
	s_delay_alu instid0(VALU_DEP_1) | instskip(SKIP_2) | instid1(SALU_CYCLE_1)
	s_cmp_lg_u32 s11, 0
	s_addc_u32 s1, s1, s18
	s_ashr_i32 s18, s3, 31
	s_add_u32 s20, s2, s18
	s_addc_u32 s21, s3, s18
	v_readfirstlane_b32 s3, v1
	s_mov_b32 s19, s18
	s_delay_alu instid0(SALU_CYCLE_1) | instskip(NEXT) | instid1(SALU_CYCLE_1)
	s_xor_b64 s[20:21], s[20:21], s[18:19]
	s_mul_i32 s22, s20, s1
	s_delay_alu instid0(VALU_DEP_1)
	s_mul_hi_u32 s23, s20, s3
	s_mul_hi_u32 s11, s20, s1
	;; [unrolled: 1-line block ×3, first 2 shown]
	s_mul_i32 s3, s21, s3
	s_add_u32 s22, s23, s22
	s_addc_u32 s11, 0, s11
	s_mul_hi_u32 s24, s21, s1
	s_add_u32 s3, s22, s3
	s_mul_i32 s1, s21, s1
	s_addc_u32 s3, s11, s25
	s_addc_u32 s11, s24, 0
	s_add_u32 s3, s3, s1
	s_addc_u32 s11, 0, s11
	s_mul_i32 s24, s14, s3
	s_mul_hi_u32 s1, s14, s3
	s_mul_i32 s23, s14, s11
	v_sub_co_u32 v1, s20, s20, s24
	s_mul_i32 s22, s15, s3
	s_add_i32 s1, s1, s23
	s_delay_alu instid0(SALU_CYCLE_1) | instskip(NEXT) | instid1(VALU_DEP_1)
	s_add_i32 s1, s1, s22
	v_sub_co_u32 v2, s23, v1, s14
	s_sub_i32 s22, s21, s1
	s_cmp_lg_u32 s20, 0
	s_subb_u32 s22, s22, s15
	s_cmp_lg_u32 s23, 0
	v_cmp_le_u32_e32 vcc_lo, s14, v2
	s_subb_u32 s22, s22, 0
	s_delay_alu instid0(SALU_CYCLE_1)
	s_cmp_ge_u32 s22, s15
	v_cndmask_b32_e64 v2, 0, -1, vcc_lo
	s_cselect_b32 s23, -1, 0
	s_cmp_eq_u32 s22, s15
	s_cselect_b32 vcc_lo, -1, 0
	s_add_u32 s22, s3, 1
	v_cndmask_b32_e32 v2, s23, v2, vcc_lo
	s_addc_u32 s23, s11, 0
	s_add_u32 s24, s3, 2
	s_addc_u32 s25, s11, 0
	s_cmp_lg_u32 s20, 0
	v_cmp_le_u32_e32 vcc_lo, s14, v1
	s_subb_u32 s1, s21, s1
	v_mov_b32_e32 v16, s24
	s_cmp_ge_u32 s1, s15
	v_cndmask_b32_e64 v1, 0, -1, vcc_lo
	s_cselect_b32 s14, -1, 0
	s_cmp_eq_u32 s1, s15
	v_cmp_ne_u32_e32 vcc_lo, 0, v2
	v_mov_b32_e32 v2, s25
	s_cselect_b32 s1, -1, 0
	s_xor_b64 s[6:7], s[18:19], s[6:7]
	v_cndmask_b32_e64 v1, s14, v1, s1
	v_cndmask_b32_e32 v16, s22, v16, vcc_lo
	v_cndmask_b32_e32 v2, s23, v2, vcc_lo
	s_delay_alu instid0(VALU_DEP_3) | instskip(NEXT) | instid1(VALU_DEP_2)
	v_cmp_ne_u32_e32 vcc_lo, 0, v1
	v_cndmask_b32_e32 v1, s11, v2, vcc_lo
	s_delay_alu instid0(VALU_DEP_4) | instskip(NEXT) | instid1(VALU_DEP_2)
	v_cndmask_b32_e32 v2, s3, v16, vcc_lo
	v_xor_b32_e32 v16, s7, v1
	s_delay_alu instid0(VALU_DEP_2) | instskip(NEXT) | instid1(VALU_DEP_1)
	v_xor_b32_e32 v2, s6, v2
	v_sub_co_u32 v1, vcc_lo, v2, s6
	s_delay_alu instid0(VALU_DEP_3)
	v_subrev_co_ci_u32_e32 v2, vcc_lo, s7, v16, vcc_lo
	s_cbranch_execnz .LBB64_33
.LBB64_32:
	v_cvt_f32_u32_e32 v1, s10
	s_sub_i32 s3, 0, s10
	s_delay_alu instid0(VALU_DEP_1) | instskip(SKIP_2) | instid1(VALU_DEP_1)
	v_rcp_iflag_f32_e32 v1, v1
	s_waitcnt_depctr 0xfff
	v_mul_f32_e32 v1, 0x4f7ffffe, v1
	v_cvt_u32_f32_e32 v1, v1
	s_delay_alu instid0(VALU_DEP_1) | instskip(NEXT) | instid1(VALU_DEP_1)
	v_readfirstlane_b32 s1, v1
	s_mul_i32 s3, s3, s1
	s_delay_alu instid0(SALU_CYCLE_1) | instskip(NEXT) | instid1(SALU_CYCLE_1)
	s_mul_hi_u32 s3, s1, s3
	s_add_i32 s1, s1, s3
	s_delay_alu instid0(SALU_CYCLE_1) | instskip(NEXT) | instid1(SALU_CYCLE_1)
	s_mul_hi_u32 s1, s2, s1
	s_mul_i32 s3, s1, s10
	s_delay_alu instid0(SALU_CYCLE_1)
	s_sub_i32 s2, s2, s3
	s_add_i32 s3, s1, 1
	s_sub_i32 s6, s2, s10
	s_cmp_ge_u32 s2, s10
	s_cselect_b32 s1, s3, s1
	s_cselect_b32 s2, s6, s2
	s_add_i32 s6, s1, 1
	s_cmp_ge_u32 s2, s10
	s_mov_b32 s3, 0
	s_cselect_b32 s2, s6, s1
	s_delay_alu instid0(SALU_CYCLE_1)
	v_dual_mov_b32 v1, s2 :: v_dual_mov_b32 v2, s3
.LBB64_33:
	s_delay_alu instid0(VALU_DEP_1) | instskip(NEXT) | instid1(VALU_DEP_2)
	v_add_co_u32 v1, vcc_lo, v1, v15
	v_add_co_ci_u32_e32 v2, vcc_lo, 0, v2, vcc_lo
	s_branch .LBB64_36
.LBB64_34:
                                        ; implicit-def: $vgpr1_vgpr2
	s_cbranch_execz .LBB64_36
; %bb.35:
	v_mul_lo_u32 v1, v15, s4
	s_delay_alu instid0(VALU_DEP_1) | instskip(SKIP_1) | instid1(VALU_DEP_2)
	v_ashrrev_i32_e32 v2, 31, v1
	v_add_co_u32 v1, vcc_lo, v1, s34
	v_add_co_ci_u32_e32 v2, vcc_lo, 0, v2, vcc_lo
.LBB64_36:
	s_mov_b32 s1, exec_lo
.LBB64_37:
	s_or_b32 exec_lo, exec_lo, s8
	s_delay_alu instid0(SALU_CYCLE_1)
	s_and_b32 vcc_lo, exec_lo, s31
	s_cbranch_vccz .LBB64_41
.LBB64_38:
	v_mov_b32_dpp v1, v13 quad_perm:[1,0,3,2] row_mask:0xf bank_mask:0xf
	s_mov_b32 s1, 0x76543210
	s_delay_alu instid0(VALU_DEP_1) | instskip(SKIP_1) | instid1(VALU_DEP_1)
	v_cmp_gt_f32_e32 vcc_lo, v13, v1
	v_cndmask_b32_e32 v1, v1, v13, vcc_lo
	v_mov_b32_dpp v2, v1 quad_perm:[2,3,0,1] row_mask:0xf bank_mask:0xf
	s_delay_alu instid0(VALU_DEP_1) | instskip(SKIP_1) | instid1(VALU_DEP_1)
	v_cmp_gt_f32_e32 vcc_lo, v1, v2
	v_cndmask_b32_e32 v1, v2, v1, vcc_lo
	v_mov_b32_dpp v2, v1 row_xmask:7 row_mask:0xf bank_mask:0xf
	s_delay_alu instid0(VALU_DEP_1) | instskip(SKIP_1) | instid1(VALU_DEP_1)
	v_cmp_gt_f32_e32 vcc_lo, v1, v2
	v_cndmask_b32_e32 v1, v2, v1, vcc_lo
	v_mov_b32_dpp v2, v1 row_xmask:15 row_mask:0xf bank_mask:0xf
	s_delay_alu instid0(VALU_DEP_1)
	v_cmp_gt_f32_e32 vcc_lo, v1, v2
	s_and_saveexec_b32 s2, s0
	s_cbranch_execz .LBB64_40
; %bb.39:
	v_cndmask_b32_e32 v1, v2, v1, vcc_lo
	v_lshrrev_b32_e32 v2, 3, v0
	s_delay_alu instid0(VALU_DEP_1) | instskip(NEXT) | instid1(VALU_DEP_3)
	v_and_b32_e32 v2, 0x7c, v2
	v_permlanex16_b32 v13, v1, s1, 0xfedcba98 op_sel:[1,1]
	s_delay_alu instid0(VALU_DEP_1)
	v_cmp_gt_f32_e32 vcc_lo, v1, v13
	v_cndmask_b32_e32 v1, v13, v1, vcc_lo
	ds_store_b32 v2, v1
.LBB64_40:
	s_or_b32 exec_lo, exec_lo, s2
	s_waitcnt lgkmcnt(0)
	s_barrier
	buffer_gl0_inv
	ds_load_b32 v1, v6
	s_waitcnt lgkmcnt(0)
	v_mov_b32_dpp v2, v1 quad_perm:[1,0,3,2] row_mask:0xf bank_mask:0xf
	s_delay_alu instid0(VALU_DEP_1) | instskip(SKIP_1) | instid1(VALU_DEP_1)
	v_cmp_gt_f32_e32 vcc_lo, v1, v2
	v_cndmask_b32_e32 v1, v2, v1, vcc_lo
	v_mov_b32_dpp v2, v1 quad_perm:[2,3,0,1] row_mask:0xf bank_mask:0xf
	s_delay_alu instid0(VALU_DEP_1) | instskip(SKIP_1) | instid1(VALU_DEP_1)
	v_cmp_gt_f32_e32 vcc_lo, v1, v2
	v_cndmask_b32_e32 v1, v2, v1, vcc_lo
	v_mov_b32_dpp v2, v1 row_xmask:7 row_mask:0xf bank_mask:0xf
	s_delay_alu instid0(VALU_DEP_1) | instskip(SKIP_1) | instid1(VALU_DEP_1)
	v_cmp_gt_f32_e32 vcc_lo, v1, v2
	v_cndmask_b32_e32 v1, v2, v1, vcc_lo
	v_mov_b32_dpp v2, v1 row_xmask:15 row_mask:0xf bank_mask:0xf
	s_delay_alu instid0(VALU_DEP_1) | instskip(SKIP_1) | instid1(VALU_DEP_1)
	v_cmp_gt_f32_e32 vcc_lo, v1, v2
	v_cndmask_b32_e32 v1, v2, v1, vcc_lo
	v_permlanex16_b32 v2, v1, s1, 0xfedcba98 op_sel:[1,1]
	v_cmp_eq_u32_e64 s1, 0, v0
	s_delay_alu instid0(VALU_DEP_2) | instskip(SKIP_1) | instid1(VALU_DEP_1)
	v_cmp_gt_f32_e32 vcc_lo, v1, v2
	v_cndmask_b32_e32 v1, v2, v1, vcc_lo
	v_dual_mul_f32 v14, 0x3c010204, v1 :: v_dual_mov_b32 v1, s34
	v_mov_b32_e32 v2, s35
.LBB64_41:
	s_and_saveexec_b32 s0, s1
	s_cbranch_execz .LBB64_43
; %bb.42:
	s_delay_alu instid0(VALU_DEP_1) | instskip(NEXT) | instid1(VALU_DEP_1)
	v_lshlrev_b64 v[0:1], 2, v[1:2]
	v_add_co_u32 v0, vcc_lo, s16, v0
	s_delay_alu instid0(VALU_DEP_2)
	v_add_co_ci_u32_e32 v1, vcc_lo, s17, v1, vcc_lo
	global_store_b32 v[0:1], v14, off
.LBB64_43:
	s_or_b32 exec_lo, exec_lo, s0
	;;#ASMSTART
	v_rcp_f32 v0, v14
	;;#ASMEND
	v_mul_f32_e32 v7, v7, v0
	v_mul_f32_e32 v1, v12, v0
	;; [unrolled: 1-line block ×4, first 2 shown]
	s_add_i32 s0, s5, 3
	v_cvt_i32_f32_e32 v7, v7
	v_mul_f32_e32 v2, v11, v0
	v_cvt_i32_f32_e32 v1, v1
	v_mul_f32_e32 v6, v9, v0
	v_cvt_i32_f32_e32 v4, v4
	v_and_b32_e32 v7, 0xff, v7
	v_cvt_i32_f32_e32 v2, v2
	v_and_b32_e32 v1, 0xff, v1
	s_ashr_i32 s1, s0, 31
	v_lshlrev_b16 v4, 8, v4
	s_lshr_b32 s1, s1, 30
	v_lshlrev_b16 v2, 8, v2
	s_add_i32 s0, s0, s1
	s_ashr_i32 s1, s9, 31
	s_and_b32 s2, s0, -4
	s_mul_hi_u32 s0, s9, s34
	v_or_b32_e32 v1, v1, v2
	v_mul_f32_e32 v9, v10, v0
	v_mul_f32_e32 v0, v3, v0
	v_cvt_i32_f32_e32 v3, v6
	s_mul_i32 s1, s1, s34
	s_mul_i32 s3, s9, s34
	s_add_i32 s1, s0, s1
	v_cvt_i32_f32_e32 v0, v0
	v_and_b32_e32 v3, 0xff, v3
	v_cvt_i32_f32_e32 v6, v8
	s_add_u32 s0, s12, s3
	s_addc_u32 s1, s13, s1
	v_and_b32_e32 v0, 0xff, v0
	s_and_b32 s1, s1, 0xffff
	v_lshlrev_b16 v6, 8, v6
	s_mov_b32 s3, -1
	s_delay_alu instid0(VALU_DEP_2) | instskip(SKIP_3) | instid1(VALU_DEP_4)
	v_or_b32_e32 v0, v0, v4
	v_and_b32_e32 v4, 0xffff, v1
	v_cvt_i32_f32_e32 v8, v9
	v_or_b32_e32 v6, v7, v6
	v_lshlrev_b32_e32 v0, 16, v0
	s_delay_alu instid0(VALU_DEP_3) | instskip(NEXT) | instid1(VALU_DEP_1)
	v_lshlrev_b16 v8, 8, v8
	v_or_b32_e32 v2, v3, v8
	s_delay_alu instid0(VALU_DEP_4) | instskip(NEXT) | instid1(VALU_DEP_2)
	v_and_b32_e32 v3, 0xffff, v6
	v_lshlrev_b32_e32 v2, 16, v2
	s_delay_alu instid0(VALU_DEP_2) | instskip(NEXT) | instid1(VALU_DEP_2)
	v_or_b32_e32 v1, v3, v0
	v_or_b32_e32 v0, v4, v2
	buffer_store_b64 v[0:1], v5, s[0:3], 0 offen
	;;#ASMSTART
	s_nop 0
	;;#ASMEND
.LBB64_44:
	s_nop 0
	s_sendmsg sendmsg(MSG_DEALLOC_VGPRS)
	s_endpgm
.LBB64_45:
                                        ; implicit-def: $vgpr1_vgpr2
	s_branch .LBB64_32
	.section	.rodata,"a",@progbits
	.p2align	6, 0x0
	.amdhsa_kernel _ZN5aiter24add_rmsnorm_quant_kernelItaLi1024ELi8ELb1ELb1ELb0ELi1EEEvPT0_PT_PfS4_S4_S4_diiiiiiib
		.amdhsa_group_segment_fixed_size 256
		.amdhsa_private_segment_fixed_size 0
		.amdhsa_kernarg_size 88
		.amdhsa_user_sgpr_count 15
		.amdhsa_user_sgpr_dispatch_ptr 0
		.amdhsa_user_sgpr_queue_ptr 0
		.amdhsa_user_sgpr_kernarg_segment_ptr 1
		.amdhsa_user_sgpr_dispatch_id 0
		.amdhsa_user_sgpr_private_segment_size 0
		.amdhsa_wavefront_size32 1
		.amdhsa_uses_dynamic_stack 0
		.amdhsa_enable_private_segment 0
		.amdhsa_system_sgpr_workgroup_id_x 1
		.amdhsa_system_sgpr_workgroup_id_y 0
		.amdhsa_system_sgpr_workgroup_id_z 0
		.amdhsa_system_sgpr_workgroup_info 0
		.amdhsa_system_vgpr_workitem_id 0
		.amdhsa_next_free_vgpr 23
		.amdhsa_next_free_sgpr 36
		.amdhsa_reserve_vcc 1
		.amdhsa_float_round_mode_32 0
		.amdhsa_float_round_mode_16_64 0
		.amdhsa_float_denorm_mode_32 3
		.amdhsa_float_denorm_mode_16_64 3
		.amdhsa_dx10_clamp 1
		.amdhsa_ieee_mode 1
		.amdhsa_fp16_overflow 0
		.amdhsa_workgroup_processor_mode 1
		.amdhsa_memory_ordered 1
		.amdhsa_forward_progress 0
		.amdhsa_shared_vgpr_count 0
		.amdhsa_exception_fp_ieee_invalid_op 0
		.amdhsa_exception_fp_denorm_src 0
		.amdhsa_exception_fp_ieee_div_zero 0
		.amdhsa_exception_fp_ieee_overflow 0
		.amdhsa_exception_fp_ieee_underflow 0
		.amdhsa_exception_fp_ieee_inexact 0
		.amdhsa_exception_int_div_zero 0
	.end_amdhsa_kernel
	.section	.text._ZN5aiter24add_rmsnorm_quant_kernelItaLi1024ELi8ELb1ELb1ELb0ELi1EEEvPT0_PT_PfS4_S4_S4_diiiiiiib,"axG",@progbits,_ZN5aiter24add_rmsnorm_quant_kernelItaLi1024ELi8ELb1ELb1ELb0ELi1EEEvPT0_PT_PfS4_S4_S4_diiiiiiib,comdat
.Lfunc_end64:
	.size	_ZN5aiter24add_rmsnorm_quant_kernelItaLi1024ELi8ELb1ELb1ELb0ELi1EEEvPT0_PT_PfS4_S4_S4_diiiiiiib, .Lfunc_end64-_ZN5aiter24add_rmsnorm_quant_kernelItaLi1024ELi8ELb1ELb1ELb0ELi1EEEvPT0_PT_PfS4_S4_S4_diiiiiiib
                                        ; -- End function
	.section	.AMDGPU.csdata,"",@progbits
; Kernel info:
; codeLenInByte = 3628
; NumSgprs: 38
; NumVgprs: 23
; ScratchSize: 0
; MemoryBound: 0
; FloatMode: 240
; IeeeMode: 1
; LDSByteSize: 256 bytes/workgroup (compile time only)
; SGPRBlocks: 4
; VGPRBlocks: 2
; NumSGPRsForWavesPerEU: 38
; NumVGPRsForWavesPerEU: 23
; Occupancy: 16
; WaveLimiterHint : 0
; COMPUTE_PGM_RSRC2:SCRATCH_EN: 0
; COMPUTE_PGM_RSRC2:USER_SGPR: 15
; COMPUTE_PGM_RSRC2:TRAP_HANDLER: 0
; COMPUTE_PGM_RSRC2:TGID_X_EN: 1
; COMPUTE_PGM_RSRC2:TGID_Y_EN: 0
; COMPUTE_PGM_RSRC2:TGID_Z_EN: 0
; COMPUTE_PGM_RSRC2:TIDIG_COMP_CNT: 0
	.section	.text._ZN5aiter24add_rmsnorm_quant_kernelIDF16_DB8_Li64ELi8ELb0ELb1ELb1ELi1EEEvPT0_PT_PfS5_S5_S5_diiiiiiib,"axG",@progbits,_ZN5aiter24add_rmsnorm_quant_kernelIDF16_DB8_Li64ELi8ELb0ELb1ELb1ELi1EEEvPT0_PT_PfS5_S5_S5_diiiiiiib,comdat
	.protected	_ZN5aiter24add_rmsnorm_quant_kernelIDF16_DB8_Li64ELi8ELb0ELb1ELb1ELi1EEEvPT0_PT_PfS5_S5_S5_diiiiiiib ; -- Begin function _ZN5aiter24add_rmsnorm_quant_kernelIDF16_DB8_Li64ELi8ELb0ELb1ELb1ELi1EEEvPT0_PT_PfS5_S5_S5_diiiiiiib
	.globl	_ZN5aiter24add_rmsnorm_quant_kernelIDF16_DB8_Li64ELi8ELb0ELb1ELb1ELi1EEEvPT0_PT_PfS5_S5_S5_diiiiiiib
	.p2align	8
	.type	_ZN5aiter24add_rmsnorm_quant_kernelIDF16_DB8_Li64ELi8ELb0ELb1ELb1ELi1EEEvPT0_PT_PfS5_S5_S5_diiiiiiib,@function
_ZN5aiter24add_rmsnorm_quant_kernelIDF16_DB8_Li64ELi8ELb0ELb1ELb1ELi1EEEvPT0_PT_PfS5_S5_S5_diiiiiiib: ; @_ZN5aiter24add_rmsnorm_quant_kernelIDF16_DB8_Li64ELi8ELb0ELb1ELb1ELi1EEEvPT0_PT_PfS5_S5_S5_diiiiiiib
; %bb.0:
	s_load_b128 s[4:7], s[0:1], 0x38
	s_mov_b32 s20, s15
	s_mov_b32 s21, 0
	s_waitcnt lgkmcnt(0)
	s_ashr_i32 s3, s4, 31
	s_mov_b32 s2, s4
	s_delay_alu instid0(SALU_CYCLE_1) | instskip(NEXT) | instid1(VALU_DEP_1)
	v_cmp_ge_i64_e64 s2, s[20:21], s[2:3]
	s_and_b32 vcc_lo, exec_lo, s2
	s_cbranch_vccnz .LBB65_44
; %bb.1:
	s_clause 0x1
	s_load_b128 s[8:11], s[0:1], 0x10
	s_load_b128 s[16:19], s[0:1], 0x28
	s_ashr_i32 s2, s6, 31
	s_mul_hi_u32 s3, s6, s20
	s_mul_i32 s7, s2, s20
	s_mul_i32 s2, s6, s20
	s_add_i32 s3, s3, s7
	v_lshlrev_b32_e32 v1, 4, v0
	s_lshl_b64 s[2:3], s[2:3], 1
	s_mov_b32 s15, -1
	v_and_b32_e32 v15, 31, v0
	s_mov_b32 s27, s15
	s_waitcnt lgkmcnt(0)
	s_add_u32 s12, s10, s2
	s_addc_u32 s2, s11, s3
	s_add_i32 s3, s5, 1
	s_and_b32 s13, s2, 0xffff
	s_lshr_b32 s6, s3, 31
	s_mov_b32 s24, s16
	s_add_i32 s3, s3, s6
	s_and_b32 s25, s17, 0xffff
	s_lshl_b32 s3, s3, 1
	v_cmp_eq_u32_e64 s2, 31, v15
	s_and_b32 s14, s3, -4
	buffer_load_b128 v[9:12], v1, s[12:15], 0 offen glc slc
	s_mov_b32 s26, s14
	buffer_load_b128 v[1:4], v1, s[24:27], 0 offen
	s_waitcnt vmcnt(1)
	v_lshrrev_b32_e32 v5, 16, v9
	v_lshrrev_b32_e32 v13, 16, v10
	;; [unrolled: 1-line block ×4, first 2 shown]
	v_cvt_f32_f16_e32 v8, v10
	v_cvt_f32_f16_e32 v6, v5
	;; [unrolled: 1-line block ×4, first 2 shown]
	s_delay_alu instid0(VALU_DEP_3) | instskip(NEXT) | instid1(VALU_DEP_1)
	v_mul_f32_e32 v5, v6, v6
	v_fma_mix_f32 v5, v9, v9, v5 op_sel_hi:[1,1,0]
	v_cvt_f32_f16_e32 v9, v9
	s_delay_alu instid0(VALU_DEP_2) | instskip(NEXT) | instid1(VALU_DEP_1)
	v_fma_mix_f32 v5, v10, v10, v5 op_sel_hi:[1,1,0]
	v_fma_mix_f32 v5, v10, v10, v5 op_sel:[1,1,0] op_sel_hi:[1,1,0]
	v_cvt_f32_f16_e32 v10, v11
	s_delay_alu instid0(VALU_DEP_2) | instskip(NEXT) | instid1(VALU_DEP_1)
	v_fma_mix_f32 v5, v11, v11, v5 op_sel_hi:[1,1,0]
	v_fma_mix_f32 v5, v11, v11, v5 op_sel:[1,1,0] op_sel_hi:[1,1,0]
	;; [unrolled: 4-line block ×3, first 2 shown]
	v_cvt_f32_f16_e32 v12, v17
	s_delay_alu instid0(VALU_DEP_2) | instskip(NEXT) | instid1(VALU_DEP_1)
	v_mov_b32_dpp v7, v5 quad_perm:[1,0,3,2] row_mask:0xf bank_mask:0xf
	v_add_f32_e32 v5, v5, v7
	s_delay_alu instid0(VALU_DEP_1) | instskip(NEXT) | instid1(VALU_DEP_1)
	v_mov_b32_dpp v7, v5 quad_perm:[2,3,0,1] row_mask:0xf bank_mask:0xf
	v_add_f32_e32 v5, v5, v7
	s_delay_alu instid0(VALU_DEP_1) | instskip(NEXT) | instid1(VALU_DEP_1)
	v_mov_b32_dpp v7, v5 row_xmask:7 row_mask:0xf bank_mask:0xf
	v_add_f32_e32 v5, v5, v7
	s_delay_alu instid0(VALU_DEP_1)
	v_mov_b32_dpp v7, v5 row_xmask:15 row_mask:0xf bank_mask:0xf
	s_and_saveexec_b32 s3, s2
	s_cbranch_execz .LBB65_3
; %bb.2:
	s_delay_alu instid0(VALU_DEP_1) | instskip(SKIP_2) | instid1(VALU_DEP_2)
	v_add_f32_e32 v5, v5, v7
	s_mov_b32 s6, 0x76543210
	v_lshrrev_b32_e32 v7, 3, v0
	v_permlanex16_b32 v15, v5, s6, 0xfedcba98 op_sel:[1,1]
	s_delay_alu instid0(VALU_DEP_2) | instskip(NEXT) | instid1(VALU_DEP_2)
	v_and_b32_e32 v7, 0x7c, v7
	v_add_f32_e32 v5, v5, v15
	ds_store_b32 v7, v5 offset:8
.LBB65_3:
	s_or_b32 exec_lo, exec_lo, s3
	v_and_b32_e32 v5, 1, v0
	s_waitcnt vmcnt(0) lgkmcnt(0)
	s_barrier
	buffer_gl0_inv
	v_cvt_f32_i32_e32 v16, s5
	v_lshlrev_b32_e32 v7, 2, v5
	ds_load_b32 v5, v7 offset:8
	s_clause 0x1
	s_load_b64 s[6:7], s[0:1], 0x4c
	s_load_b32 s10, s[0:1], 0x54
	s_waitcnt lgkmcnt(0)
	s_cmp_lg_u32 s7, 0
	v_mov_b32_dpp v15, v5 quad_perm:[1,0,3,2] row_mask:0xf bank_mask:0xf
	s_delay_alu instid0(VALU_DEP_1) | instskip(NEXT) | instid1(VALU_DEP_1)
	v_add_f32_e32 v5, v5, v15
	v_div_scale_f32 v15, null, v16, v16, v5
	v_div_scale_f32 v19, vcc_lo, v5, v16, v5
	s_delay_alu instid0(VALU_DEP_2) | instskip(SKIP_2) | instid1(VALU_DEP_1)
	v_rcp_f32_e32 v17, v15
	s_waitcnt_depctr 0xfff
	v_fma_f32 v18, -v15, v17, 1.0
	v_fmac_f32_e32 v17, v18, v17
	s_delay_alu instid0(VALU_DEP_1) | instskip(NEXT) | instid1(VALU_DEP_1)
	v_mul_f32_e32 v18, v19, v17
	v_fma_f32 v20, -v15, v18, v19
	s_delay_alu instid0(VALU_DEP_1) | instskip(SKIP_2) | instid1(VALU_DEP_3)
	v_fmac_f32_e32 v18, v20, v17
	v_cvt_f32_f16_e32 v20, v4
	v_lshrrev_b32_e32 v4, 16, v4
	v_fma_f32 v15, -v15, v18, v19
	s_delay_alu instid0(VALU_DEP_2) | instskip(NEXT) | instid1(VALU_DEP_2)
	v_cvt_f32_f16_e32 v4, v4
	v_div_fmas_f32 v15, v15, v17, v18
	v_cvt_f32_f16_e32 v17, v2
	v_lshrrev_b32_e32 v2, 16, v2
	v_cvt_f32_f16_e32 v18, v3
	v_lshrrev_b32_e32 v3, 16, v3
	v_div_fixup_f32 v5, v15, v16, v5
	s_delay_alu instid0(VALU_DEP_4) | instskip(NEXT) | instid1(VALU_DEP_3)
	v_cvt_f32_f16_e32 v2, v2
	v_cvt_f32_f16_e32 v3, v3
	s_delay_alu instid0(VALU_DEP_3) | instskip(NEXT) | instid1(VALU_DEP_1)
	v_cvt_f64_f32_e32 v[15:16], v5
	v_add_f64 v[15:16], v[15:16], s[18:19]
	s_delay_alu instid0(VALU_DEP_1) | instskip(SKIP_2) | instid1(VALU_DEP_1)
	v_cvt_f32_f64_e32 v5, v[15:16]
	v_cvt_f32_f16_e32 v16, v1
	v_lshrrev_b32_e32 v1, 16, v1
	v_cvt_f32_f16_e32 v1, v1
	s_delay_alu instid0(VALU_DEP_4) | instskip(SKIP_1) | instid1(VALU_DEP_2)
	v_mul_f32_e32 v15, 0x4b800000, v5
	v_cmp_gt_f32_e32 vcc_lo, 0x800000, v5
	v_cndmask_b32_e32 v5, v5, v15, vcc_lo
	s_delay_alu instid0(VALU_DEP_1) | instskip(SKIP_2) | instid1(VALU_DEP_1)
	v_rsq_f32_e32 v15, v5
	s_waitcnt_depctr 0xfff
	v_mul_f32_e32 v19, 0x45800000, v15
	v_cndmask_b32_e32 v15, v15, v19, vcc_lo
	s_delay_alu instid0(VALU_DEP_1) | instskip(SKIP_4) | instid1(VALU_DEP_4)
	v_dual_mul_f32 v22, v15, v11 :: v_dual_lshlrev_b32 v5, 3, v0
	v_mul_f32_e32 v14, v15, v14
	v_mul_f32_e32 v19, v15, v10
	;; [unrolled: 1-line block ×3, first 2 shown]
	v_dual_mul_f32 v8, v15, v8 :: v_dual_mov_b32 v21, 0x2edbe6ff
	v_dual_mul_f32 v10, v14, v2 :: v_dual_mul_f32 v13, v15, v13
	s_delay_alu instid0(VALU_DEP_1) | instskip(NEXT) | instid1(VALU_DEP_4)
	v_dual_mul_f32 v9, v15, v9 :: v_dual_and_b32 v14, 0x7fffffff, v10
	v_dual_mul_f32 v15, v15, v12 :: v_dual_mul_f32 v12, v6, v1
	s_delay_alu instid0(VALU_DEP_3) | instskip(NEXT) | instid1(VALU_DEP_3)
	v_dual_mul_f32 v6, v13, v3 :: v_dual_mul_f32 v3, v22, v20
	v_mul_f32_e32 v11, v9, v16
	s_delay_alu instid0(VALU_DEP_3) | instskip(NEXT) | instid1(VALU_DEP_3)
	v_and_b32_e32 v2, 0x7fffffff, v12
	v_dual_mul_f32 v9, v8, v17 :: v_dual_and_b32 v16, 0x7fffffff, v6
	v_mul_f32_e32 v4, v15, v4
	s_delay_alu instid0(VALU_DEP_4) | instskip(SKIP_1) | instid1(VALU_DEP_3)
	v_dual_mul_f32 v8, v19, v18 :: v_dual_and_b32 v1, 0x7fffffff, v11
	;;#ASMSTART
	v_max3_f32 v1, v21, v1, v2

	;;#ASMEND
	v_and_b32_e32 v13, 0x7fffffff, v9
	;;#ASMSTART
	v_max3_f32 v1, v1, v13, v14

	;;#ASMEND
	s_delay_alu instid0(VALU_DEP_2)
	v_and_b32_e32 v15, 0x7fffffff, v8
	v_and_b32_e32 v17, 0x7fffffff, v3
	;; [unrolled: 1-line block ×3, first 2 shown]
	;;#ASMSTART
	v_max3_f32 v1, v1, v15, v16

	;;#ASMEND
	;;#ASMSTART
	v_max3_f32 v13, v1, v17, v18

	;;#ASMEND
	s_cbranch_scc0 .LBB65_10
; %bb.4:
	s_ashr_i32 s11, s7, 31
	s_delay_alu instid0(SALU_CYCLE_1) | instskip(NEXT) | instid1(SALU_CYCLE_1)
	s_lshr_b32 s3, s11, 29
	s_add_i32 s3, s7, s3
	s_delay_alu instid0(SALU_CYCLE_1) | instskip(NEXT) | instid1(SALU_CYCLE_1)
	s_ashr_i32 s3, s3, 3
	s_cmp_lt_i32 s3, 8
	s_cbranch_scc1 .LBB65_11
; %bb.5:
	s_cmp_lt_i32 s3, 16
	s_cbranch_scc1 .LBB65_12
; %bb.6:
	;; [unrolled: 3-line block ×3, first 2 shown]
	v_mov_b32_e32 v1, v13
	s_cmp_eq_u32 s3, 32
	s_cbranch_scc0 .LBB65_9
; %bb.8:
	s_delay_alu instid0(VALU_DEP_1) | instskip(SKIP_1) | instid1(VALU_DEP_1)
	v_mov_b32_dpp v1, v13 quad_perm:[1,0,3,2] row_mask:0xf bank_mask:0xf
	s_mov_b32 s12, 0x76543210
	v_cmp_gt_f32_e32 vcc_lo, v13, v1
	v_cndmask_b32_e32 v1, v1, v13, vcc_lo
	s_delay_alu instid0(VALU_DEP_1) | instskip(NEXT) | instid1(VALU_DEP_1)
	v_mov_b32_dpp v2, v1 quad_perm:[2,3,0,1] row_mask:0xf bank_mask:0xf
	v_cmp_gt_f32_e32 vcc_lo, v1, v2
	v_cndmask_b32_e32 v1, v2, v1, vcc_lo
	s_delay_alu instid0(VALU_DEP_1) | instskip(NEXT) | instid1(VALU_DEP_1)
	v_mov_b32_dpp v2, v1 row_xmask:7 row_mask:0xf bank_mask:0xf
	v_cmp_gt_f32_e32 vcc_lo, v1, v2
	v_cndmask_b32_e32 v1, v2, v1, vcc_lo
	s_delay_alu instid0(VALU_DEP_1) | instskip(NEXT) | instid1(VALU_DEP_1)
	v_mov_b32_dpp v2, v1 row_xmask:15 row_mask:0xf bank_mask:0xf
	v_cmp_gt_f32_e32 vcc_lo, v1, v2
	v_cndmask_b32_e32 v1, v2, v1, vcc_lo
	s_delay_alu instid0(VALU_DEP_1) | instskip(NEXT) | instid1(VALU_DEP_1)
	v_permlanex16_b32 v2, v1, s12, 0xfedcba98 op_sel:[1,1]
	v_cmp_gt_f32_e32 vcc_lo, v1, v2
	v_cndmask_b32_e32 v1, v2, v1, vcc_lo
.LBB65_9:
	s_mov_b32 s12, 0
	s_branch .LBB65_14
.LBB65_10:
	s_mov_b32 s3, 0
                                        ; implicit-def: $vgpr14
                                        ; implicit-def: $vgpr1_vgpr2
	s_and_b32 vcc_lo, exec_lo, s15
	s_cbranch_vccnz .LBB65_38
	s_branch .LBB65_41
.LBB65_11:
                                        ; implicit-def: $vgpr1
	s_branch .LBB65_21
.LBB65_12:
                                        ; implicit-def: $vgpr1
	s_branch .LBB65_18
.LBB65_13:
	s_mov_b32 s12, -1
                                        ; implicit-def: $vgpr1
.LBB65_14:
	s_delay_alu instid0(SALU_CYCLE_1)
	s_and_not1_b32 vcc_lo, exec_lo, s12
	s_cbranch_vccnz .LBB65_17
; %bb.15:
	v_mov_b32_e32 v1, v13
	s_cmp_eq_u32 s3, 16
	s_cbranch_scc0 .LBB65_17
; %bb.16:
	s_delay_alu instid0(VALU_DEP_1) | instskip(NEXT) | instid1(VALU_DEP_1)
	v_mov_b32_dpp v1, v13 quad_perm:[1,0,3,2] row_mask:0xf bank_mask:0xf
	v_cmp_gt_f32_e32 vcc_lo, v13, v1
	v_cndmask_b32_e32 v1, v1, v13, vcc_lo
	s_delay_alu instid0(VALU_DEP_1) | instskip(NEXT) | instid1(VALU_DEP_1)
	v_mov_b32_dpp v2, v1 quad_perm:[2,3,0,1] row_mask:0xf bank_mask:0xf
	v_cmp_gt_f32_e32 vcc_lo, v1, v2
	v_cndmask_b32_e32 v1, v2, v1, vcc_lo
	s_delay_alu instid0(VALU_DEP_1) | instskip(NEXT) | instid1(VALU_DEP_1)
	v_mov_b32_dpp v2, v1 row_half_mirror row_mask:0xf bank_mask:0xf
	v_cmp_gt_f32_e32 vcc_lo, v1, v2
	v_cndmask_b32_e32 v1, v2, v1, vcc_lo
	s_delay_alu instid0(VALU_DEP_1) | instskip(NEXT) | instid1(VALU_DEP_1)
	v_mov_b32_dpp v2, v1 row_mirror row_mask:0xf bank_mask:0xf
	v_cmp_gt_f32_e32 vcc_lo, v1, v2
	v_cndmask_b32_e32 v1, v2, v1, vcc_lo
.LBB65_17:
	s_cbranch_execnz .LBB65_20
.LBB65_18:
	v_mov_b32_e32 v1, v13
	s_cmp_eq_u32 s3, 8
	s_cbranch_scc0 .LBB65_20
; %bb.19:
	s_delay_alu instid0(VALU_DEP_1) | instskip(NEXT) | instid1(VALU_DEP_1)
	v_mov_b32_dpp v1, v13 quad_perm:[1,0,3,2] row_mask:0xf bank_mask:0xf
	v_cmp_gt_f32_e32 vcc_lo, v13, v1
	v_cndmask_b32_e32 v1, v1, v13, vcc_lo
	s_delay_alu instid0(VALU_DEP_1) | instskip(NEXT) | instid1(VALU_DEP_1)
	v_mov_b32_dpp v2, v1 quad_perm:[2,3,0,1] row_mask:0xf bank_mask:0xf
	v_cmp_gt_f32_e32 vcc_lo, v1, v2
	v_cndmask_b32_e32 v1, v2, v1, vcc_lo
	s_delay_alu instid0(VALU_DEP_1) | instskip(NEXT) | instid1(VALU_DEP_1)
	v_mov_b32_dpp v2, v1 row_half_mirror row_mask:0xf bank_mask:0xf
	v_cmp_gt_f32_e32 vcc_lo, v1, v2
	v_cndmask_b32_e32 v1, v2, v1, vcc_lo
.LBB65_20:
	s_cbranch_execnz .LBB65_28
.LBB65_21:
	s_cmp_lt_i32 s3, 4
	s_cbranch_scc1 .LBB65_24
; %bb.22:
	v_mov_b32_e32 v1, v13
	s_cmp_eq_u32 s3, 4
	s_cbranch_scc0 .LBB65_25
; %bb.23:
	s_delay_alu instid0(VALU_DEP_1) | instskip(NEXT) | instid1(VALU_DEP_1)
	v_mov_b32_dpp v1, v13 quad_perm:[1,0,3,2] row_mask:0xf bank_mask:0xf
	v_cmp_gt_f32_e32 vcc_lo, v13, v1
	v_cndmask_b32_e32 v1, v1, v13, vcc_lo
	s_delay_alu instid0(VALU_DEP_1) | instskip(NEXT) | instid1(VALU_DEP_1)
	v_mov_b32_dpp v2, v1 quad_perm:[2,3,0,1] row_mask:0xf bank_mask:0xf
	v_cmp_gt_f32_e32 vcc_lo, v1, v2
	v_cndmask_b32_e32 v1, v2, v1, vcc_lo
	s_cbranch_execz .LBB65_26
	s_branch .LBB65_28
.LBB65_24:
                                        ; implicit-def: $vgpr1
	s_branch .LBB65_26
.LBB65_25:
	s_cbranch_execnz .LBB65_28
.LBB65_26:
	v_mov_b32_e32 v1, v13
	s_cmp_lg_u32 s3, 2
	s_cbranch_scc1 .LBB65_28
; %bb.27:
	s_delay_alu instid0(VALU_DEP_1) | instskip(NEXT) | instid1(VALU_DEP_1)
	v_mov_b32_dpp v1, v13 quad_perm:[1,0,3,2] row_mask:0xf bank_mask:0xf
	v_cmp_gt_f32_e32 vcc_lo, v13, v1
	v_cndmask_b32_e32 v1, v1, v13, vcc_lo
.LBB65_28:
	v_cvt_f32_u32_e32 v2, s3
	s_sub_i32 s12, 0, s3
	s_mov_b32 s15, 0
	s_delay_alu instid0(VALU_DEP_1) | instskip(SKIP_2) | instid1(VALU_DEP_1)
	v_rcp_iflag_f32_e32 v2, v2
	s_waitcnt_depctr 0xfff
	v_mul_f32_e32 v2, 0x4f7ffffe, v2
	v_cvt_u32_f32_e32 v2, v2
	s_delay_alu instid0(VALU_DEP_1) | instskip(NEXT) | instid1(VALU_DEP_1)
	v_mul_lo_u32 v14, s12, v2
	v_mul_hi_u32 v14, v2, v14
	s_delay_alu instid0(VALU_DEP_1) | instskip(NEXT) | instid1(VALU_DEP_1)
	v_add_nc_u32_e32 v2, v2, v14
	v_mul_hi_u32 v2, v0, v2
	s_delay_alu instid0(VALU_DEP_1) | instskip(NEXT) | instid1(VALU_DEP_1)
	v_mul_lo_u32 v14, v2, s3
	v_sub_nc_u32_e32 v14, v0, v14
	s_delay_alu instid0(VALU_DEP_1) | instskip(SKIP_1) | instid1(VALU_DEP_2)
	v_subrev_nc_u32_e32 v16, s3, v14
	v_cmp_le_u32_e32 vcc_lo, s3, v14
	v_dual_cndmask_b32 v14, v14, v16 :: v_dual_add_nc_u32 v15, 1, v2
	s_delay_alu instid0(VALU_DEP_1) | instskip(NEXT) | instid1(VALU_DEP_2)
	v_cndmask_b32_e32 v2, v2, v15, vcc_lo
	v_cmp_le_u32_e32 vcc_lo, s3, v14
	s_delay_alu instid0(VALU_DEP_2) | instskip(NEXT) | instid1(VALU_DEP_1)
	v_dual_mul_f32 v14, 0x3b124925, v1 :: v_dual_add_nc_u32 v15, 1, v2
	v_cndmask_b32_e32 v15, v2, v15, vcc_lo
	v_cmp_gt_u32_e32 vcc_lo, s5, v5
	s_delay_alu instid0(VALU_DEP_2) | instskip(NEXT) | instid1(VALU_DEP_1)
	v_mul_lo_u32 v2, v15, s3
	v_sub_nc_u32_e32 v2, v0, v2
	s_delay_alu instid0(VALU_DEP_1) | instskip(NEXT) | instid1(VALU_DEP_1)
	v_cmp_eq_u32_e64 s3, 0, v2
                                        ; implicit-def: $vgpr1_vgpr2
	s_and_b32 s12, s3, vcc_lo
	s_mov_b32 s3, 0
	s_and_saveexec_b32 s13, s12
	s_delay_alu instid0(SALU_CYCLE_1)
	s_xor_b32 s14, exec_lo, s13
	s_cbranch_execz .LBB65_37
; %bb.29:
	s_bitcmp0_b32 s10, 0
	s_mov_b32 s16, 0
	s_cbranch_scc0 .LBB65_34
; %bb.30:
	s_ashr_i32 s3, s5, 31
	s_mul_hi_u32 s10, s5, s20
	s_mul_i32 s3, s3, s20
	s_mul_i32 s12, s5, s20
	s_add_i32 s13, s10, s3
	s_mov_b32 s10, s7
	s_delay_alu instid0(SALU_CYCLE_1) | instskip(NEXT) | instid1(SALU_CYCLE_1)
	s_or_b64 s[18:19], s[12:13], s[10:11]
	s_mov_b32 s17, s19
	s_delay_alu instid0(SALU_CYCLE_1)
	s_cmp_lg_u64 s[16:17], 0
	s_cbranch_scc0 .LBB65_45
; %bb.31:
	s_add_u32 s18, s10, s11
	s_mov_b32 s16, s11
	s_mov_b32 s17, s11
	s_addc_u32 s19, s11, s11
	s_delay_alu instid0(SALU_CYCLE_1) | instskip(NEXT) | instid1(SALU_CYCLE_1)
	s_xor_b64 s[18:19], s[18:19], s[16:17]
	v_cvt_f32_u32_e32 v1, s18
	v_cvt_f32_u32_e32 v2, s19
	s_sub_u32 s11, 0, s18
	s_subb_u32 s22, 0, s19
	s_delay_alu instid0(VALU_DEP_1) | instskip(NEXT) | instid1(VALU_DEP_1)
	v_fmamk_f32 v1, v2, 0x4f800000, v1
	v_rcp_f32_e32 v1, v1
	s_waitcnt_depctr 0xfff
	v_mul_f32_e32 v1, 0x5f7ffffc, v1
	s_delay_alu instid0(VALU_DEP_1) | instskip(NEXT) | instid1(VALU_DEP_1)
	v_mul_f32_e32 v2, 0x2f800000, v1
	v_trunc_f32_e32 v2, v2
	s_delay_alu instid0(VALU_DEP_1) | instskip(SKIP_1) | instid1(VALU_DEP_2)
	v_fmamk_f32 v1, v2, 0xcf800000, v1
	v_cvt_u32_f32_e32 v2, v2
	v_cvt_u32_f32_e32 v1, v1
	s_delay_alu instid0(VALU_DEP_2) | instskip(NEXT) | instid1(VALU_DEP_2)
	v_readfirstlane_b32 s3, v2
	v_readfirstlane_b32 s7, v1
	s_delay_alu instid0(VALU_DEP_2) | instskip(NEXT) | instid1(VALU_DEP_1)
	s_mul_i32 s23, s11, s3
	s_mul_hi_u32 s25, s11, s7
	s_mul_i32 s24, s22, s7
	s_add_i32 s23, s25, s23
	s_mul_i32 s26, s11, s7
	s_add_i32 s23, s23, s24
	s_mul_hi_u32 s25, s7, s26
	s_mul_hi_u32 s27, s3, s26
	s_mul_i32 s24, s3, s26
	s_mul_hi_u32 s26, s7, s23
	s_mul_i32 s7, s7, s23
	s_mul_hi_u32 s28, s3, s23
	s_add_u32 s7, s25, s7
	s_addc_u32 s25, 0, s26
	s_add_u32 s7, s7, s24
	s_mul_i32 s23, s3, s23
	s_addc_u32 s7, s25, s27
	s_addc_u32 s24, s28, 0
	s_add_u32 s7, s7, s23
	s_addc_u32 s23, 0, s24
	v_add_co_u32 v1, s7, v1, s7
	s_delay_alu instid0(VALU_DEP_1) | instskip(SKIP_1) | instid1(VALU_DEP_1)
	s_cmp_lg_u32 s7, 0
	s_addc_u32 s3, s3, s23
	v_readfirstlane_b32 s7, v1
	s_mul_i32 s23, s11, s3
	s_delay_alu instid0(VALU_DEP_1)
	s_mul_hi_u32 s24, s11, s7
	s_mul_i32 s22, s22, s7
	s_add_i32 s23, s24, s23
	s_mul_i32 s11, s11, s7
	s_add_i32 s23, s23, s22
	s_mul_hi_u32 s24, s3, s11
	s_mul_i32 s25, s3, s11
	s_mul_hi_u32 s11, s7, s11
	s_mul_hi_u32 s26, s7, s23
	s_mul_i32 s7, s7, s23
	s_mul_hi_u32 s22, s3, s23
	s_add_u32 s7, s11, s7
	s_addc_u32 s11, 0, s26
	s_add_u32 s7, s7, s25
	s_mul_i32 s23, s3, s23
	s_addc_u32 s7, s11, s24
	s_addc_u32 s11, s22, 0
	s_add_u32 s7, s7, s23
	s_addc_u32 s11, 0, s11
	v_add_co_u32 v1, s7, v1, s7
	s_delay_alu instid0(VALU_DEP_1) | instskip(SKIP_2) | instid1(VALU_DEP_1)
	s_cmp_lg_u32 s7, 0
	s_addc_u32 s3, s3, s11
	s_ashr_i32 s22, s13, 31
	v_readfirstlane_b32 s7, v1
	s_add_u32 s24, s12, s22
	s_mov_b32 s23, s22
	s_addc_u32 s25, s13, s22
	s_delay_alu instid0(SALU_CYCLE_1) | instskip(NEXT) | instid1(SALU_CYCLE_1)
	s_xor_b64 s[24:25], s[24:25], s[22:23]
	s_mul_i32 s13, s24, s3
	s_mul_hi_u32 s26, s24, s7
	s_mul_hi_u32 s11, s24, s3
	;; [unrolled: 1-line block ×3, first 2 shown]
	s_mul_i32 s7, s25, s7
	s_add_u32 s13, s26, s13
	s_addc_u32 s11, 0, s11
	s_mul_hi_u32 s27, s25, s3
	s_add_u32 s7, s13, s7
	s_mul_i32 s3, s25, s3
	s_addc_u32 s7, s11, s28
	s_addc_u32 s11, s27, 0
	s_add_u32 s7, s7, s3
	s_addc_u32 s11, 0, s11
	s_mul_i32 s27, s18, s7
	s_mul_hi_u32 s3, s18, s7
	s_mul_i32 s26, s18, s11
	v_sub_co_u32 v1, s24, s24, s27
	s_mul_i32 s13, s19, s7
	s_add_i32 s3, s3, s26
	s_delay_alu instid0(SALU_CYCLE_1) | instskip(NEXT) | instid1(VALU_DEP_1)
	s_add_i32 s3, s3, s13
	v_sub_co_u32 v2, s26, v1, s18
	s_sub_i32 s13, s25, s3
	s_cmp_lg_u32 s24, 0
	s_subb_u32 s13, s13, s19
	s_cmp_lg_u32 s26, 0
	v_cmp_le_u32_e32 vcc_lo, s18, v2
	s_subb_u32 s13, s13, 0
	s_delay_alu instid0(SALU_CYCLE_1)
	s_cmp_ge_u32 s13, s19
	v_cndmask_b32_e64 v2, 0, -1, vcc_lo
	s_cselect_b32 s26, -1, 0
	s_cmp_eq_u32 s13, s19
	s_cselect_b32 vcc_lo, -1, 0
	s_add_u32 s13, s7, 1
	v_cndmask_b32_e32 v2, s26, v2, vcc_lo
	s_addc_u32 s26, s11, 0
	s_add_u32 s27, s7, 2
	s_addc_u32 s28, s11, 0
	s_cmp_lg_u32 s24, 0
	v_cmp_le_u32_e32 vcc_lo, s18, v1
	s_subb_u32 s3, s25, s3
	v_mov_b32_e32 v16, s27
	s_cmp_ge_u32 s3, s19
	v_cndmask_b32_e64 v1, 0, -1, vcc_lo
	s_cselect_b32 s18, -1, 0
	s_cmp_eq_u32 s3, s19
	v_cmp_ne_u32_e32 vcc_lo, 0, v2
	v_mov_b32_e32 v2, s28
	s_cselect_b32 s3, -1, 0
	s_xor_b64 s[16:17], s[22:23], s[16:17]
	v_cndmask_b32_e64 v1, s18, v1, s3
	v_cndmask_b32_e32 v16, s13, v16, vcc_lo
	v_cndmask_b32_e32 v2, s26, v2, vcc_lo
	s_delay_alu instid0(VALU_DEP_3) | instskip(NEXT) | instid1(VALU_DEP_2)
	v_cmp_ne_u32_e32 vcc_lo, 0, v1
	v_cndmask_b32_e32 v1, s11, v2, vcc_lo
	s_delay_alu instid0(VALU_DEP_4) | instskip(NEXT) | instid1(VALU_DEP_2)
	v_cndmask_b32_e32 v2, s7, v16, vcc_lo
	v_xor_b32_e32 v16, s17, v1
	s_delay_alu instid0(VALU_DEP_2) | instskip(NEXT) | instid1(VALU_DEP_1)
	v_xor_b32_e32 v2, s16, v2
	v_sub_co_u32 v1, vcc_lo, v2, s16
	s_delay_alu instid0(VALU_DEP_3)
	v_subrev_co_ci_u32_e32 v2, vcc_lo, s17, v16, vcc_lo
	s_cbranch_execnz .LBB65_33
.LBB65_32:
	v_cvt_f32_u32_e32 v1, s10
	s_sub_i32 s7, 0, s10
	s_delay_alu instid0(VALU_DEP_1) | instskip(SKIP_2) | instid1(VALU_DEP_1)
	v_rcp_iflag_f32_e32 v1, v1
	s_waitcnt_depctr 0xfff
	v_mul_f32_e32 v1, 0x4f7ffffe, v1
	v_cvt_u32_f32_e32 v1, v1
	s_delay_alu instid0(VALU_DEP_1) | instskip(NEXT) | instid1(VALU_DEP_1)
	v_readfirstlane_b32 s3, v1
	s_mul_i32 s7, s7, s3
	s_delay_alu instid0(SALU_CYCLE_1) | instskip(NEXT) | instid1(SALU_CYCLE_1)
	s_mul_hi_u32 s7, s3, s7
	s_add_i32 s3, s3, s7
	s_delay_alu instid0(SALU_CYCLE_1) | instskip(NEXT) | instid1(SALU_CYCLE_1)
	s_mul_hi_u32 s3, s12, s3
	s_mul_i32 s7, s3, s10
	s_add_i32 s11, s3, 1
	s_sub_i32 s7, s12, s7
	s_delay_alu instid0(SALU_CYCLE_1)
	s_sub_i32 s12, s7, s10
	s_cmp_ge_u32 s7, s10
	s_cselect_b32 s3, s11, s3
	s_cselect_b32 s7, s12, s7
	s_add_i32 s12, s3, 1
	s_cmp_ge_u32 s7, s10
	s_mov_b32 s11, 0
	s_cselect_b32 s10, s12, s3
	s_delay_alu instid0(SALU_CYCLE_1)
	v_dual_mov_b32 v1, s10 :: v_dual_mov_b32 v2, s11
.LBB65_33:
	s_delay_alu instid0(VALU_DEP_1) | instskip(NEXT) | instid1(VALU_DEP_2)
	v_add_co_u32 v1, vcc_lo, v1, v15
	v_add_co_ci_u32_e32 v2, vcc_lo, 0, v2, vcc_lo
	s_branch .LBB65_36
.LBB65_34:
                                        ; implicit-def: $vgpr1_vgpr2
	s_cbranch_execz .LBB65_36
; %bb.35:
	v_mul_lo_u32 v1, v15, s4
	s_delay_alu instid0(VALU_DEP_1) | instskip(SKIP_1) | instid1(VALU_DEP_2)
	v_ashrrev_i32_e32 v2, 31, v1
	v_add_co_u32 v1, vcc_lo, v1, s20
	v_add_co_ci_u32_e32 v2, vcc_lo, 0, v2, vcc_lo
.LBB65_36:
	s_mov_b32 s3, exec_lo
.LBB65_37:
	s_or_b32 exec_lo, exec_lo, s14
	s_delay_alu instid0(SALU_CYCLE_1)
	s_and_b32 vcc_lo, exec_lo, s15
	s_cbranch_vccz .LBB65_41
.LBB65_38:
	v_mov_b32_dpp v1, v13 quad_perm:[1,0,3,2] row_mask:0xf bank_mask:0xf
	s_delay_alu instid0(VALU_DEP_1) | instskip(SKIP_1) | instid1(VALU_DEP_1)
	v_cmp_gt_f32_e32 vcc_lo, v13, v1
	v_cndmask_b32_e32 v1, v1, v13, vcc_lo
	v_mov_b32_dpp v2, v1 quad_perm:[2,3,0,1] row_mask:0xf bank_mask:0xf
	s_delay_alu instid0(VALU_DEP_1) | instskip(SKIP_1) | instid1(VALU_DEP_1)
	v_cmp_gt_f32_e32 vcc_lo, v1, v2
	v_cndmask_b32_e32 v1, v2, v1, vcc_lo
	v_mov_b32_dpp v2, v1 row_xmask:7 row_mask:0xf bank_mask:0xf
	s_delay_alu instid0(VALU_DEP_1) | instskip(SKIP_1) | instid1(VALU_DEP_1)
	v_cmp_gt_f32_e32 vcc_lo, v1, v2
	v_cndmask_b32_e32 v1, v2, v1, vcc_lo
	v_mov_b32_dpp v2, v1 row_xmask:15 row_mask:0xf bank_mask:0xf
	s_delay_alu instid0(VALU_DEP_1)
	v_cmp_gt_f32_e32 vcc_lo, v1, v2
	s_and_saveexec_b32 s3, s2
	s_cbranch_execz .LBB65_40
; %bb.39:
	v_cndmask_b32_e32 v1, v2, v1, vcc_lo
	v_lshrrev_b32_e32 v2, 3, v0
	s_mov_b32 s2, 0x76543210
	s_delay_alu instid0(VALU_DEP_1) | instskip(NEXT) | instid1(VALU_DEP_3)
	v_and_b32_e32 v2, 0x7c, v2
	v_permlanex16_b32 v13, v1, s2, 0xfedcba98 op_sel:[1,1]
	s_delay_alu instid0(VALU_DEP_1)
	v_cmp_gt_f32_e32 vcc_lo, v1, v13
	v_cndmask_b32_e32 v1, v13, v1, vcc_lo
	ds_store_b32 v2, v1
.LBB65_40:
	s_or_b32 exec_lo, exec_lo, s3
	s_waitcnt lgkmcnt(0)
	s_barrier
	buffer_gl0_inv
	ds_load_b32 v1, v7
	v_cmp_eq_u32_e64 s3, 0, v0
	s_waitcnt lgkmcnt(0)
	v_mov_b32_dpp v2, v1 quad_perm:[1,0,3,2] row_mask:0xf bank_mask:0xf
	s_delay_alu instid0(VALU_DEP_1) | instskip(SKIP_1) | instid1(VALU_DEP_1)
	v_cmp_gt_f32_e32 vcc_lo, v1, v2
	v_cndmask_b32_e32 v1, v2, v1, vcc_lo
	v_dual_mul_f32 v14, 0x3b124925, v1 :: v_dual_mov_b32 v1, s20
	v_mov_b32_e32 v2, s21
.LBB65_41:
	s_and_saveexec_b32 s2, s3
	s_cbranch_execz .LBB65_43
; %bb.42:
	s_delay_alu instid0(VALU_DEP_1) | instskip(NEXT) | instid1(VALU_DEP_1)
	v_lshlrev_b64 v[0:1], 2, v[1:2]
	v_add_co_u32 v0, vcc_lo, s8, v0
	s_delay_alu instid0(VALU_DEP_2)
	v_add_co_ci_u32_e32 v1, vcc_lo, s9, v1, vcc_lo
	global_store_b32 v[0:1], v14, off
.LBB65_43:
	s_or_b32 exec_lo, exec_lo, s2
	;;#ASMSTART
	v_rcp_f32 v0, v14
	;;#ASMEND
	v_mul_f32_e32 v1, v11, v0
	v_dual_mul_f32 v2, v12, v0 :: v_dual_mov_b32 v7, 0xc3e00000
	v_dual_mov_b32 v11, 0x43e00000 :: v_dual_mul_f32 v10, v10, v0
	v_mul_f32_e32 v9, v9, v0
	;;#ASMSTART
	v_med3_f32 v1, v1, v7, v11
v_med3_f32 v2, v2, v7, v11
v_cvt_pk_fp8_f32 v12, v1, v2
	;;#ASMEND
	;;#ASMSTART
	v_med3_f32 v9, v9, v7, v11
v_med3_f32 v10, v10, v7, v11
v_cvt_pk_fp8_f32 v1, v9, v10
	;;#ASMEND
	v_perm_b32 v2, v1, v12, 0x5040100
	s_load_b64 s[0:1], s[0:1], 0x0
	v_dual_mul_f32 v8, v8, v0 :: v_dual_and_b32 v1, 0xffffff00, v1
	v_mul_f32_e32 v6, v6, v0
	s_delay_alu instid0(VALU_DEP_3)
	v_lshrrev_b32_e32 v9, 16, v2
	s_add_i32 s2, s5, 3
	v_mul_f32_e32 v3, v3, v0
	s_ashr_i32 s3, s2, 31
	s_ashr_i32 s4, s6, 31
	v_and_b32_e32 v9, 0xff, v9
	s_lshr_b32 s3, s3, 30
	s_mul_hi_u32 s5, s6, s20
	s_add_i32 s2, s2, s3
	s_mul_i32 s4, s4, s20
	v_or_b32_e32 v1, v9, v1
	v_mul_f32_e32 v0, v4, v0
	;;#ASMSTART
	v_med3_f32 v8, v8, v7, v11
v_med3_f32 v6, v6, v7, v11
v_cvt_pk_fp8_f32 v4, v8, v6
	;;#ASMEND
	s_mul_i32 s3, s6, s20
	s_and_b32 s2, s2, -4
	v_lshlrev_b32_e32 v1, 16, v1
	;;#ASMSTART
	v_med3_f32 v3, v3, v7, v11
v_med3_f32 v0, v0, v7, v11
v_cvt_pk_fp8_f32 v6, v3, v0
	;;#ASMEND
	v_lshlrev_b32_e32 v3, 16, v6
	s_add_i32 s5, s5, s4
	s_waitcnt lgkmcnt(0)
	s_add_u32 s0, s0, s3
	v_and_or_b32 v0, 0xffff, v2, v1
	s_addc_u32 s1, s1, s5
	v_and_or_b32 v1, 0xffff, v4, v3
	s_and_b32 s1, s1, 0xffff
	s_mov_b32 s3, -1
	buffer_store_b64 v[0:1], v5, s[0:3], 0 offen
	;;#ASMSTART
	s_nop 0
	;;#ASMEND
.LBB65_44:
	s_nop 0
	s_sendmsg sendmsg(MSG_DEALLOC_VGPRS)
	s_endpgm
.LBB65_45:
                                        ; implicit-def: $vgpr1_vgpr2
	s_branch .LBB65_32
	.section	.rodata,"a",@progbits
	.p2align	6, 0x0
	.amdhsa_kernel _ZN5aiter24add_rmsnorm_quant_kernelIDF16_DB8_Li64ELi8ELb0ELb1ELb1ELi1EEEvPT0_PT_PfS5_S5_S5_diiiiiiib
		.amdhsa_group_segment_fixed_size 16
		.amdhsa_private_segment_fixed_size 0
		.amdhsa_kernarg_size 88
		.amdhsa_user_sgpr_count 15
		.amdhsa_user_sgpr_dispatch_ptr 0
		.amdhsa_user_sgpr_queue_ptr 0
		.amdhsa_user_sgpr_kernarg_segment_ptr 1
		.amdhsa_user_sgpr_dispatch_id 0
		.amdhsa_user_sgpr_private_segment_size 0
		.amdhsa_wavefront_size32 1
		.amdhsa_uses_dynamic_stack 0
		.amdhsa_enable_private_segment 0
		.amdhsa_system_sgpr_workgroup_id_x 1
		.amdhsa_system_sgpr_workgroup_id_y 0
		.amdhsa_system_sgpr_workgroup_id_z 0
		.amdhsa_system_sgpr_workgroup_info 0
		.amdhsa_system_vgpr_workitem_id 0
		.amdhsa_next_free_vgpr 23
		.amdhsa_next_free_sgpr 29
		.amdhsa_reserve_vcc 1
		.amdhsa_float_round_mode_32 0
		.amdhsa_float_round_mode_16_64 0
		.amdhsa_float_denorm_mode_32 3
		.amdhsa_float_denorm_mode_16_64 3
		.amdhsa_dx10_clamp 1
		.amdhsa_ieee_mode 1
		.amdhsa_fp16_overflow 0
		.amdhsa_workgroup_processor_mode 1
		.amdhsa_memory_ordered 1
		.amdhsa_forward_progress 0
		.amdhsa_shared_vgpr_count 0
		.amdhsa_exception_fp_ieee_invalid_op 0
		.amdhsa_exception_fp_denorm_src 0
		.amdhsa_exception_fp_ieee_div_zero 0
		.amdhsa_exception_fp_ieee_overflow 0
		.amdhsa_exception_fp_ieee_underflow 0
		.amdhsa_exception_fp_ieee_inexact 0
		.amdhsa_exception_int_div_zero 0
	.end_amdhsa_kernel
	.section	.text._ZN5aiter24add_rmsnorm_quant_kernelIDF16_DB8_Li64ELi8ELb0ELb1ELb1ELi1EEEvPT0_PT_PfS5_S5_S5_diiiiiiib,"axG",@progbits,_ZN5aiter24add_rmsnorm_quant_kernelIDF16_DB8_Li64ELi8ELb0ELb1ELb1ELi1EEEvPT0_PT_PfS5_S5_S5_diiiiiiib,comdat
.Lfunc_end65:
	.size	_ZN5aiter24add_rmsnorm_quant_kernelIDF16_DB8_Li64ELi8ELb0ELb1ELb1ELi1EEEvPT0_PT_PfS5_S5_S5_diiiiiiib, .Lfunc_end65-_ZN5aiter24add_rmsnorm_quant_kernelIDF16_DB8_Li64ELi8ELb0ELb1ELb1ELi1EEEvPT0_PT_PfS5_S5_S5_diiiiiiib
                                        ; -- End function
	.section	.AMDGPU.csdata,"",@progbits
; Kernel info:
; codeLenInByte = 3352
; NumSgprs: 31
; NumVgprs: 23
; ScratchSize: 0
; MemoryBound: 0
; FloatMode: 240
; IeeeMode: 1
; LDSByteSize: 16 bytes/workgroup (compile time only)
; SGPRBlocks: 3
; VGPRBlocks: 2
; NumSGPRsForWavesPerEU: 31
; NumVGPRsForWavesPerEU: 23
; Occupancy: 16
; WaveLimiterHint : 0
; COMPUTE_PGM_RSRC2:SCRATCH_EN: 0
; COMPUTE_PGM_RSRC2:USER_SGPR: 15
; COMPUTE_PGM_RSRC2:TRAP_HANDLER: 0
; COMPUTE_PGM_RSRC2:TGID_X_EN: 1
; COMPUTE_PGM_RSRC2:TGID_Y_EN: 0
; COMPUTE_PGM_RSRC2:TGID_Z_EN: 0
; COMPUTE_PGM_RSRC2:TIDIG_COMP_CNT: 0
	.section	.text._ZN5aiter24add_rmsnorm_quant_kernelItDB8_Li64ELi8ELb0ELb1ELb1ELi1EEEvPT0_PT_PfS5_S5_S5_diiiiiiib,"axG",@progbits,_ZN5aiter24add_rmsnorm_quant_kernelItDB8_Li64ELi8ELb0ELb1ELb1ELi1EEEvPT0_PT_PfS5_S5_S5_diiiiiiib,comdat
	.protected	_ZN5aiter24add_rmsnorm_quant_kernelItDB8_Li64ELi8ELb0ELb1ELb1ELi1EEEvPT0_PT_PfS5_S5_S5_diiiiiiib ; -- Begin function _ZN5aiter24add_rmsnorm_quant_kernelItDB8_Li64ELi8ELb0ELb1ELb1ELi1EEEvPT0_PT_PfS5_S5_S5_diiiiiiib
	.globl	_ZN5aiter24add_rmsnorm_quant_kernelItDB8_Li64ELi8ELb0ELb1ELb1ELi1EEEvPT0_PT_PfS5_S5_S5_diiiiiiib
	.p2align	8
	.type	_ZN5aiter24add_rmsnorm_quant_kernelItDB8_Li64ELi8ELb0ELb1ELb1ELi1EEEvPT0_PT_PfS5_S5_S5_diiiiiiib,@function
_ZN5aiter24add_rmsnorm_quant_kernelItDB8_Li64ELi8ELb0ELb1ELb1ELi1EEEvPT0_PT_PfS5_S5_S5_diiiiiiib: ; @_ZN5aiter24add_rmsnorm_quant_kernelItDB8_Li64ELi8ELb0ELb1ELb1ELi1EEEvPT0_PT_PfS5_S5_S5_diiiiiiib
; %bb.0:
	s_load_b128 s[4:7], s[0:1], 0x38
	s_mov_b32 s20, s15
	s_mov_b32 s21, 0
	s_waitcnt lgkmcnt(0)
	s_ashr_i32 s3, s4, 31
	s_mov_b32 s2, s4
	s_delay_alu instid0(SALU_CYCLE_1) | instskip(NEXT) | instid1(VALU_DEP_1)
	v_cmp_ge_i64_e64 s2, s[20:21], s[2:3]
	s_and_b32 vcc_lo, exec_lo, s2
	s_cbranch_vccnz .LBB66_44
; %bb.1:
	s_clause 0x1
	s_load_b128 s[8:11], s[0:1], 0x10
	s_load_b128 s[16:19], s[0:1], 0x28
	s_ashr_i32 s2, s6, 31
	s_mul_hi_u32 s3, s6, s20
	s_mul_i32 s7, s2, s20
	s_mul_i32 s2, s6, s20
	s_add_i32 s3, s3, s7
	v_lshlrev_b32_e32 v1, 4, v0
	s_lshl_b64 s[2:3], s[2:3], 1
	s_mov_b32 s15, -1
	v_and_b32_e32 v15, 31, v0
	s_mov_b32 s27, s15
	s_waitcnt lgkmcnt(0)
	s_add_u32 s12, s10, s2
	s_addc_u32 s2, s11, s3
	s_add_i32 s3, s5, 1
	s_and_b32 s13, s2, 0xffff
	s_lshr_b32 s6, s3, 31
	s_mov_b32 s24, s16
	s_add_i32 s3, s3, s6
	s_and_b32 s25, s17, 0xffff
	s_lshl_b32 s3, s3, 1
	v_cmp_eq_u32_e64 s2, 31, v15
	s_and_b32 s14, s3, -4
	buffer_load_b128 v[10:13], v1, s[12:15], 0 offen glc slc
	s_mov_b32 s26, s14
	s_waitcnt vmcnt(0)
	v_lshrrev_b32_e32 v5, 16, v10
	v_and_b32_e32 v6, 0xffff, v10
	v_lshrrev_b32_e32 v10, 16, v11
	v_lshrrev_b32_e32 v14, 16, v13
	s_delay_alu instid0(VALU_DEP_4) | instskip(NEXT) | instid1(VALU_DEP_4)
	v_cvt_f32_u32_e32 v7, v5
	v_cvt_f32_u32_e32 v8, v6
	s_delay_alu instid0(VALU_DEP_4) | instskip(NEXT) | instid1(VALU_DEP_4)
	v_cvt_f32_u32_e32 v10, v10
	v_cvt_f32_u32_e32 v14, v14
	s_delay_alu instid0(VALU_DEP_4) | instskip(SKIP_2) | instid1(VALU_DEP_1)
	v_mul_f32_e32 v6, v7, v7
	buffer_load_b128 v[1:4], v1, s[24:27], 0 offen
	v_dual_fmac_f32 v6, v8, v8 :: v_dual_and_b32 v5, 0xffff, v11
	v_cvt_f32_u32_e32 v9, v5
	v_and_b32_e32 v5, 0xffff, v12
	v_lshrrev_b32_e32 v12, 16, v12
	s_delay_alu instid0(VALU_DEP_3) | instskip(NEXT) | instid1(VALU_DEP_3)
	v_fmac_f32_e32 v6, v9, v9
	v_cvt_f32_u32_e32 v11, v5
	v_and_b32_e32 v5, 0xffff, v13
	s_delay_alu instid0(VALU_DEP_4) | instskip(NEXT) | instid1(VALU_DEP_4)
	v_cvt_f32_u32_e32 v12, v12
	v_fmac_f32_e32 v6, v10, v10
	s_delay_alu instid0(VALU_DEP_3) | instskip(NEXT) | instid1(VALU_DEP_2)
	v_cvt_f32_u32_e32 v13, v5
	v_fmac_f32_e32 v6, v11, v11
	s_delay_alu instid0(VALU_DEP_1) | instskip(NEXT) | instid1(VALU_DEP_1)
	v_fmac_f32_e32 v6, v12, v12
	v_fmac_f32_e32 v6, v13, v13
	s_delay_alu instid0(VALU_DEP_1) | instskip(NEXT) | instid1(VALU_DEP_1)
	v_fmac_f32_e32 v6, v14, v14
	v_mov_b32_dpp v5, v6 quad_perm:[1,0,3,2] row_mask:0xf bank_mask:0xf
	s_delay_alu instid0(VALU_DEP_1) | instskip(NEXT) | instid1(VALU_DEP_1)
	v_add_f32_e32 v5, v6, v5
	v_mov_b32_dpp v6, v5 quad_perm:[2,3,0,1] row_mask:0xf bank_mask:0xf
	s_delay_alu instid0(VALU_DEP_1) | instskip(NEXT) | instid1(VALU_DEP_1)
	v_add_f32_e32 v5, v5, v6
	v_mov_b32_dpp v6, v5 row_xmask:7 row_mask:0xf bank_mask:0xf
	s_delay_alu instid0(VALU_DEP_1) | instskip(NEXT) | instid1(VALU_DEP_1)
	v_add_f32_e32 v5, v5, v6
	v_mov_b32_dpp v6, v5 row_xmask:15 row_mask:0xf bank_mask:0xf
	s_and_saveexec_b32 s3, s2
	s_cbranch_execz .LBB66_3
; %bb.2:
	s_delay_alu instid0(VALU_DEP_1) | instskip(SKIP_2) | instid1(VALU_DEP_2)
	v_add_f32_e32 v5, v5, v6
	s_mov_b32 s6, 0x76543210
	v_lshrrev_b32_e32 v6, 3, v0
	v_permlanex16_b32 v15, v5, s6, 0xfedcba98 op_sel:[1,1]
	s_delay_alu instid0(VALU_DEP_1)
	v_dual_add_f32 v5, v5, v15 :: v_dual_and_b32 v6, 0x7c, v6
	ds_store_b32 v6, v5 offset:8
.LBB66_3:
	s_or_b32 exec_lo, exec_lo, s3
	v_and_b32_e32 v5, 1, v0
	s_waitcnt vmcnt(0) lgkmcnt(0)
	s_barrier
	buffer_gl0_inv
	v_cvt_f32_i32_e32 v16, s5
	v_lshlrev_b32_e32 v6, 2, v5
	ds_load_b32 v5, v6 offset:8
	s_clause 0x1
	s_load_b64 s[6:7], s[0:1], 0x4c
	s_load_b32 s10, s[0:1], 0x54
	s_waitcnt lgkmcnt(0)
	s_cmp_lg_u32 s7, 0
	v_mov_b32_dpp v15, v5 quad_perm:[1,0,3,2] row_mask:0xf bank_mask:0xf
	s_delay_alu instid0(VALU_DEP_1) | instskip(NEXT) | instid1(VALU_DEP_1)
	v_add_f32_e32 v5, v5, v15
	v_div_scale_f32 v15, null, v16, v16, v5
	v_div_scale_f32 v19, vcc_lo, v5, v16, v5
	s_delay_alu instid0(VALU_DEP_2) | instskip(SKIP_2) | instid1(VALU_DEP_1)
	v_rcp_f32_e32 v17, v15
	s_waitcnt_depctr 0xfff
	v_fma_f32 v18, -v15, v17, 1.0
	v_fmac_f32_e32 v17, v18, v17
	s_delay_alu instid0(VALU_DEP_1) | instskip(NEXT) | instid1(VALU_DEP_1)
	v_mul_f32_e32 v18, v19, v17
	v_fma_f32 v20, -v15, v18, v19
	s_delay_alu instid0(VALU_DEP_1) | instskip(SKIP_1) | instid1(VALU_DEP_2)
	v_fmac_f32_e32 v18, v20, v17
	v_mov_b32_e32 v20, 0x2edbe6ff
	v_fma_f32 v15, -v15, v18, v19
	s_delay_alu instid0(VALU_DEP_1)
	v_div_fmas_f32 v15, v15, v17, v18
	v_and_b32_e32 v17, 0xffff, v2
	v_lshrrev_b32_e32 v2, 16, v2
	v_and_b32_e32 v18, 0xffff, v3
	v_lshrrev_b32_e32 v3, 16, v3
	v_div_fixup_f32 v5, v15, v16, v5
	s_delay_alu instid0(VALU_DEP_4) | instskip(NEXT) | instid1(VALU_DEP_4)
	v_cvt_f32_u32_e32 v2, v2
	v_cvt_f32_u32_e32 v18, v18
	s_delay_alu instid0(VALU_DEP_4) | instskip(NEXT) | instid1(VALU_DEP_4)
	v_cvt_f32_u32_e32 v3, v3
	v_cvt_f64_f32_e32 v[15:16], v5
	s_delay_alu instid0(VALU_DEP_1) | instskip(NEXT) | instid1(VALU_DEP_1)
	v_add_f64 v[15:16], v[15:16], s[18:19]
	v_cvt_f32_f64_e32 v5, v[15:16]
	s_delay_alu instid0(VALU_DEP_1) | instskip(SKIP_1) | instid1(VALU_DEP_2)
	v_mul_f32_e32 v15, 0x4b800000, v5
	v_cmp_gt_f32_e32 vcc_lo, 0x800000, v5
	v_cndmask_b32_e32 v15, v5, v15, vcc_lo
	v_lshlrev_b32_e32 v5, 3, v0
	s_delay_alu instid0(VALU_DEP_2) | instskip(SKIP_2) | instid1(VALU_DEP_1)
	v_rsq_f32_e32 v15, v15
	s_waitcnt_depctr 0xfff
	v_mul_f32_e32 v21, 0x45800000, v15
	v_cndmask_b32_e32 v15, v15, v21, vcc_lo
	v_and_b32_e32 v16, 0xffff, v1
	v_lshrrev_b32_e32 v1, 16, v1
	s_delay_alu instid0(VALU_DEP_3) | instskip(NEXT) | instid1(VALU_DEP_3)
	v_mul_f32_e32 v7, v15, v7
	v_cvt_f32_u32_e32 v16, v16
	v_mul_f32_e32 v8, v15, v8
	v_mul_f32_e32 v21, v15, v11
	v_cvt_f32_u32_e32 v1, v1
	v_cvt_f32_u32_e32 v17, v17
	s_delay_alu instid0(VALU_DEP_3) | instskip(SKIP_4) | instid1(VALU_DEP_4)
	v_dual_mul_f32 v11, v8, v16 :: v_dual_mul_f32 v8, v21, v18
	v_dual_mul_f32 v10, v15, v10 :: v_dual_and_b32 v19, 0xffff, v4
	v_lshrrev_b32_e32 v4, 16, v4
	v_mul_f32_e32 v14, v15, v14
	v_mul_f32_e32 v22, v15, v12
	v_cvt_f32_u32_e32 v19, v19
	v_mul_f32_e32 v10, v10, v2
	v_cvt_f32_u32_e32 v4, v4
	v_mul_f32_e32 v9, v15, v9
	v_mul_f32_e32 v13, v15, v13
	v_dual_mul_f32 v12, v7, v1 :: v_dual_and_b32 v1, 0x7fffffff, v11
	s_delay_alu instid0(VALU_DEP_4) | instskip(NEXT) | instid1(VALU_DEP_4)
	v_mul_f32_e32 v4, v14, v4
	v_dual_mul_f32 v9, v9, v17 :: v_dual_and_b32 v14, 0x7fffffff, v10
	v_mul_f32_e32 v7, v22, v3
	s_delay_alu instid0(VALU_DEP_3)
	v_dual_mul_f32 v3, v13, v19 :: v_dual_and_b32 v18, 0x7fffffff, v4
	v_and_b32_e32 v2, 0x7fffffff, v12
	;;#ASMSTART
	v_max3_f32 v1, v20, v1, v2

	;;#ASMEND
	v_and_b32_e32 v13, 0x7fffffff, v9
	;;#ASMSTART
	v_max3_f32 v1, v1, v13, v14

	;;#ASMEND
	v_and_b32_e32 v15, 0x7fffffff, v8
	v_and_b32_e32 v16, 0x7fffffff, v7
	;; [unrolled: 1-line block ×3, first 2 shown]
	;;#ASMSTART
	v_max3_f32 v1, v1, v15, v16

	;;#ASMEND
	;;#ASMSTART
	v_max3_f32 v13, v1, v17, v18

	;;#ASMEND
	s_cbranch_scc0 .LBB66_10
; %bb.4:
	s_ashr_i32 s11, s7, 31
	s_delay_alu instid0(SALU_CYCLE_1) | instskip(NEXT) | instid1(SALU_CYCLE_1)
	s_lshr_b32 s3, s11, 29
	s_add_i32 s3, s7, s3
	s_delay_alu instid0(SALU_CYCLE_1) | instskip(NEXT) | instid1(SALU_CYCLE_1)
	s_ashr_i32 s3, s3, 3
	s_cmp_lt_i32 s3, 8
	s_cbranch_scc1 .LBB66_11
; %bb.5:
	s_cmp_lt_i32 s3, 16
	s_cbranch_scc1 .LBB66_12
; %bb.6:
	;; [unrolled: 3-line block ×3, first 2 shown]
	v_mov_b32_e32 v1, v13
	s_cmp_eq_u32 s3, 32
	s_cbranch_scc0 .LBB66_9
; %bb.8:
	s_delay_alu instid0(VALU_DEP_1) | instskip(SKIP_1) | instid1(VALU_DEP_1)
	v_mov_b32_dpp v1, v13 quad_perm:[1,0,3,2] row_mask:0xf bank_mask:0xf
	s_mov_b32 s12, 0x76543210
	v_cmp_gt_f32_e32 vcc_lo, v13, v1
	v_cndmask_b32_e32 v1, v1, v13, vcc_lo
	s_delay_alu instid0(VALU_DEP_1) | instskip(NEXT) | instid1(VALU_DEP_1)
	v_mov_b32_dpp v2, v1 quad_perm:[2,3,0,1] row_mask:0xf bank_mask:0xf
	v_cmp_gt_f32_e32 vcc_lo, v1, v2
	v_cndmask_b32_e32 v1, v2, v1, vcc_lo
	s_delay_alu instid0(VALU_DEP_1) | instskip(NEXT) | instid1(VALU_DEP_1)
	v_mov_b32_dpp v2, v1 row_xmask:7 row_mask:0xf bank_mask:0xf
	v_cmp_gt_f32_e32 vcc_lo, v1, v2
	v_cndmask_b32_e32 v1, v2, v1, vcc_lo
	s_delay_alu instid0(VALU_DEP_1) | instskip(NEXT) | instid1(VALU_DEP_1)
	v_mov_b32_dpp v2, v1 row_xmask:15 row_mask:0xf bank_mask:0xf
	v_cmp_gt_f32_e32 vcc_lo, v1, v2
	v_cndmask_b32_e32 v1, v2, v1, vcc_lo
	s_delay_alu instid0(VALU_DEP_1) | instskip(NEXT) | instid1(VALU_DEP_1)
	v_permlanex16_b32 v2, v1, s12, 0xfedcba98 op_sel:[1,1]
	v_cmp_gt_f32_e32 vcc_lo, v1, v2
	v_cndmask_b32_e32 v1, v2, v1, vcc_lo
.LBB66_9:
	s_mov_b32 s12, 0
	s_branch .LBB66_14
.LBB66_10:
	s_mov_b32 s3, 0
                                        ; implicit-def: $vgpr14
                                        ; implicit-def: $vgpr1_vgpr2
	s_and_b32 vcc_lo, exec_lo, s15
	s_cbranch_vccnz .LBB66_38
	s_branch .LBB66_41
.LBB66_11:
                                        ; implicit-def: $vgpr1
	s_branch .LBB66_21
.LBB66_12:
                                        ; implicit-def: $vgpr1
	s_branch .LBB66_18
.LBB66_13:
	s_mov_b32 s12, -1
                                        ; implicit-def: $vgpr1
.LBB66_14:
	s_delay_alu instid0(SALU_CYCLE_1)
	s_and_not1_b32 vcc_lo, exec_lo, s12
	s_cbranch_vccnz .LBB66_17
; %bb.15:
	v_mov_b32_e32 v1, v13
	s_cmp_eq_u32 s3, 16
	s_cbranch_scc0 .LBB66_17
; %bb.16:
	s_delay_alu instid0(VALU_DEP_1) | instskip(NEXT) | instid1(VALU_DEP_1)
	v_mov_b32_dpp v1, v13 quad_perm:[1,0,3,2] row_mask:0xf bank_mask:0xf
	v_cmp_gt_f32_e32 vcc_lo, v13, v1
	v_cndmask_b32_e32 v1, v1, v13, vcc_lo
	s_delay_alu instid0(VALU_DEP_1) | instskip(NEXT) | instid1(VALU_DEP_1)
	v_mov_b32_dpp v2, v1 quad_perm:[2,3,0,1] row_mask:0xf bank_mask:0xf
	v_cmp_gt_f32_e32 vcc_lo, v1, v2
	v_cndmask_b32_e32 v1, v2, v1, vcc_lo
	s_delay_alu instid0(VALU_DEP_1) | instskip(NEXT) | instid1(VALU_DEP_1)
	v_mov_b32_dpp v2, v1 row_half_mirror row_mask:0xf bank_mask:0xf
	v_cmp_gt_f32_e32 vcc_lo, v1, v2
	v_cndmask_b32_e32 v1, v2, v1, vcc_lo
	s_delay_alu instid0(VALU_DEP_1) | instskip(NEXT) | instid1(VALU_DEP_1)
	v_mov_b32_dpp v2, v1 row_mirror row_mask:0xf bank_mask:0xf
	v_cmp_gt_f32_e32 vcc_lo, v1, v2
	v_cndmask_b32_e32 v1, v2, v1, vcc_lo
.LBB66_17:
	s_cbranch_execnz .LBB66_20
.LBB66_18:
	v_mov_b32_e32 v1, v13
	s_cmp_eq_u32 s3, 8
	s_cbranch_scc0 .LBB66_20
; %bb.19:
	s_delay_alu instid0(VALU_DEP_1) | instskip(NEXT) | instid1(VALU_DEP_1)
	v_mov_b32_dpp v1, v13 quad_perm:[1,0,3,2] row_mask:0xf bank_mask:0xf
	v_cmp_gt_f32_e32 vcc_lo, v13, v1
	v_cndmask_b32_e32 v1, v1, v13, vcc_lo
	s_delay_alu instid0(VALU_DEP_1) | instskip(NEXT) | instid1(VALU_DEP_1)
	v_mov_b32_dpp v2, v1 quad_perm:[2,3,0,1] row_mask:0xf bank_mask:0xf
	v_cmp_gt_f32_e32 vcc_lo, v1, v2
	v_cndmask_b32_e32 v1, v2, v1, vcc_lo
	s_delay_alu instid0(VALU_DEP_1) | instskip(NEXT) | instid1(VALU_DEP_1)
	v_mov_b32_dpp v2, v1 row_half_mirror row_mask:0xf bank_mask:0xf
	v_cmp_gt_f32_e32 vcc_lo, v1, v2
	v_cndmask_b32_e32 v1, v2, v1, vcc_lo
.LBB66_20:
	s_cbranch_execnz .LBB66_28
.LBB66_21:
	s_cmp_lt_i32 s3, 4
	s_cbranch_scc1 .LBB66_24
; %bb.22:
	v_mov_b32_e32 v1, v13
	s_cmp_eq_u32 s3, 4
	s_cbranch_scc0 .LBB66_25
; %bb.23:
	s_delay_alu instid0(VALU_DEP_1) | instskip(NEXT) | instid1(VALU_DEP_1)
	v_mov_b32_dpp v1, v13 quad_perm:[1,0,3,2] row_mask:0xf bank_mask:0xf
	v_cmp_gt_f32_e32 vcc_lo, v13, v1
	v_cndmask_b32_e32 v1, v1, v13, vcc_lo
	s_delay_alu instid0(VALU_DEP_1) | instskip(NEXT) | instid1(VALU_DEP_1)
	v_mov_b32_dpp v2, v1 quad_perm:[2,3,0,1] row_mask:0xf bank_mask:0xf
	v_cmp_gt_f32_e32 vcc_lo, v1, v2
	v_cndmask_b32_e32 v1, v2, v1, vcc_lo
	s_cbranch_execz .LBB66_26
	s_branch .LBB66_28
.LBB66_24:
                                        ; implicit-def: $vgpr1
	s_branch .LBB66_26
.LBB66_25:
	s_cbranch_execnz .LBB66_28
.LBB66_26:
	v_mov_b32_e32 v1, v13
	s_cmp_lg_u32 s3, 2
	s_cbranch_scc1 .LBB66_28
; %bb.27:
	s_delay_alu instid0(VALU_DEP_1) | instskip(NEXT) | instid1(VALU_DEP_1)
	v_mov_b32_dpp v1, v13 quad_perm:[1,0,3,2] row_mask:0xf bank_mask:0xf
	v_cmp_gt_f32_e32 vcc_lo, v13, v1
	v_cndmask_b32_e32 v1, v1, v13, vcc_lo
.LBB66_28:
	v_cvt_f32_u32_e32 v2, s3
	s_sub_i32 s12, 0, s3
	s_mov_b32 s15, 0
	s_delay_alu instid0(VALU_DEP_1) | instskip(SKIP_2) | instid1(VALU_DEP_1)
	v_rcp_iflag_f32_e32 v2, v2
	s_waitcnt_depctr 0xfff
	v_mul_f32_e32 v2, 0x4f7ffffe, v2
	v_cvt_u32_f32_e32 v2, v2
	s_delay_alu instid0(VALU_DEP_1) | instskip(NEXT) | instid1(VALU_DEP_1)
	v_mul_lo_u32 v14, s12, v2
	v_mul_hi_u32 v14, v2, v14
	s_delay_alu instid0(VALU_DEP_1) | instskip(NEXT) | instid1(VALU_DEP_1)
	v_add_nc_u32_e32 v2, v2, v14
	v_mul_hi_u32 v2, v0, v2
	s_delay_alu instid0(VALU_DEP_1) | instskip(NEXT) | instid1(VALU_DEP_1)
	v_mul_lo_u32 v14, v2, s3
	v_sub_nc_u32_e32 v14, v0, v14
	s_delay_alu instid0(VALU_DEP_1) | instskip(SKIP_1) | instid1(VALU_DEP_2)
	v_subrev_nc_u32_e32 v16, s3, v14
	v_cmp_le_u32_e32 vcc_lo, s3, v14
	v_dual_cndmask_b32 v14, v14, v16 :: v_dual_add_nc_u32 v15, 1, v2
	s_delay_alu instid0(VALU_DEP_1) | instskip(NEXT) | instid1(VALU_DEP_2)
	v_cndmask_b32_e32 v2, v2, v15, vcc_lo
	v_cmp_le_u32_e32 vcc_lo, s3, v14
	s_delay_alu instid0(VALU_DEP_2) | instskip(NEXT) | instid1(VALU_DEP_1)
	v_dual_mul_f32 v14, 0x3b124925, v1 :: v_dual_add_nc_u32 v15, 1, v2
	v_cndmask_b32_e32 v15, v2, v15, vcc_lo
	v_cmp_gt_u32_e32 vcc_lo, s5, v5
	s_delay_alu instid0(VALU_DEP_2) | instskip(NEXT) | instid1(VALU_DEP_1)
	v_mul_lo_u32 v2, v15, s3
	v_sub_nc_u32_e32 v2, v0, v2
	s_delay_alu instid0(VALU_DEP_1) | instskip(NEXT) | instid1(VALU_DEP_1)
	v_cmp_eq_u32_e64 s3, 0, v2
                                        ; implicit-def: $vgpr1_vgpr2
	s_and_b32 s12, s3, vcc_lo
	s_mov_b32 s3, 0
	s_and_saveexec_b32 s13, s12
	s_delay_alu instid0(SALU_CYCLE_1)
	s_xor_b32 s14, exec_lo, s13
	s_cbranch_execz .LBB66_37
; %bb.29:
	s_bitcmp0_b32 s10, 0
	s_mov_b32 s16, 0
	s_cbranch_scc0 .LBB66_34
; %bb.30:
	s_ashr_i32 s3, s5, 31
	s_mul_hi_u32 s10, s5, s20
	s_mul_i32 s3, s3, s20
	s_mul_i32 s12, s5, s20
	s_add_i32 s13, s10, s3
	s_mov_b32 s10, s7
	s_delay_alu instid0(SALU_CYCLE_1) | instskip(NEXT) | instid1(SALU_CYCLE_1)
	s_or_b64 s[18:19], s[12:13], s[10:11]
	s_mov_b32 s17, s19
	s_delay_alu instid0(SALU_CYCLE_1)
	s_cmp_lg_u64 s[16:17], 0
	s_cbranch_scc0 .LBB66_45
; %bb.31:
	s_add_u32 s18, s10, s11
	s_mov_b32 s16, s11
	s_mov_b32 s17, s11
	s_addc_u32 s19, s11, s11
	s_delay_alu instid0(SALU_CYCLE_1) | instskip(NEXT) | instid1(SALU_CYCLE_1)
	s_xor_b64 s[18:19], s[18:19], s[16:17]
	v_cvt_f32_u32_e32 v1, s18
	v_cvt_f32_u32_e32 v2, s19
	s_sub_u32 s11, 0, s18
	s_subb_u32 s22, 0, s19
	s_delay_alu instid0(VALU_DEP_1) | instskip(NEXT) | instid1(VALU_DEP_1)
	v_fmamk_f32 v1, v2, 0x4f800000, v1
	v_rcp_f32_e32 v1, v1
	s_waitcnt_depctr 0xfff
	v_mul_f32_e32 v1, 0x5f7ffffc, v1
	s_delay_alu instid0(VALU_DEP_1) | instskip(NEXT) | instid1(VALU_DEP_1)
	v_mul_f32_e32 v2, 0x2f800000, v1
	v_trunc_f32_e32 v2, v2
	s_delay_alu instid0(VALU_DEP_1) | instskip(SKIP_1) | instid1(VALU_DEP_2)
	v_fmamk_f32 v1, v2, 0xcf800000, v1
	v_cvt_u32_f32_e32 v2, v2
	v_cvt_u32_f32_e32 v1, v1
	s_delay_alu instid0(VALU_DEP_2) | instskip(NEXT) | instid1(VALU_DEP_2)
	v_readfirstlane_b32 s3, v2
	v_readfirstlane_b32 s7, v1
	s_delay_alu instid0(VALU_DEP_2) | instskip(NEXT) | instid1(VALU_DEP_1)
	s_mul_i32 s23, s11, s3
	s_mul_hi_u32 s25, s11, s7
	s_mul_i32 s24, s22, s7
	s_add_i32 s23, s25, s23
	s_mul_i32 s26, s11, s7
	s_add_i32 s23, s23, s24
	s_mul_hi_u32 s25, s7, s26
	s_mul_hi_u32 s27, s3, s26
	s_mul_i32 s24, s3, s26
	s_mul_hi_u32 s26, s7, s23
	s_mul_i32 s7, s7, s23
	s_mul_hi_u32 s28, s3, s23
	s_add_u32 s7, s25, s7
	s_addc_u32 s25, 0, s26
	s_add_u32 s7, s7, s24
	s_mul_i32 s23, s3, s23
	s_addc_u32 s7, s25, s27
	s_addc_u32 s24, s28, 0
	s_add_u32 s7, s7, s23
	s_addc_u32 s23, 0, s24
	v_add_co_u32 v1, s7, v1, s7
	s_delay_alu instid0(VALU_DEP_1) | instskip(SKIP_1) | instid1(VALU_DEP_1)
	s_cmp_lg_u32 s7, 0
	s_addc_u32 s3, s3, s23
	v_readfirstlane_b32 s7, v1
	s_mul_i32 s23, s11, s3
	s_delay_alu instid0(VALU_DEP_1)
	s_mul_hi_u32 s24, s11, s7
	s_mul_i32 s22, s22, s7
	s_add_i32 s23, s24, s23
	s_mul_i32 s11, s11, s7
	s_add_i32 s23, s23, s22
	s_mul_hi_u32 s24, s3, s11
	s_mul_i32 s25, s3, s11
	s_mul_hi_u32 s11, s7, s11
	s_mul_hi_u32 s26, s7, s23
	s_mul_i32 s7, s7, s23
	s_mul_hi_u32 s22, s3, s23
	s_add_u32 s7, s11, s7
	s_addc_u32 s11, 0, s26
	s_add_u32 s7, s7, s25
	s_mul_i32 s23, s3, s23
	s_addc_u32 s7, s11, s24
	s_addc_u32 s11, s22, 0
	s_add_u32 s7, s7, s23
	s_addc_u32 s11, 0, s11
	v_add_co_u32 v1, s7, v1, s7
	s_delay_alu instid0(VALU_DEP_1) | instskip(SKIP_2) | instid1(VALU_DEP_1)
	s_cmp_lg_u32 s7, 0
	s_addc_u32 s3, s3, s11
	s_ashr_i32 s22, s13, 31
	v_readfirstlane_b32 s7, v1
	s_add_u32 s24, s12, s22
	s_mov_b32 s23, s22
	s_addc_u32 s25, s13, s22
	s_delay_alu instid0(SALU_CYCLE_1) | instskip(NEXT) | instid1(SALU_CYCLE_1)
	s_xor_b64 s[24:25], s[24:25], s[22:23]
	s_mul_i32 s13, s24, s3
	s_mul_hi_u32 s26, s24, s7
	s_mul_hi_u32 s11, s24, s3
	;; [unrolled: 1-line block ×3, first 2 shown]
	s_mul_i32 s7, s25, s7
	s_add_u32 s13, s26, s13
	s_addc_u32 s11, 0, s11
	s_mul_hi_u32 s27, s25, s3
	s_add_u32 s7, s13, s7
	s_mul_i32 s3, s25, s3
	s_addc_u32 s7, s11, s28
	s_addc_u32 s11, s27, 0
	s_add_u32 s7, s7, s3
	s_addc_u32 s11, 0, s11
	s_mul_i32 s27, s18, s7
	s_mul_hi_u32 s3, s18, s7
	s_mul_i32 s26, s18, s11
	v_sub_co_u32 v1, s24, s24, s27
	s_mul_i32 s13, s19, s7
	s_add_i32 s3, s3, s26
	s_delay_alu instid0(SALU_CYCLE_1) | instskip(NEXT) | instid1(VALU_DEP_1)
	s_add_i32 s3, s3, s13
	v_sub_co_u32 v2, s26, v1, s18
	s_sub_i32 s13, s25, s3
	s_cmp_lg_u32 s24, 0
	s_subb_u32 s13, s13, s19
	s_cmp_lg_u32 s26, 0
	v_cmp_le_u32_e32 vcc_lo, s18, v2
	s_subb_u32 s13, s13, 0
	s_delay_alu instid0(SALU_CYCLE_1)
	s_cmp_ge_u32 s13, s19
	v_cndmask_b32_e64 v2, 0, -1, vcc_lo
	s_cselect_b32 s26, -1, 0
	s_cmp_eq_u32 s13, s19
	s_cselect_b32 vcc_lo, -1, 0
	s_add_u32 s13, s7, 1
	v_cndmask_b32_e32 v2, s26, v2, vcc_lo
	s_addc_u32 s26, s11, 0
	s_add_u32 s27, s7, 2
	s_addc_u32 s28, s11, 0
	s_cmp_lg_u32 s24, 0
	v_cmp_le_u32_e32 vcc_lo, s18, v1
	s_subb_u32 s3, s25, s3
	v_mov_b32_e32 v16, s27
	s_cmp_ge_u32 s3, s19
	v_cndmask_b32_e64 v1, 0, -1, vcc_lo
	s_cselect_b32 s18, -1, 0
	s_cmp_eq_u32 s3, s19
	v_cmp_ne_u32_e32 vcc_lo, 0, v2
	v_mov_b32_e32 v2, s28
	s_cselect_b32 s3, -1, 0
	s_xor_b64 s[16:17], s[22:23], s[16:17]
	v_cndmask_b32_e64 v1, s18, v1, s3
	v_cndmask_b32_e32 v16, s13, v16, vcc_lo
	v_cndmask_b32_e32 v2, s26, v2, vcc_lo
	s_delay_alu instid0(VALU_DEP_3) | instskip(NEXT) | instid1(VALU_DEP_2)
	v_cmp_ne_u32_e32 vcc_lo, 0, v1
	v_cndmask_b32_e32 v1, s11, v2, vcc_lo
	s_delay_alu instid0(VALU_DEP_4) | instskip(NEXT) | instid1(VALU_DEP_2)
	v_cndmask_b32_e32 v2, s7, v16, vcc_lo
	v_xor_b32_e32 v16, s17, v1
	s_delay_alu instid0(VALU_DEP_2) | instskip(NEXT) | instid1(VALU_DEP_1)
	v_xor_b32_e32 v2, s16, v2
	v_sub_co_u32 v1, vcc_lo, v2, s16
	s_delay_alu instid0(VALU_DEP_3)
	v_subrev_co_ci_u32_e32 v2, vcc_lo, s17, v16, vcc_lo
	s_cbranch_execnz .LBB66_33
.LBB66_32:
	v_cvt_f32_u32_e32 v1, s10
	s_sub_i32 s7, 0, s10
	s_delay_alu instid0(VALU_DEP_1) | instskip(SKIP_2) | instid1(VALU_DEP_1)
	v_rcp_iflag_f32_e32 v1, v1
	s_waitcnt_depctr 0xfff
	v_mul_f32_e32 v1, 0x4f7ffffe, v1
	v_cvt_u32_f32_e32 v1, v1
	s_delay_alu instid0(VALU_DEP_1) | instskip(NEXT) | instid1(VALU_DEP_1)
	v_readfirstlane_b32 s3, v1
	s_mul_i32 s7, s7, s3
	s_delay_alu instid0(SALU_CYCLE_1) | instskip(NEXT) | instid1(SALU_CYCLE_1)
	s_mul_hi_u32 s7, s3, s7
	s_add_i32 s3, s3, s7
	s_delay_alu instid0(SALU_CYCLE_1) | instskip(NEXT) | instid1(SALU_CYCLE_1)
	s_mul_hi_u32 s3, s12, s3
	s_mul_i32 s7, s3, s10
	s_add_i32 s11, s3, 1
	s_sub_i32 s7, s12, s7
	s_delay_alu instid0(SALU_CYCLE_1)
	s_sub_i32 s12, s7, s10
	s_cmp_ge_u32 s7, s10
	s_cselect_b32 s3, s11, s3
	s_cselect_b32 s7, s12, s7
	s_add_i32 s12, s3, 1
	s_cmp_ge_u32 s7, s10
	s_mov_b32 s11, 0
	s_cselect_b32 s10, s12, s3
	s_delay_alu instid0(SALU_CYCLE_1)
	v_dual_mov_b32 v1, s10 :: v_dual_mov_b32 v2, s11
.LBB66_33:
	s_delay_alu instid0(VALU_DEP_1) | instskip(NEXT) | instid1(VALU_DEP_2)
	v_add_co_u32 v1, vcc_lo, v1, v15
	v_add_co_ci_u32_e32 v2, vcc_lo, 0, v2, vcc_lo
	s_branch .LBB66_36
.LBB66_34:
                                        ; implicit-def: $vgpr1_vgpr2
	s_cbranch_execz .LBB66_36
; %bb.35:
	v_mul_lo_u32 v1, v15, s4
	s_delay_alu instid0(VALU_DEP_1) | instskip(SKIP_1) | instid1(VALU_DEP_2)
	v_ashrrev_i32_e32 v2, 31, v1
	v_add_co_u32 v1, vcc_lo, v1, s20
	v_add_co_ci_u32_e32 v2, vcc_lo, 0, v2, vcc_lo
.LBB66_36:
	s_mov_b32 s3, exec_lo
.LBB66_37:
	s_or_b32 exec_lo, exec_lo, s14
	s_delay_alu instid0(SALU_CYCLE_1)
	s_and_b32 vcc_lo, exec_lo, s15
	s_cbranch_vccz .LBB66_41
.LBB66_38:
	v_mov_b32_dpp v1, v13 quad_perm:[1,0,3,2] row_mask:0xf bank_mask:0xf
	s_delay_alu instid0(VALU_DEP_1) | instskip(SKIP_1) | instid1(VALU_DEP_1)
	v_cmp_gt_f32_e32 vcc_lo, v13, v1
	v_cndmask_b32_e32 v1, v1, v13, vcc_lo
	v_mov_b32_dpp v2, v1 quad_perm:[2,3,0,1] row_mask:0xf bank_mask:0xf
	s_delay_alu instid0(VALU_DEP_1) | instskip(SKIP_1) | instid1(VALU_DEP_1)
	v_cmp_gt_f32_e32 vcc_lo, v1, v2
	v_cndmask_b32_e32 v1, v2, v1, vcc_lo
	v_mov_b32_dpp v2, v1 row_xmask:7 row_mask:0xf bank_mask:0xf
	s_delay_alu instid0(VALU_DEP_1) | instskip(SKIP_1) | instid1(VALU_DEP_1)
	v_cmp_gt_f32_e32 vcc_lo, v1, v2
	v_cndmask_b32_e32 v1, v2, v1, vcc_lo
	v_mov_b32_dpp v2, v1 row_xmask:15 row_mask:0xf bank_mask:0xf
	s_delay_alu instid0(VALU_DEP_1)
	v_cmp_gt_f32_e32 vcc_lo, v1, v2
	s_and_saveexec_b32 s3, s2
	s_cbranch_execz .LBB66_40
; %bb.39:
	v_cndmask_b32_e32 v1, v2, v1, vcc_lo
	v_lshrrev_b32_e32 v2, 3, v0
	s_mov_b32 s2, 0x76543210
	s_delay_alu instid0(VALU_DEP_1) | instskip(NEXT) | instid1(VALU_DEP_3)
	v_and_b32_e32 v2, 0x7c, v2
	v_permlanex16_b32 v13, v1, s2, 0xfedcba98 op_sel:[1,1]
	s_delay_alu instid0(VALU_DEP_1)
	v_cmp_gt_f32_e32 vcc_lo, v1, v13
	v_cndmask_b32_e32 v1, v13, v1, vcc_lo
	ds_store_b32 v2, v1
.LBB66_40:
	s_or_b32 exec_lo, exec_lo, s3
	s_waitcnt lgkmcnt(0)
	s_barrier
	buffer_gl0_inv
	ds_load_b32 v1, v6
	v_cmp_eq_u32_e64 s3, 0, v0
	s_waitcnt lgkmcnt(0)
	v_mov_b32_dpp v2, v1 quad_perm:[1,0,3,2] row_mask:0xf bank_mask:0xf
	s_delay_alu instid0(VALU_DEP_1) | instskip(SKIP_1) | instid1(VALU_DEP_1)
	v_cmp_gt_f32_e32 vcc_lo, v1, v2
	v_cndmask_b32_e32 v1, v2, v1, vcc_lo
	v_dual_mul_f32 v14, 0x3b124925, v1 :: v_dual_mov_b32 v1, s20
	v_mov_b32_e32 v2, s21
.LBB66_41:
	s_and_saveexec_b32 s2, s3
	s_cbranch_execz .LBB66_43
; %bb.42:
	s_delay_alu instid0(VALU_DEP_1) | instskip(NEXT) | instid1(VALU_DEP_1)
	v_lshlrev_b64 v[0:1], 2, v[1:2]
	v_add_co_u32 v0, vcc_lo, s8, v0
	s_delay_alu instid0(VALU_DEP_2)
	v_add_co_ci_u32_e32 v1, vcc_lo, s9, v1, vcc_lo
	global_store_b32 v[0:1], v14, off
.LBB66_43:
	s_or_b32 exec_lo, exec_lo, s2
	;;#ASMSTART
	v_rcp_f32 v0, v14
	;;#ASMEND
	v_dual_mul_f32 v1, v11, v0 :: v_dual_mov_b32 v6, 0xc3e00000
	v_dual_mul_f32 v2, v12, v0 :: v_dual_mov_b32 v11, 0x43e00000
	v_mul_f32_e32 v9, v9, v0
	v_mul_f32_e32 v10, v10, v0
	;;#ASMSTART
	v_med3_f32 v1, v1, v6, v11
v_med3_f32 v2, v2, v6, v11
v_cvt_pk_fp8_f32 v12, v1, v2
	;;#ASMEND
	;;#ASMSTART
	v_med3_f32 v9, v9, v6, v11
v_med3_f32 v10, v10, v6, v11
v_cvt_pk_fp8_f32 v1, v9, v10
	;;#ASMEND
	v_perm_b32 v2, v1, v12, 0x5040100
	v_and_b32_e32 v1, 0xffffff00, v1
	s_load_b64 s[0:1], s[0:1], 0x0
	v_mul_f32_e32 v8, v8, v0
	s_add_i32 s2, s5, 3
	v_lshrrev_b32_e32 v9, 16, v2
	s_ashr_i32 s3, s2, 31
	v_mul_f32_e32 v7, v7, v0
	v_mul_f32_e32 v3, v3, v0
	s_ashr_i32 s4, s6, 31
	v_and_b32_e32 v9, 0xff, v9
	s_lshr_b32 s3, s3, 30
	s_mul_hi_u32 s5, s6, s20
	s_add_i32 s2, s2, s3
	s_mul_i32 s4, s4, s20
	v_or_b32_e32 v1, v9, v1
	v_mul_f32_e32 v0, v4, v0
	;;#ASMSTART
	v_med3_f32 v8, v8, v6, v11
v_med3_f32 v7, v7, v6, v11
v_cvt_pk_fp8_f32 v4, v8, v7
	;;#ASMEND
	s_mul_i32 s3, s6, s20
	s_and_b32 s2, s2, -4
	v_lshlrev_b32_e32 v1, 16, v1
	;;#ASMSTART
	v_med3_f32 v3, v3, v6, v11
v_med3_f32 v0, v0, v6, v11
v_cvt_pk_fp8_f32 v6, v3, v0
	;;#ASMEND
	v_lshlrev_b32_e32 v3, 16, v6
	s_add_i32 s5, s5, s4
	s_waitcnt lgkmcnt(0)
	s_add_u32 s0, s0, s3
	v_and_or_b32 v0, 0xffff, v2, v1
	s_addc_u32 s1, s1, s5
	v_and_or_b32 v1, 0xffff, v4, v3
	s_and_b32 s1, s1, 0xffff
	s_mov_b32 s3, -1
	buffer_store_b64 v[0:1], v5, s[0:3], 0 offen
	;;#ASMSTART
	s_nop 0
	;;#ASMEND
.LBB66_44:
	s_nop 0
	s_sendmsg sendmsg(MSG_DEALLOC_VGPRS)
	s_endpgm
.LBB66_45:
                                        ; implicit-def: $vgpr1_vgpr2
	s_branch .LBB66_32
	.section	.rodata,"a",@progbits
	.p2align	6, 0x0
	.amdhsa_kernel _ZN5aiter24add_rmsnorm_quant_kernelItDB8_Li64ELi8ELb0ELb1ELb1ELi1EEEvPT0_PT_PfS5_S5_S5_diiiiiiib
		.amdhsa_group_segment_fixed_size 16
		.amdhsa_private_segment_fixed_size 0
		.amdhsa_kernarg_size 88
		.amdhsa_user_sgpr_count 15
		.amdhsa_user_sgpr_dispatch_ptr 0
		.amdhsa_user_sgpr_queue_ptr 0
		.amdhsa_user_sgpr_kernarg_segment_ptr 1
		.amdhsa_user_sgpr_dispatch_id 0
		.amdhsa_user_sgpr_private_segment_size 0
		.amdhsa_wavefront_size32 1
		.amdhsa_uses_dynamic_stack 0
		.amdhsa_enable_private_segment 0
		.amdhsa_system_sgpr_workgroup_id_x 1
		.amdhsa_system_sgpr_workgroup_id_y 0
		.amdhsa_system_sgpr_workgroup_id_z 0
		.amdhsa_system_sgpr_workgroup_info 0
		.amdhsa_system_vgpr_workitem_id 0
		.amdhsa_next_free_vgpr 23
		.amdhsa_next_free_sgpr 29
		.amdhsa_reserve_vcc 1
		.amdhsa_float_round_mode_32 0
		.amdhsa_float_round_mode_16_64 0
		.amdhsa_float_denorm_mode_32 3
		.amdhsa_float_denorm_mode_16_64 3
		.amdhsa_dx10_clamp 1
		.amdhsa_ieee_mode 1
		.amdhsa_fp16_overflow 0
		.amdhsa_workgroup_processor_mode 1
		.amdhsa_memory_ordered 1
		.amdhsa_forward_progress 0
		.amdhsa_shared_vgpr_count 0
		.amdhsa_exception_fp_ieee_invalid_op 0
		.amdhsa_exception_fp_denorm_src 0
		.amdhsa_exception_fp_ieee_div_zero 0
		.amdhsa_exception_fp_ieee_overflow 0
		.amdhsa_exception_fp_ieee_underflow 0
		.amdhsa_exception_fp_ieee_inexact 0
		.amdhsa_exception_int_div_zero 0
	.end_amdhsa_kernel
	.section	.text._ZN5aiter24add_rmsnorm_quant_kernelItDB8_Li64ELi8ELb0ELb1ELb1ELi1EEEvPT0_PT_PfS5_S5_S5_diiiiiiib,"axG",@progbits,_ZN5aiter24add_rmsnorm_quant_kernelItDB8_Li64ELi8ELb0ELb1ELb1ELi1EEEvPT0_PT_PfS5_S5_S5_diiiiiiib,comdat
.Lfunc_end66:
	.size	_ZN5aiter24add_rmsnorm_quant_kernelItDB8_Li64ELi8ELb0ELb1ELb1ELi1EEEvPT0_PT_PfS5_S5_S5_diiiiiiib, .Lfunc_end66-_ZN5aiter24add_rmsnorm_quant_kernelItDB8_Li64ELi8ELb0ELb1ELb1ELi1EEEvPT0_PT_PfS5_S5_S5_diiiiiiib
                                        ; -- End function
	.section	.AMDGPU.csdata,"",@progbits
; Kernel info:
; codeLenInByte = 3388
; NumSgprs: 31
; NumVgprs: 23
; ScratchSize: 0
; MemoryBound: 0
; FloatMode: 240
; IeeeMode: 1
; LDSByteSize: 16 bytes/workgroup (compile time only)
; SGPRBlocks: 3
; VGPRBlocks: 2
; NumSGPRsForWavesPerEU: 31
; NumVGPRsForWavesPerEU: 23
; Occupancy: 16
; WaveLimiterHint : 0
; COMPUTE_PGM_RSRC2:SCRATCH_EN: 0
; COMPUTE_PGM_RSRC2:USER_SGPR: 15
; COMPUTE_PGM_RSRC2:TRAP_HANDLER: 0
; COMPUTE_PGM_RSRC2:TGID_X_EN: 1
; COMPUTE_PGM_RSRC2:TGID_Y_EN: 0
; COMPUTE_PGM_RSRC2:TGID_Z_EN: 0
; COMPUTE_PGM_RSRC2:TIDIG_COMP_CNT: 0
	.section	.text._ZN5aiter24add_rmsnorm_quant_kernelIDF16_DB8_Li64ELi8ELb0ELb1ELb0ELi1EEEvPT0_PT_PfS5_S5_S5_diiiiiiib,"axG",@progbits,_ZN5aiter24add_rmsnorm_quant_kernelIDF16_DB8_Li64ELi8ELb0ELb1ELb0ELi1EEEvPT0_PT_PfS5_S5_S5_diiiiiiib,comdat
	.protected	_ZN5aiter24add_rmsnorm_quant_kernelIDF16_DB8_Li64ELi8ELb0ELb1ELb0ELi1EEEvPT0_PT_PfS5_S5_S5_diiiiiiib ; -- Begin function _ZN5aiter24add_rmsnorm_quant_kernelIDF16_DB8_Li64ELi8ELb0ELb1ELb0ELi1EEEvPT0_PT_PfS5_S5_S5_diiiiiiib
	.globl	_ZN5aiter24add_rmsnorm_quant_kernelIDF16_DB8_Li64ELi8ELb0ELb1ELb0ELi1EEEvPT0_PT_PfS5_S5_S5_diiiiiiib
	.p2align	8
	.type	_ZN5aiter24add_rmsnorm_quant_kernelIDF16_DB8_Li64ELi8ELb0ELb1ELb0ELi1EEEvPT0_PT_PfS5_S5_S5_diiiiiiib,@function
_ZN5aiter24add_rmsnorm_quant_kernelIDF16_DB8_Li64ELi8ELb0ELb1ELb0ELi1EEEvPT0_PT_PfS5_S5_S5_diiiiiiib: ; @_ZN5aiter24add_rmsnorm_quant_kernelIDF16_DB8_Li64ELi8ELb0ELb1ELb0ELi1EEEvPT0_PT_PfS5_S5_S5_diiiiiiib
; %bb.0:
	s_load_b128 s[4:7], s[0:1], 0x38
	s_mov_b32 s20, s15
	s_mov_b32 s21, 0
	s_waitcnt lgkmcnt(0)
	s_ashr_i32 s3, s4, 31
	s_mov_b32 s2, s4
	s_delay_alu instid0(SALU_CYCLE_1) | instskip(NEXT) | instid1(VALU_DEP_1)
	v_cmp_ge_i64_e64 s2, s[20:21], s[2:3]
	s_and_b32 vcc_lo, exec_lo, s2
	s_cbranch_vccnz .LBB67_44
; %bb.1:
	s_clause 0x1
	s_load_b128 s[8:11], s[0:1], 0x10
	s_load_b128 s[16:19], s[0:1], 0x28
	s_ashr_i32 s2, s6, 31
	s_mul_hi_u32 s3, s6, s20
	s_mul_i32 s7, s2, s20
	s_mul_i32 s2, s6, s20
	s_add_i32 s3, s3, s7
	v_lshlrev_b32_e32 v1, 4, v0
	s_lshl_b64 s[2:3], s[2:3], 1
	s_mov_b32 s15, -1
	v_and_b32_e32 v15, 31, v0
	s_mov_b32 s27, s15
	s_waitcnt lgkmcnt(0)
	s_add_u32 s12, s10, s2
	s_addc_u32 s2, s11, s3
	s_add_i32 s3, s5, 1
	s_and_b32 s13, s2, 0xffff
	s_lshr_b32 s6, s3, 31
	s_mov_b32 s24, s16
	s_add_i32 s3, s3, s6
	s_and_b32 s25, s17, 0xffff
	s_lshl_b32 s3, s3, 1
	v_cmp_eq_u32_e64 s2, 31, v15
	s_and_b32 s14, s3, -4
	buffer_load_b128 v[9:12], v1, s[12:15], 0 offen glc slc
	s_mov_b32 s26, s14
	buffer_load_b128 v[1:4], v1, s[24:27], 0 offen
	s_waitcnt vmcnt(1)
	v_lshrrev_b32_e32 v5, 16, v9
	v_lshrrev_b32_e32 v13, 16, v10
	;; [unrolled: 1-line block ×4, first 2 shown]
	v_cvt_f32_f16_e32 v8, v10
	v_cvt_f32_f16_e32 v6, v5
	;; [unrolled: 1-line block ×4, first 2 shown]
	s_delay_alu instid0(VALU_DEP_3) | instskip(NEXT) | instid1(VALU_DEP_1)
	v_mul_f32_e32 v5, v6, v6
	v_fma_mix_f32 v5, v9, v9, v5 op_sel_hi:[1,1,0]
	v_cvt_f32_f16_e32 v9, v9
	s_delay_alu instid0(VALU_DEP_2) | instskip(NEXT) | instid1(VALU_DEP_1)
	v_fma_mix_f32 v5, v10, v10, v5 op_sel_hi:[1,1,0]
	v_fma_mix_f32 v5, v10, v10, v5 op_sel:[1,1,0] op_sel_hi:[1,1,0]
	v_cvt_f32_f16_e32 v10, v11
	s_delay_alu instid0(VALU_DEP_2) | instskip(NEXT) | instid1(VALU_DEP_1)
	v_fma_mix_f32 v5, v11, v11, v5 op_sel_hi:[1,1,0]
	v_fma_mix_f32 v5, v11, v11, v5 op_sel:[1,1,0] op_sel_hi:[1,1,0]
	;; [unrolled: 4-line block ×3, first 2 shown]
	v_cvt_f32_f16_e32 v12, v17
	s_delay_alu instid0(VALU_DEP_2) | instskip(NEXT) | instid1(VALU_DEP_1)
	v_mov_b32_dpp v7, v5 quad_perm:[1,0,3,2] row_mask:0xf bank_mask:0xf
	v_add_f32_e32 v5, v5, v7
	s_delay_alu instid0(VALU_DEP_1) | instskip(NEXT) | instid1(VALU_DEP_1)
	v_mov_b32_dpp v7, v5 quad_perm:[2,3,0,1] row_mask:0xf bank_mask:0xf
	v_add_f32_e32 v5, v5, v7
	s_delay_alu instid0(VALU_DEP_1) | instskip(NEXT) | instid1(VALU_DEP_1)
	v_mov_b32_dpp v7, v5 row_xmask:7 row_mask:0xf bank_mask:0xf
	v_add_f32_e32 v5, v5, v7
	s_delay_alu instid0(VALU_DEP_1)
	v_mov_b32_dpp v7, v5 row_xmask:15 row_mask:0xf bank_mask:0xf
	s_and_saveexec_b32 s3, s2
	s_cbranch_execz .LBB67_3
; %bb.2:
	s_delay_alu instid0(VALU_DEP_1) | instskip(SKIP_2) | instid1(VALU_DEP_2)
	v_add_f32_e32 v5, v5, v7
	s_mov_b32 s6, 0x76543210
	v_lshrrev_b32_e32 v7, 3, v0
	v_permlanex16_b32 v15, v5, s6, 0xfedcba98 op_sel:[1,1]
	s_delay_alu instid0(VALU_DEP_2) | instskip(NEXT) | instid1(VALU_DEP_2)
	v_and_b32_e32 v7, 0x7c, v7
	v_add_f32_e32 v5, v5, v15
	ds_store_b32 v7, v5 offset:8
.LBB67_3:
	s_or_b32 exec_lo, exec_lo, s3
	v_and_b32_e32 v5, 1, v0
	s_waitcnt vmcnt(0) lgkmcnt(0)
	s_barrier
	buffer_gl0_inv
	v_cvt_f32_i32_e32 v16, s5
	v_lshlrev_b32_e32 v7, 2, v5
	ds_load_b32 v5, v7 offset:8
	s_clause 0x1
	s_load_b64 s[6:7], s[0:1], 0x4c
	s_load_b32 s10, s[0:1], 0x54
	s_waitcnt lgkmcnt(0)
	s_cmp_lg_u32 s7, 0
	v_mov_b32_dpp v15, v5 quad_perm:[1,0,3,2] row_mask:0xf bank_mask:0xf
	s_delay_alu instid0(VALU_DEP_1) | instskip(NEXT) | instid1(VALU_DEP_1)
	v_add_f32_e32 v5, v5, v15
	v_div_scale_f32 v15, null, v16, v16, v5
	v_div_scale_f32 v19, vcc_lo, v5, v16, v5
	s_delay_alu instid0(VALU_DEP_2) | instskip(SKIP_2) | instid1(VALU_DEP_1)
	v_rcp_f32_e32 v17, v15
	s_waitcnt_depctr 0xfff
	v_fma_f32 v18, -v15, v17, 1.0
	v_fmac_f32_e32 v17, v18, v17
	s_delay_alu instid0(VALU_DEP_1) | instskip(NEXT) | instid1(VALU_DEP_1)
	v_mul_f32_e32 v18, v19, v17
	v_fma_f32 v20, -v15, v18, v19
	s_delay_alu instid0(VALU_DEP_1) | instskip(SKIP_2) | instid1(VALU_DEP_3)
	v_fmac_f32_e32 v18, v20, v17
	v_cvt_f32_f16_e32 v20, v4
	v_lshrrev_b32_e32 v4, 16, v4
	v_fma_f32 v15, -v15, v18, v19
	s_delay_alu instid0(VALU_DEP_2) | instskip(NEXT) | instid1(VALU_DEP_2)
	v_cvt_f32_f16_e32 v4, v4
	v_div_fmas_f32 v15, v15, v17, v18
	v_cvt_f32_f16_e32 v17, v2
	v_lshrrev_b32_e32 v2, 16, v2
	v_cvt_f32_f16_e32 v18, v3
	v_lshrrev_b32_e32 v3, 16, v3
	v_div_fixup_f32 v5, v15, v16, v5
	s_delay_alu instid0(VALU_DEP_4) | instskip(NEXT) | instid1(VALU_DEP_3)
	v_cvt_f32_f16_e32 v2, v2
	v_cvt_f32_f16_e32 v3, v3
	s_delay_alu instid0(VALU_DEP_3) | instskip(NEXT) | instid1(VALU_DEP_1)
	v_cvt_f64_f32_e32 v[15:16], v5
	v_add_f64 v[15:16], v[15:16], s[18:19]
	s_delay_alu instid0(VALU_DEP_1) | instskip(SKIP_2) | instid1(VALU_DEP_1)
	v_cvt_f32_f64_e32 v5, v[15:16]
	v_cvt_f32_f16_e32 v16, v1
	v_lshrrev_b32_e32 v1, 16, v1
	v_cvt_f32_f16_e32 v1, v1
	s_delay_alu instid0(VALU_DEP_4) | instskip(SKIP_1) | instid1(VALU_DEP_2)
	v_mul_f32_e32 v15, 0x4b800000, v5
	v_cmp_gt_f32_e32 vcc_lo, 0x800000, v5
	v_cndmask_b32_e32 v5, v5, v15, vcc_lo
	s_delay_alu instid0(VALU_DEP_1) | instskip(SKIP_2) | instid1(VALU_DEP_1)
	v_rsq_f32_e32 v15, v5
	s_waitcnt_depctr 0xfff
	v_mul_f32_e32 v19, 0x45800000, v15
	v_cndmask_b32_e32 v15, v15, v19, vcc_lo
	s_delay_alu instid0(VALU_DEP_1) | instskip(SKIP_4) | instid1(VALU_DEP_4)
	v_dual_mul_f32 v22, v15, v11 :: v_dual_lshlrev_b32 v5, 3, v0
	v_mul_f32_e32 v14, v15, v14
	v_mul_f32_e32 v19, v15, v10
	;; [unrolled: 1-line block ×3, first 2 shown]
	v_dual_mul_f32 v8, v15, v8 :: v_dual_mov_b32 v21, 0x2edbe6ff
	v_dual_mul_f32 v10, v14, v2 :: v_dual_mul_f32 v13, v15, v13
	s_delay_alu instid0(VALU_DEP_1) | instskip(NEXT) | instid1(VALU_DEP_4)
	v_dual_mul_f32 v9, v15, v9 :: v_dual_and_b32 v14, 0x7fffffff, v10
	v_dual_mul_f32 v15, v15, v12 :: v_dual_mul_f32 v12, v6, v1
	s_delay_alu instid0(VALU_DEP_3) | instskip(NEXT) | instid1(VALU_DEP_3)
	v_dual_mul_f32 v6, v13, v3 :: v_dual_mul_f32 v3, v22, v20
	v_mul_f32_e32 v11, v9, v16
	s_delay_alu instid0(VALU_DEP_3) | instskip(NEXT) | instid1(VALU_DEP_3)
	v_and_b32_e32 v2, 0x7fffffff, v12
	v_dual_mul_f32 v9, v8, v17 :: v_dual_and_b32 v16, 0x7fffffff, v6
	v_mul_f32_e32 v4, v15, v4
	s_delay_alu instid0(VALU_DEP_4) | instskip(SKIP_1) | instid1(VALU_DEP_3)
	v_dual_mul_f32 v8, v19, v18 :: v_dual_and_b32 v1, 0x7fffffff, v11
	;;#ASMSTART
	v_max3_f32 v1, v21, v1, v2

	;;#ASMEND
	v_and_b32_e32 v13, 0x7fffffff, v9
	;;#ASMSTART
	v_max3_f32 v1, v1, v13, v14

	;;#ASMEND
	s_delay_alu instid0(VALU_DEP_2)
	v_and_b32_e32 v15, 0x7fffffff, v8
	v_and_b32_e32 v17, 0x7fffffff, v3
	;; [unrolled: 1-line block ×3, first 2 shown]
	;;#ASMSTART
	v_max3_f32 v1, v1, v15, v16

	;;#ASMEND
	;;#ASMSTART
	v_max3_f32 v13, v1, v17, v18

	;;#ASMEND
	s_cbranch_scc0 .LBB67_10
; %bb.4:
	s_ashr_i32 s11, s7, 31
	s_delay_alu instid0(SALU_CYCLE_1) | instskip(NEXT) | instid1(SALU_CYCLE_1)
	s_lshr_b32 s3, s11, 29
	s_add_i32 s3, s7, s3
	s_delay_alu instid0(SALU_CYCLE_1) | instskip(NEXT) | instid1(SALU_CYCLE_1)
	s_ashr_i32 s3, s3, 3
	s_cmp_lt_i32 s3, 8
	s_cbranch_scc1 .LBB67_11
; %bb.5:
	s_cmp_lt_i32 s3, 16
	s_cbranch_scc1 .LBB67_12
; %bb.6:
	s_cmp_lt_i32 s3, 32
	s_cbranch_scc1 .LBB67_13
; %bb.7:
	v_mov_b32_e32 v1, v13
	s_cmp_eq_u32 s3, 32
	s_cbranch_scc0 .LBB67_9
; %bb.8:
	s_delay_alu instid0(VALU_DEP_1) | instskip(SKIP_1) | instid1(VALU_DEP_1)
	v_mov_b32_dpp v1, v13 quad_perm:[1,0,3,2] row_mask:0xf bank_mask:0xf
	s_mov_b32 s12, 0x76543210
	v_cmp_gt_f32_e32 vcc_lo, v13, v1
	v_cndmask_b32_e32 v1, v1, v13, vcc_lo
	s_delay_alu instid0(VALU_DEP_1) | instskip(NEXT) | instid1(VALU_DEP_1)
	v_mov_b32_dpp v2, v1 quad_perm:[2,3,0,1] row_mask:0xf bank_mask:0xf
	v_cmp_gt_f32_e32 vcc_lo, v1, v2
	v_cndmask_b32_e32 v1, v2, v1, vcc_lo
	s_delay_alu instid0(VALU_DEP_1) | instskip(NEXT) | instid1(VALU_DEP_1)
	v_mov_b32_dpp v2, v1 row_xmask:7 row_mask:0xf bank_mask:0xf
	v_cmp_gt_f32_e32 vcc_lo, v1, v2
	v_cndmask_b32_e32 v1, v2, v1, vcc_lo
	s_delay_alu instid0(VALU_DEP_1) | instskip(NEXT) | instid1(VALU_DEP_1)
	v_mov_b32_dpp v2, v1 row_xmask:15 row_mask:0xf bank_mask:0xf
	v_cmp_gt_f32_e32 vcc_lo, v1, v2
	v_cndmask_b32_e32 v1, v2, v1, vcc_lo
	s_delay_alu instid0(VALU_DEP_1) | instskip(NEXT) | instid1(VALU_DEP_1)
	v_permlanex16_b32 v2, v1, s12, 0xfedcba98 op_sel:[1,1]
	v_cmp_gt_f32_e32 vcc_lo, v1, v2
	v_cndmask_b32_e32 v1, v2, v1, vcc_lo
.LBB67_9:
	s_mov_b32 s12, 0
	s_branch .LBB67_14
.LBB67_10:
	s_mov_b32 s3, 0
                                        ; implicit-def: $vgpr14
                                        ; implicit-def: $vgpr1_vgpr2
	s_and_b32 vcc_lo, exec_lo, s15
	s_cbranch_vccnz .LBB67_38
	s_branch .LBB67_41
.LBB67_11:
                                        ; implicit-def: $vgpr1
	s_branch .LBB67_21
.LBB67_12:
                                        ; implicit-def: $vgpr1
	s_branch .LBB67_18
.LBB67_13:
	s_mov_b32 s12, -1
                                        ; implicit-def: $vgpr1
.LBB67_14:
	s_delay_alu instid0(SALU_CYCLE_1)
	s_and_not1_b32 vcc_lo, exec_lo, s12
	s_cbranch_vccnz .LBB67_17
; %bb.15:
	v_mov_b32_e32 v1, v13
	s_cmp_eq_u32 s3, 16
	s_cbranch_scc0 .LBB67_17
; %bb.16:
	s_delay_alu instid0(VALU_DEP_1) | instskip(NEXT) | instid1(VALU_DEP_1)
	v_mov_b32_dpp v1, v13 quad_perm:[1,0,3,2] row_mask:0xf bank_mask:0xf
	v_cmp_gt_f32_e32 vcc_lo, v13, v1
	v_cndmask_b32_e32 v1, v1, v13, vcc_lo
	s_delay_alu instid0(VALU_DEP_1) | instskip(NEXT) | instid1(VALU_DEP_1)
	v_mov_b32_dpp v2, v1 quad_perm:[2,3,0,1] row_mask:0xf bank_mask:0xf
	v_cmp_gt_f32_e32 vcc_lo, v1, v2
	v_cndmask_b32_e32 v1, v2, v1, vcc_lo
	s_delay_alu instid0(VALU_DEP_1) | instskip(NEXT) | instid1(VALU_DEP_1)
	v_mov_b32_dpp v2, v1 row_half_mirror row_mask:0xf bank_mask:0xf
	v_cmp_gt_f32_e32 vcc_lo, v1, v2
	v_cndmask_b32_e32 v1, v2, v1, vcc_lo
	s_delay_alu instid0(VALU_DEP_1) | instskip(NEXT) | instid1(VALU_DEP_1)
	v_mov_b32_dpp v2, v1 row_mirror row_mask:0xf bank_mask:0xf
	v_cmp_gt_f32_e32 vcc_lo, v1, v2
	v_cndmask_b32_e32 v1, v2, v1, vcc_lo
.LBB67_17:
	s_cbranch_execnz .LBB67_20
.LBB67_18:
	v_mov_b32_e32 v1, v13
	s_cmp_eq_u32 s3, 8
	s_cbranch_scc0 .LBB67_20
; %bb.19:
	s_delay_alu instid0(VALU_DEP_1) | instskip(NEXT) | instid1(VALU_DEP_1)
	v_mov_b32_dpp v1, v13 quad_perm:[1,0,3,2] row_mask:0xf bank_mask:0xf
	v_cmp_gt_f32_e32 vcc_lo, v13, v1
	v_cndmask_b32_e32 v1, v1, v13, vcc_lo
	s_delay_alu instid0(VALU_DEP_1) | instskip(NEXT) | instid1(VALU_DEP_1)
	v_mov_b32_dpp v2, v1 quad_perm:[2,3,0,1] row_mask:0xf bank_mask:0xf
	v_cmp_gt_f32_e32 vcc_lo, v1, v2
	v_cndmask_b32_e32 v1, v2, v1, vcc_lo
	s_delay_alu instid0(VALU_DEP_1) | instskip(NEXT) | instid1(VALU_DEP_1)
	v_mov_b32_dpp v2, v1 row_half_mirror row_mask:0xf bank_mask:0xf
	v_cmp_gt_f32_e32 vcc_lo, v1, v2
	v_cndmask_b32_e32 v1, v2, v1, vcc_lo
.LBB67_20:
	s_cbranch_execnz .LBB67_28
.LBB67_21:
	s_cmp_lt_i32 s3, 4
	s_cbranch_scc1 .LBB67_24
; %bb.22:
	v_mov_b32_e32 v1, v13
	s_cmp_eq_u32 s3, 4
	s_cbranch_scc0 .LBB67_25
; %bb.23:
	s_delay_alu instid0(VALU_DEP_1) | instskip(NEXT) | instid1(VALU_DEP_1)
	v_mov_b32_dpp v1, v13 quad_perm:[1,0,3,2] row_mask:0xf bank_mask:0xf
	v_cmp_gt_f32_e32 vcc_lo, v13, v1
	v_cndmask_b32_e32 v1, v1, v13, vcc_lo
	s_delay_alu instid0(VALU_DEP_1) | instskip(NEXT) | instid1(VALU_DEP_1)
	v_mov_b32_dpp v2, v1 quad_perm:[2,3,0,1] row_mask:0xf bank_mask:0xf
	v_cmp_gt_f32_e32 vcc_lo, v1, v2
	v_cndmask_b32_e32 v1, v2, v1, vcc_lo
	s_cbranch_execz .LBB67_26
	s_branch .LBB67_28
.LBB67_24:
                                        ; implicit-def: $vgpr1
	s_branch .LBB67_26
.LBB67_25:
	s_cbranch_execnz .LBB67_28
.LBB67_26:
	v_mov_b32_e32 v1, v13
	s_cmp_lg_u32 s3, 2
	s_cbranch_scc1 .LBB67_28
; %bb.27:
	s_delay_alu instid0(VALU_DEP_1) | instskip(NEXT) | instid1(VALU_DEP_1)
	v_mov_b32_dpp v1, v13 quad_perm:[1,0,3,2] row_mask:0xf bank_mask:0xf
	v_cmp_gt_f32_e32 vcc_lo, v13, v1
	v_cndmask_b32_e32 v1, v1, v13, vcc_lo
.LBB67_28:
	v_cvt_f32_u32_e32 v2, s3
	s_sub_i32 s12, 0, s3
	s_mov_b32 s15, 0
	s_delay_alu instid0(VALU_DEP_1) | instskip(SKIP_2) | instid1(VALU_DEP_1)
	v_rcp_iflag_f32_e32 v2, v2
	s_waitcnt_depctr 0xfff
	v_mul_f32_e32 v2, 0x4f7ffffe, v2
	v_cvt_u32_f32_e32 v2, v2
	s_delay_alu instid0(VALU_DEP_1) | instskip(NEXT) | instid1(VALU_DEP_1)
	v_mul_lo_u32 v14, s12, v2
	v_mul_hi_u32 v14, v2, v14
	s_delay_alu instid0(VALU_DEP_1) | instskip(NEXT) | instid1(VALU_DEP_1)
	v_add_nc_u32_e32 v2, v2, v14
	v_mul_hi_u32 v2, v0, v2
	s_delay_alu instid0(VALU_DEP_1) | instskip(NEXT) | instid1(VALU_DEP_1)
	v_mul_lo_u32 v14, v2, s3
	v_sub_nc_u32_e32 v14, v0, v14
	s_delay_alu instid0(VALU_DEP_1) | instskip(SKIP_1) | instid1(VALU_DEP_2)
	v_subrev_nc_u32_e32 v16, s3, v14
	v_cmp_le_u32_e32 vcc_lo, s3, v14
	v_dual_cndmask_b32 v14, v14, v16 :: v_dual_add_nc_u32 v15, 1, v2
	s_delay_alu instid0(VALU_DEP_1) | instskip(NEXT) | instid1(VALU_DEP_2)
	v_cndmask_b32_e32 v2, v2, v15, vcc_lo
	v_cmp_le_u32_e32 vcc_lo, s3, v14
	s_delay_alu instid0(VALU_DEP_2) | instskip(NEXT) | instid1(VALU_DEP_1)
	v_dual_mul_f32 v14, 0x3b124925, v1 :: v_dual_add_nc_u32 v15, 1, v2
	v_cndmask_b32_e32 v15, v2, v15, vcc_lo
	v_cmp_gt_u32_e32 vcc_lo, s5, v5
	s_delay_alu instid0(VALU_DEP_2) | instskip(NEXT) | instid1(VALU_DEP_1)
	v_mul_lo_u32 v2, v15, s3
	v_sub_nc_u32_e32 v2, v0, v2
	s_delay_alu instid0(VALU_DEP_1) | instskip(NEXT) | instid1(VALU_DEP_1)
	v_cmp_eq_u32_e64 s3, 0, v2
                                        ; implicit-def: $vgpr1_vgpr2
	s_and_b32 s12, s3, vcc_lo
	s_mov_b32 s3, 0
	s_and_saveexec_b32 s13, s12
	s_delay_alu instid0(SALU_CYCLE_1)
	s_xor_b32 s14, exec_lo, s13
	s_cbranch_execz .LBB67_37
; %bb.29:
	s_bitcmp0_b32 s10, 0
	s_mov_b32 s16, 0
	s_cbranch_scc0 .LBB67_34
; %bb.30:
	s_ashr_i32 s3, s5, 31
	s_mul_hi_u32 s10, s5, s20
	s_mul_i32 s3, s3, s20
	s_mul_i32 s12, s5, s20
	s_add_i32 s13, s10, s3
	s_mov_b32 s10, s7
	s_delay_alu instid0(SALU_CYCLE_1) | instskip(NEXT) | instid1(SALU_CYCLE_1)
	s_or_b64 s[18:19], s[12:13], s[10:11]
	s_mov_b32 s17, s19
	s_delay_alu instid0(SALU_CYCLE_1)
	s_cmp_lg_u64 s[16:17], 0
	s_cbranch_scc0 .LBB67_45
; %bb.31:
	s_add_u32 s18, s10, s11
	s_mov_b32 s16, s11
	s_mov_b32 s17, s11
	s_addc_u32 s19, s11, s11
	s_delay_alu instid0(SALU_CYCLE_1) | instskip(NEXT) | instid1(SALU_CYCLE_1)
	s_xor_b64 s[18:19], s[18:19], s[16:17]
	v_cvt_f32_u32_e32 v1, s18
	v_cvt_f32_u32_e32 v2, s19
	s_sub_u32 s11, 0, s18
	s_subb_u32 s22, 0, s19
	s_delay_alu instid0(VALU_DEP_1) | instskip(NEXT) | instid1(VALU_DEP_1)
	v_fmamk_f32 v1, v2, 0x4f800000, v1
	v_rcp_f32_e32 v1, v1
	s_waitcnt_depctr 0xfff
	v_mul_f32_e32 v1, 0x5f7ffffc, v1
	s_delay_alu instid0(VALU_DEP_1) | instskip(NEXT) | instid1(VALU_DEP_1)
	v_mul_f32_e32 v2, 0x2f800000, v1
	v_trunc_f32_e32 v2, v2
	s_delay_alu instid0(VALU_DEP_1) | instskip(SKIP_1) | instid1(VALU_DEP_2)
	v_fmamk_f32 v1, v2, 0xcf800000, v1
	v_cvt_u32_f32_e32 v2, v2
	v_cvt_u32_f32_e32 v1, v1
	s_delay_alu instid0(VALU_DEP_2) | instskip(NEXT) | instid1(VALU_DEP_2)
	v_readfirstlane_b32 s3, v2
	v_readfirstlane_b32 s7, v1
	s_delay_alu instid0(VALU_DEP_2) | instskip(NEXT) | instid1(VALU_DEP_1)
	s_mul_i32 s23, s11, s3
	s_mul_hi_u32 s25, s11, s7
	s_mul_i32 s24, s22, s7
	s_add_i32 s23, s25, s23
	s_mul_i32 s26, s11, s7
	s_add_i32 s23, s23, s24
	s_mul_hi_u32 s25, s7, s26
	s_mul_hi_u32 s27, s3, s26
	s_mul_i32 s24, s3, s26
	s_mul_hi_u32 s26, s7, s23
	s_mul_i32 s7, s7, s23
	s_mul_hi_u32 s28, s3, s23
	s_add_u32 s7, s25, s7
	s_addc_u32 s25, 0, s26
	s_add_u32 s7, s7, s24
	s_mul_i32 s23, s3, s23
	s_addc_u32 s7, s25, s27
	s_addc_u32 s24, s28, 0
	s_add_u32 s7, s7, s23
	s_addc_u32 s23, 0, s24
	v_add_co_u32 v1, s7, v1, s7
	s_delay_alu instid0(VALU_DEP_1) | instskip(SKIP_1) | instid1(VALU_DEP_1)
	s_cmp_lg_u32 s7, 0
	s_addc_u32 s3, s3, s23
	v_readfirstlane_b32 s7, v1
	s_mul_i32 s23, s11, s3
	s_delay_alu instid0(VALU_DEP_1)
	s_mul_hi_u32 s24, s11, s7
	s_mul_i32 s22, s22, s7
	s_add_i32 s23, s24, s23
	s_mul_i32 s11, s11, s7
	s_add_i32 s23, s23, s22
	s_mul_hi_u32 s24, s3, s11
	s_mul_i32 s25, s3, s11
	s_mul_hi_u32 s11, s7, s11
	s_mul_hi_u32 s26, s7, s23
	s_mul_i32 s7, s7, s23
	s_mul_hi_u32 s22, s3, s23
	s_add_u32 s7, s11, s7
	s_addc_u32 s11, 0, s26
	s_add_u32 s7, s7, s25
	s_mul_i32 s23, s3, s23
	s_addc_u32 s7, s11, s24
	s_addc_u32 s11, s22, 0
	s_add_u32 s7, s7, s23
	s_addc_u32 s11, 0, s11
	v_add_co_u32 v1, s7, v1, s7
	s_delay_alu instid0(VALU_DEP_1) | instskip(SKIP_2) | instid1(VALU_DEP_1)
	s_cmp_lg_u32 s7, 0
	s_addc_u32 s3, s3, s11
	s_ashr_i32 s22, s13, 31
	v_readfirstlane_b32 s7, v1
	s_add_u32 s24, s12, s22
	s_mov_b32 s23, s22
	s_addc_u32 s25, s13, s22
	s_delay_alu instid0(SALU_CYCLE_1) | instskip(NEXT) | instid1(SALU_CYCLE_1)
	s_xor_b64 s[24:25], s[24:25], s[22:23]
	s_mul_i32 s13, s24, s3
	s_mul_hi_u32 s26, s24, s7
	s_mul_hi_u32 s11, s24, s3
	;; [unrolled: 1-line block ×3, first 2 shown]
	s_mul_i32 s7, s25, s7
	s_add_u32 s13, s26, s13
	s_addc_u32 s11, 0, s11
	s_mul_hi_u32 s27, s25, s3
	s_add_u32 s7, s13, s7
	s_mul_i32 s3, s25, s3
	s_addc_u32 s7, s11, s28
	s_addc_u32 s11, s27, 0
	s_add_u32 s7, s7, s3
	s_addc_u32 s11, 0, s11
	s_mul_i32 s27, s18, s7
	s_mul_hi_u32 s3, s18, s7
	s_mul_i32 s26, s18, s11
	v_sub_co_u32 v1, s24, s24, s27
	s_mul_i32 s13, s19, s7
	s_add_i32 s3, s3, s26
	s_delay_alu instid0(SALU_CYCLE_1) | instskip(NEXT) | instid1(VALU_DEP_1)
	s_add_i32 s3, s3, s13
	v_sub_co_u32 v2, s26, v1, s18
	s_sub_i32 s13, s25, s3
	s_cmp_lg_u32 s24, 0
	s_subb_u32 s13, s13, s19
	s_cmp_lg_u32 s26, 0
	v_cmp_le_u32_e32 vcc_lo, s18, v2
	s_subb_u32 s13, s13, 0
	s_delay_alu instid0(SALU_CYCLE_1)
	s_cmp_ge_u32 s13, s19
	v_cndmask_b32_e64 v2, 0, -1, vcc_lo
	s_cselect_b32 s26, -1, 0
	s_cmp_eq_u32 s13, s19
	s_cselect_b32 vcc_lo, -1, 0
	s_add_u32 s13, s7, 1
	v_cndmask_b32_e32 v2, s26, v2, vcc_lo
	s_addc_u32 s26, s11, 0
	s_add_u32 s27, s7, 2
	s_addc_u32 s28, s11, 0
	s_cmp_lg_u32 s24, 0
	v_cmp_le_u32_e32 vcc_lo, s18, v1
	s_subb_u32 s3, s25, s3
	v_mov_b32_e32 v16, s27
	s_cmp_ge_u32 s3, s19
	v_cndmask_b32_e64 v1, 0, -1, vcc_lo
	s_cselect_b32 s18, -1, 0
	s_cmp_eq_u32 s3, s19
	v_cmp_ne_u32_e32 vcc_lo, 0, v2
	v_mov_b32_e32 v2, s28
	s_cselect_b32 s3, -1, 0
	s_xor_b64 s[16:17], s[22:23], s[16:17]
	v_cndmask_b32_e64 v1, s18, v1, s3
	v_cndmask_b32_e32 v16, s13, v16, vcc_lo
	v_cndmask_b32_e32 v2, s26, v2, vcc_lo
	s_delay_alu instid0(VALU_DEP_3) | instskip(NEXT) | instid1(VALU_DEP_2)
	v_cmp_ne_u32_e32 vcc_lo, 0, v1
	v_cndmask_b32_e32 v1, s11, v2, vcc_lo
	s_delay_alu instid0(VALU_DEP_4) | instskip(NEXT) | instid1(VALU_DEP_2)
	v_cndmask_b32_e32 v2, s7, v16, vcc_lo
	v_xor_b32_e32 v16, s17, v1
	s_delay_alu instid0(VALU_DEP_2) | instskip(NEXT) | instid1(VALU_DEP_1)
	v_xor_b32_e32 v2, s16, v2
	v_sub_co_u32 v1, vcc_lo, v2, s16
	s_delay_alu instid0(VALU_DEP_3)
	v_subrev_co_ci_u32_e32 v2, vcc_lo, s17, v16, vcc_lo
	s_cbranch_execnz .LBB67_33
.LBB67_32:
	v_cvt_f32_u32_e32 v1, s10
	s_sub_i32 s7, 0, s10
	s_delay_alu instid0(VALU_DEP_1) | instskip(SKIP_2) | instid1(VALU_DEP_1)
	v_rcp_iflag_f32_e32 v1, v1
	s_waitcnt_depctr 0xfff
	v_mul_f32_e32 v1, 0x4f7ffffe, v1
	v_cvt_u32_f32_e32 v1, v1
	s_delay_alu instid0(VALU_DEP_1) | instskip(NEXT) | instid1(VALU_DEP_1)
	v_readfirstlane_b32 s3, v1
	s_mul_i32 s7, s7, s3
	s_delay_alu instid0(SALU_CYCLE_1) | instskip(NEXT) | instid1(SALU_CYCLE_1)
	s_mul_hi_u32 s7, s3, s7
	s_add_i32 s3, s3, s7
	s_delay_alu instid0(SALU_CYCLE_1) | instskip(NEXT) | instid1(SALU_CYCLE_1)
	s_mul_hi_u32 s3, s12, s3
	s_mul_i32 s7, s3, s10
	s_add_i32 s11, s3, 1
	s_sub_i32 s7, s12, s7
	s_delay_alu instid0(SALU_CYCLE_1)
	s_sub_i32 s12, s7, s10
	s_cmp_ge_u32 s7, s10
	s_cselect_b32 s3, s11, s3
	s_cselect_b32 s7, s12, s7
	s_add_i32 s12, s3, 1
	s_cmp_ge_u32 s7, s10
	s_mov_b32 s11, 0
	s_cselect_b32 s10, s12, s3
	s_delay_alu instid0(SALU_CYCLE_1)
	v_dual_mov_b32 v1, s10 :: v_dual_mov_b32 v2, s11
.LBB67_33:
	s_delay_alu instid0(VALU_DEP_1) | instskip(NEXT) | instid1(VALU_DEP_2)
	v_add_co_u32 v1, vcc_lo, v1, v15
	v_add_co_ci_u32_e32 v2, vcc_lo, 0, v2, vcc_lo
	s_branch .LBB67_36
.LBB67_34:
                                        ; implicit-def: $vgpr1_vgpr2
	s_cbranch_execz .LBB67_36
; %bb.35:
	v_mul_lo_u32 v1, v15, s4
	s_delay_alu instid0(VALU_DEP_1) | instskip(SKIP_1) | instid1(VALU_DEP_2)
	v_ashrrev_i32_e32 v2, 31, v1
	v_add_co_u32 v1, vcc_lo, v1, s20
	v_add_co_ci_u32_e32 v2, vcc_lo, 0, v2, vcc_lo
.LBB67_36:
	s_mov_b32 s3, exec_lo
.LBB67_37:
	s_or_b32 exec_lo, exec_lo, s14
	s_delay_alu instid0(SALU_CYCLE_1)
	s_and_b32 vcc_lo, exec_lo, s15
	s_cbranch_vccz .LBB67_41
.LBB67_38:
	v_mov_b32_dpp v1, v13 quad_perm:[1,0,3,2] row_mask:0xf bank_mask:0xf
	s_delay_alu instid0(VALU_DEP_1) | instskip(SKIP_1) | instid1(VALU_DEP_1)
	v_cmp_gt_f32_e32 vcc_lo, v13, v1
	v_cndmask_b32_e32 v1, v1, v13, vcc_lo
	v_mov_b32_dpp v2, v1 quad_perm:[2,3,0,1] row_mask:0xf bank_mask:0xf
	s_delay_alu instid0(VALU_DEP_1) | instskip(SKIP_1) | instid1(VALU_DEP_1)
	v_cmp_gt_f32_e32 vcc_lo, v1, v2
	v_cndmask_b32_e32 v1, v2, v1, vcc_lo
	v_mov_b32_dpp v2, v1 row_xmask:7 row_mask:0xf bank_mask:0xf
	s_delay_alu instid0(VALU_DEP_1) | instskip(SKIP_1) | instid1(VALU_DEP_1)
	v_cmp_gt_f32_e32 vcc_lo, v1, v2
	v_cndmask_b32_e32 v1, v2, v1, vcc_lo
	v_mov_b32_dpp v2, v1 row_xmask:15 row_mask:0xf bank_mask:0xf
	s_delay_alu instid0(VALU_DEP_1)
	v_cmp_gt_f32_e32 vcc_lo, v1, v2
	s_and_saveexec_b32 s3, s2
	s_cbranch_execz .LBB67_40
; %bb.39:
	v_cndmask_b32_e32 v1, v2, v1, vcc_lo
	v_lshrrev_b32_e32 v2, 3, v0
	s_mov_b32 s2, 0x76543210
	s_delay_alu instid0(VALU_DEP_1) | instskip(NEXT) | instid1(VALU_DEP_3)
	v_and_b32_e32 v2, 0x7c, v2
	v_permlanex16_b32 v13, v1, s2, 0xfedcba98 op_sel:[1,1]
	s_delay_alu instid0(VALU_DEP_1)
	v_cmp_gt_f32_e32 vcc_lo, v1, v13
	v_cndmask_b32_e32 v1, v13, v1, vcc_lo
	ds_store_b32 v2, v1
.LBB67_40:
	s_or_b32 exec_lo, exec_lo, s3
	s_waitcnt lgkmcnt(0)
	s_barrier
	buffer_gl0_inv
	ds_load_b32 v1, v7
	v_cmp_eq_u32_e64 s3, 0, v0
	s_waitcnt lgkmcnt(0)
	v_mov_b32_dpp v2, v1 quad_perm:[1,0,3,2] row_mask:0xf bank_mask:0xf
	s_delay_alu instid0(VALU_DEP_1) | instskip(SKIP_1) | instid1(VALU_DEP_1)
	v_cmp_gt_f32_e32 vcc_lo, v1, v2
	v_cndmask_b32_e32 v1, v2, v1, vcc_lo
	v_dual_mul_f32 v14, 0x3b124925, v1 :: v_dual_mov_b32 v1, s20
	v_mov_b32_e32 v2, s21
.LBB67_41:
	s_and_saveexec_b32 s2, s3
	s_cbranch_execz .LBB67_43
; %bb.42:
	s_delay_alu instid0(VALU_DEP_1) | instskip(NEXT) | instid1(VALU_DEP_1)
	v_lshlrev_b64 v[0:1], 2, v[1:2]
	v_add_co_u32 v0, vcc_lo, s8, v0
	s_delay_alu instid0(VALU_DEP_2)
	v_add_co_ci_u32_e32 v1, vcc_lo, s9, v1, vcc_lo
	global_store_b32 v[0:1], v14, off
.LBB67_43:
	s_or_b32 exec_lo, exec_lo, s2
	;;#ASMSTART
	v_rcp_f32 v0, v14
	;;#ASMEND
	v_mul_f32_e32 v1, v11, v0
	v_dual_mul_f32 v2, v12, v0 :: v_dual_mov_b32 v7, 0xc3e00000
	v_dual_mov_b32 v11, 0x43e00000 :: v_dual_mul_f32 v10, v10, v0
	v_mul_f32_e32 v9, v9, v0
	;;#ASMSTART
	v_med3_f32 v1, v1, v7, v11
v_med3_f32 v2, v2, v7, v11
v_cvt_pk_fp8_f32 v12, v1, v2
	;;#ASMEND
	;;#ASMSTART
	v_med3_f32 v9, v9, v7, v11
v_med3_f32 v10, v10, v7, v11
v_cvt_pk_fp8_f32 v1, v9, v10
	;;#ASMEND
	v_perm_b32 v2, v1, v12, 0x5040100
	s_load_b64 s[0:1], s[0:1], 0x0
	v_dual_mul_f32 v8, v8, v0 :: v_dual_and_b32 v1, 0xffffff00, v1
	v_mul_f32_e32 v6, v6, v0
	s_delay_alu instid0(VALU_DEP_3)
	v_lshrrev_b32_e32 v9, 16, v2
	s_add_i32 s2, s5, 3
	v_mul_f32_e32 v3, v3, v0
	s_ashr_i32 s3, s2, 31
	s_ashr_i32 s4, s6, 31
	v_and_b32_e32 v9, 0xff, v9
	s_lshr_b32 s3, s3, 30
	s_mul_hi_u32 s5, s6, s20
	s_add_i32 s2, s2, s3
	s_mul_i32 s4, s4, s20
	v_or_b32_e32 v1, v9, v1
	v_mul_f32_e32 v0, v4, v0
	;;#ASMSTART
	v_med3_f32 v8, v8, v7, v11
v_med3_f32 v6, v6, v7, v11
v_cvt_pk_fp8_f32 v4, v8, v6
	;;#ASMEND
	s_mul_i32 s3, s6, s20
	s_and_b32 s2, s2, -4
	v_lshlrev_b32_e32 v1, 16, v1
	;;#ASMSTART
	v_med3_f32 v3, v3, v7, v11
v_med3_f32 v0, v0, v7, v11
v_cvt_pk_fp8_f32 v6, v3, v0
	;;#ASMEND
	v_lshlrev_b32_e32 v3, 16, v6
	s_add_i32 s5, s5, s4
	s_waitcnt lgkmcnt(0)
	s_add_u32 s0, s0, s3
	v_and_or_b32 v0, 0xffff, v2, v1
	s_addc_u32 s1, s1, s5
	v_and_or_b32 v1, 0xffff, v4, v3
	s_and_b32 s1, s1, 0xffff
	s_mov_b32 s3, -1
	buffer_store_b64 v[0:1], v5, s[0:3], 0 offen
	;;#ASMSTART
	s_nop 0
	;;#ASMEND
.LBB67_44:
	s_nop 0
	s_sendmsg sendmsg(MSG_DEALLOC_VGPRS)
	s_endpgm
.LBB67_45:
                                        ; implicit-def: $vgpr1_vgpr2
	s_branch .LBB67_32
	.section	.rodata,"a",@progbits
	.p2align	6, 0x0
	.amdhsa_kernel _ZN5aiter24add_rmsnorm_quant_kernelIDF16_DB8_Li64ELi8ELb0ELb1ELb0ELi1EEEvPT0_PT_PfS5_S5_S5_diiiiiiib
		.amdhsa_group_segment_fixed_size 16
		.amdhsa_private_segment_fixed_size 0
		.amdhsa_kernarg_size 88
		.amdhsa_user_sgpr_count 15
		.amdhsa_user_sgpr_dispatch_ptr 0
		.amdhsa_user_sgpr_queue_ptr 0
		.amdhsa_user_sgpr_kernarg_segment_ptr 1
		.amdhsa_user_sgpr_dispatch_id 0
		.amdhsa_user_sgpr_private_segment_size 0
		.amdhsa_wavefront_size32 1
		.amdhsa_uses_dynamic_stack 0
		.amdhsa_enable_private_segment 0
		.amdhsa_system_sgpr_workgroup_id_x 1
		.amdhsa_system_sgpr_workgroup_id_y 0
		.amdhsa_system_sgpr_workgroup_id_z 0
		.amdhsa_system_sgpr_workgroup_info 0
		.amdhsa_system_vgpr_workitem_id 0
		.amdhsa_next_free_vgpr 23
		.amdhsa_next_free_sgpr 29
		.amdhsa_reserve_vcc 1
		.amdhsa_float_round_mode_32 0
		.amdhsa_float_round_mode_16_64 0
		.amdhsa_float_denorm_mode_32 3
		.amdhsa_float_denorm_mode_16_64 3
		.amdhsa_dx10_clamp 1
		.amdhsa_ieee_mode 1
		.amdhsa_fp16_overflow 0
		.amdhsa_workgroup_processor_mode 1
		.amdhsa_memory_ordered 1
		.amdhsa_forward_progress 0
		.amdhsa_shared_vgpr_count 0
		.amdhsa_exception_fp_ieee_invalid_op 0
		.amdhsa_exception_fp_denorm_src 0
		.amdhsa_exception_fp_ieee_div_zero 0
		.amdhsa_exception_fp_ieee_overflow 0
		.amdhsa_exception_fp_ieee_underflow 0
		.amdhsa_exception_fp_ieee_inexact 0
		.amdhsa_exception_int_div_zero 0
	.end_amdhsa_kernel
	.section	.text._ZN5aiter24add_rmsnorm_quant_kernelIDF16_DB8_Li64ELi8ELb0ELb1ELb0ELi1EEEvPT0_PT_PfS5_S5_S5_diiiiiiib,"axG",@progbits,_ZN5aiter24add_rmsnorm_quant_kernelIDF16_DB8_Li64ELi8ELb0ELb1ELb0ELi1EEEvPT0_PT_PfS5_S5_S5_diiiiiiib,comdat
.Lfunc_end67:
	.size	_ZN5aiter24add_rmsnorm_quant_kernelIDF16_DB8_Li64ELi8ELb0ELb1ELb0ELi1EEEvPT0_PT_PfS5_S5_S5_diiiiiiib, .Lfunc_end67-_ZN5aiter24add_rmsnorm_quant_kernelIDF16_DB8_Li64ELi8ELb0ELb1ELb0ELi1EEEvPT0_PT_PfS5_S5_S5_diiiiiiib
                                        ; -- End function
	.section	.AMDGPU.csdata,"",@progbits
; Kernel info:
; codeLenInByte = 3352
; NumSgprs: 31
; NumVgprs: 23
; ScratchSize: 0
; MemoryBound: 0
; FloatMode: 240
; IeeeMode: 1
; LDSByteSize: 16 bytes/workgroup (compile time only)
; SGPRBlocks: 3
; VGPRBlocks: 2
; NumSGPRsForWavesPerEU: 31
; NumVGPRsForWavesPerEU: 23
; Occupancy: 16
; WaveLimiterHint : 0
; COMPUTE_PGM_RSRC2:SCRATCH_EN: 0
; COMPUTE_PGM_RSRC2:USER_SGPR: 15
; COMPUTE_PGM_RSRC2:TRAP_HANDLER: 0
; COMPUTE_PGM_RSRC2:TGID_X_EN: 1
; COMPUTE_PGM_RSRC2:TGID_Y_EN: 0
; COMPUTE_PGM_RSRC2:TGID_Z_EN: 0
; COMPUTE_PGM_RSRC2:TIDIG_COMP_CNT: 0
	.section	.text._ZN5aiter24add_rmsnorm_quant_kernelItDB8_Li64ELi8ELb0ELb1ELb0ELi1EEEvPT0_PT_PfS5_S5_S5_diiiiiiib,"axG",@progbits,_ZN5aiter24add_rmsnorm_quant_kernelItDB8_Li64ELi8ELb0ELb1ELb0ELi1EEEvPT0_PT_PfS5_S5_S5_diiiiiiib,comdat
	.protected	_ZN5aiter24add_rmsnorm_quant_kernelItDB8_Li64ELi8ELb0ELb1ELb0ELi1EEEvPT0_PT_PfS5_S5_S5_diiiiiiib ; -- Begin function _ZN5aiter24add_rmsnorm_quant_kernelItDB8_Li64ELi8ELb0ELb1ELb0ELi1EEEvPT0_PT_PfS5_S5_S5_diiiiiiib
	.globl	_ZN5aiter24add_rmsnorm_quant_kernelItDB8_Li64ELi8ELb0ELb1ELb0ELi1EEEvPT0_PT_PfS5_S5_S5_diiiiiiib
	.p2align	8
	.type	_ZN5aiter24add_rmsnorm_quant_kernelItDB8_Li64ELi8ELb0ELb1ELb0ELi1EEEvPT0_PT_PfS5_S5_S5_diiiiiiib,@function
_ZN5aiter24add_rmsnorm_quant_kernelItDB8_Li64ELi8ELb0ELb1ELb0ELi1EEEvPT0_PT_PfS5_S5_S5_diiiiiiib: ; @_ZN5aiter24add_rmsnorm_quant_kernelItDB8_Li64ELi8ELb0ELb1ELb0ELi1EEEvPT0_PT_PfS5_S5_S5_diiiiiiib
; %bb.0:
	s_load_b128 s[4:7], s[0:1], 0x38
	s_mov_b32 s20, s15
	s_mov_b32 s21, 0
	s_waitcnt lgkmcnt(0)
	s_ashr_i32 s3, s4, 31
	s_mov_b32 s2, s4
	s_delay_alu instid0(SALU_CYCLE_1) | instskip(NEXT) | instid1(VALU_DEP_1)
	v_cmp_ge_i64_e64 s2, s[20:21], s[2:3]
	s_and_b32 vcc_lo, exec_lo, s2
	s_cbranch_vccnz .LBB68_44
; %bb.1:
	s_clause 0x1
	s_load_b128 s[8:11], s[0:1], 0x10
	s_load_b128 s[16:19], s[0:1], 0x28
	s_ashr_i32 s2, s6, 31
	s_mul_hi_u32 s3, s6, s20
	s_mul_i32 s7, s2, s20
	s_mul_i32 s2, s6, s20
	s_add_i32 s3, s3, s7
	v_lshlrev_b32_e32 v1, 4, v0
	s_lshl_b64 s[2:3], s[2:3], 1
	s_mov_b32 s15, -1
	v_and_b32_e32 v15, 31, v0
	s_mov_b32 s27, s15
	s_waitcnt lgkmcnt(0)
	s_add_u32 s12, s10, s2
	s_addc_u32 s2, s11, s3
	s_add_i32 s3, s5, 1
	s_and_b32 s13, s2, 0xffff
	s_lshr_b32 s6, s3, 31
	s_mov_b32 s24, s16
	s_add_i32 s3, s3, s6
	s_and_b32 s25, s17, 0xffff
	s_lshl_b32 s3, s3, 1
	v_cmp_eq_u32_e64 s2, 31, v15
	s_and_b32 s14, s3, -4
	buffer_load_b128 v[10:13], v1, s[12:15], 0 offen glc slc
	s_mov_b32 s26, s14
	s_waitcnt vmcnt(0)
	v_lshrrev_b32_e32 v5, 16, v10
	v_and_b32_e32 v6, 0xffff, v10
	v_lshrrev_b32_e32 v10, 16, v11
	v_lshrrev_b32_e32 v14, 16, v13
	s_delay_alu instid0(VALU_DEP_4) | instskip(NEXT) | instid1(VALU_DEP_4)
	v_cvt_f32_u32_e32 v7, v5
	v_cvt_f32_u32_e32 v8, v6
	s_delay_alu instid0(VALU_DEP_4) | instskip(NEXT) | instid1(VALU_DEP_4)
	v_cvt_f32_u32_e32 v10, v10
	v_cvt_f32_u32_e32 v14, v14
	s_delay_alu instid0(VALU_DEP_4) | instskip(SKIP_2) | instid1(VALU_DEP_1)
	v_mul_f32_e32 v6, v7, v7
	buffer_load_b128 v[1:4], v1, s[24:27], 0 offen
	v_dual_fmac_f32 v6, v8, v8 :: v_dual_and_b32 v5, 0xffff, v11
	v_cvt_f32_u32_e32 v9, v5
	v_and_b32_e32 v5, 0xffff, v12
	v_lshrrev_b32_e32 v12, 16, v12
	s_delay_alu instid0(VALU_DEP_3) | instskip(NEXT) | instid1(VALU_DEP_3)
	v_fmac_f32_e32 v6, v9, v9
	v_cvt_f32_u32_e32 v11, v5
	v_and_b32_e32 v5, 0xffff, v13
	s_delay_alu instid0(VALU_DEP_4) | instskip(NEXT) | instid1(VALU_DEP_4)
	v_cvt_f32_u32_e32 v12, v12
	v_fmac_f32_e32 v6, v10, v10
	s_delay_alu instid0(VALU_DEP_3) | instskip(NEXT) | instid1(VALU_DEP_2)
	v_cvt_f32_u32_e32 v13, v5
	v_fmac_f32_e32 v6, v11, v11
	s_delay_alu instid0(VALU_DEP_1) | instskip(NEXT) | instid1(VALU_DEP_1)
	v_fmac_f32_e32 v6, v12, v12
	v_fmac_f32_e32 v6, v13, v13
	s_delay_alu instid0(VALU_DEP_1) | instskip(NEXT) | instid1(VALU_DEP_1)
	v_fmac_f32_e32 v6, v14, v14
	v_mov_b32_dpp v5, v6 quad_perm:[1,0,3,2] row_mask:0xf bank_mask:0xf
	s_delay_alu instid0(VALU_DEP_1) | instskip(NEXT) | instid1(VALU_DEP_1)
	v_add_f32_e32 v5, v6, v5
	v_mov_b32_dpp v6, v5 quad_perm:[2,3,0,1] row_mask:0xf bank_mask:0xf
	s_delay_alu instid0(VALU_DEP_1) | instskip(NEXT) | instid1(VALU_DEP_1)
	v_add_f32_e32 v5, v5, v6
	v_mov_b32_dpp v6, v5 row_xmask:7 row_mask:0xf bank_mask:0xf
	s_delay_alu instid0(VALU_DEP_1) | instskip(NEXT) | instid1(VALU_DEP_1)
	v_add_f32_e32 v5, v5, v6
	v_mov_b32_dpp v6, v5 row_xmask:15 row_mask:0xf bank_mask:0xf
	s_and_saveexec_b32 s3, s2
	s_cbranch_execz .LBB68_3
; %bb.2:
	s_delay_alu instid0(VALU_DEP_1) | instskip(SKIP_2) | instid1(VALU_DEP_2)
	v_add_f32_e32 v5, v5, v6
	s_mov_b32 s6, 0x76543210
	v_lshrrev_b32_e32 v6, 3, v0
	v_permlanex16_b32 v15, v5, s6, 0xfedcba98 op_sel:[1,1]
	s_delay_alu instid0(VALU_DEP_1)
	v_dual_add_f32 v5, v5, v15 :: v_dual_and_b32 v6, 0x7c, v6
	ds_store_b32 v6, v5 offset:8
.LBB68_3:
	s_or_b32 exec_lo, exec_lo, s3
	v_and_b32_e32 v5, 1, v0
	s_waitcnt vmcnt(0) lgkmcnt(0)
	s_barrier
	buffer_gl0_inv
	v_cvt_f32_i32_e32 v16, s5
	v_lshlrev_b32_e32 v6, 2, v5
	ds_load_b32 v5, v6 offset:8
	s_clause 0x1
	s_load_b64 s[6:7], s[0:1], 0x4c
	s_load_b32 s10, s[0:1], 0x54
	s_waitcnt lgkmcnt(0)
	s_cmp_lg_u32 s7, 0
	v_mov_b32_dpp v15, v5 quad_perm:[1,0,3,2] row_mask:0xf bank_mask:0xf
	s_delay_alu instid0(VALU_DEP_1) | instskip(NEXT) | instid1(VALU_DEP_1)
	v_add_f32_e32 v5, v5, v15
	v_div_scale_f32 v15, null, v16, v16, v5
	v_div_scale_f32 v19, vcc_lo, v5, v16, v5
	s_delay_alu instid0(VALU_DEP_2) | instskip(SKIP_2) | instid1(VALU_DEP_1)
	v_rcp_f32_e32 v17, v15
	s_waitcnt_depctr 0xfff
	v_fma_f32 v18, -v15, v17, 1.0
	v_fmac_f32_e32 v17, v18, v17
	s_delay_alu instid0(VALU_DEP_1) | instskip(NEXT) | instid1(VALU_DEP_1)
	v_mul_f32_e32 v18, v19, v17
	v_fma_f32 v20, -v15, v18, v19
	s_delay_alu instid0(VALU_DEP_1) | instskip(SKIP_1) | instid1(VALU_DEP_2)
	v_fmac_f32_e32 v18, v20, v17
	v_mov_b32_e32 v20, 0x2edbe6ff
	v_fma_f32 v15, -v15, v18, v19
	s_delay_alu instid0(VALU_DEP_1)
	v_div_fmas_f32 v15, v15, v17, v18
	v_and_b32_e32 v17, 0xffff, v2
	v_lshrrev_b32_e32 v2, 16, v2
	v_and_b32_e32 v18, 0xffff, v3
	v_lshrrev_b32_e32 v3, 16, v3
	v_div_fixup_f32 v5, v15, v16, v5
	s_delay_alu instid0(VALU_DEP_4) | instskip(NEXT) | instid1(VALU_DEP_4)
	v_cvt_f32_u32_e32 v2, v2
	v_cvt_f32_u32_e32 v18, v18
	s_delay_alu instid0(VALU_DEP_4) | instskip(NEXT) | instid1(VALU_DEP_4)
	v_cvt_f32_u32_e32 v3, v3
	v_cvt_f64_f32_e32 v[15:16], v5
	s_delay_alu instid0(VALU_DEP_1) | instskip(NEXT) | instid1(VALU_DEP_1)
	v_add_f64 v[15:16], v[15:16], s[18:19]
	v_cvt_f32_f64_e32 v5, v[15:16]
	s_delay_alu instid0(VALU_DEP_1) | instskip(SKIP_1) | instid1(VALU_DEP_2)
	v_mul_f32_e32 v15, 0x4b800000, v5
	v_cmp_gt_f32_e32 vcc_lo, 0x800000, v5
	v_cndmask_b32_e32 v15, v5, v15, vcc_lo
	v_lshlrev_b32_e32 v5, 3, v0
	s_delay_alu instid0(VALU_DEP_2) | instskip(SKIP_2) | instid1(VALU_DEP_1)
	v_rsq_f32_e32 v15, v15
	s_waitcnt_depctr 0xfff
	v_mul_f32_e32 v21, 0x45800000, v15
	v_cndmask_b32_e32 v15, v15, v21, vcc_lo
	v_and_b32_e32 v16, 0xffff, v1
	v_lshrrev_b32_e32 v1, 16, v1
	s_delay_alu instid0(VALU_DEP_3) | instskip(NEXT) | instid1(VALU_DEP_3)
	v_mul_f32_e32 v7, v15, v7
	v_cvt_f32_u32_e32 v16, v16
	v_mul_f32_e32 v8, v15, v8
	v_mul_f32_e32 v21, v15, v11
	v_cvt_f32_u32_e32 v1, v1
	v_cvt_f32_u32_e32 v17, v17
	s_delay_alu instid0(VALU_DEP_3) | instskip(SKIP_4) | instid1(VALU_DEP_4)
	v_dual_mul_f32 v11, v8, v16 :: v_dual_mul_f32 v8, v21, v18
	v_dual_mul_f32 v10, v15, v10 :: v_dual_and_b32 v19, 0xffff, v4
	v_lshrrev_b32_e32 v4, 16, v4
	v_mul_f32_e32 v14, v15, v14
	v_mul_f32_e32 v22, v15, v12
	v_cvt_f32_u32_e32 v19, v19
	v_mul_f32_e32 v10, v10, v2
	v_cvt_f32_u32_e32 v4, v4
	v_mul_f32_e32 v9, v15, v9
	v_mul_f32_e32 v13, v15, v13
	v_dual_mul_f32 v12, v7, v1 :: v_dual_and_b32 v1, 0x7fffffff, v11
	s_delay_alu instid0(VALU_DEP_4) | instskip(NEXT) | instid1(VALU_DEP_4)
	v_mul_f32_e32 v4, v14, v4
	v_dual_mul_f32 v9, v9, v17 :: v_dual_and_b32 v14, 0x7fffffff, v10
	v_mul_f32_e32 v7, v22, v3
	s_delay_alu instid0(VALU_DEP_3)
	v_dual_mul_f32 v3, v13, v19 :: v_dual_and_b32 v18, 0x7fffffff, v4
	v_and_b32_e32 v2, 0x7fffffff, v12
	;;#ASMSTART
	v_max3_f32 v1, v20, v1, v2

	;;#ASMEND
	v_and_b32_e32 v13, 0x7fffffff, v9
	;;#ASMSTART
	v_max3_f32 v1, v1, v13, v14

	;;#ASMEND
	v_and_b32_e32 v15, 0x7fffffff, v8
	v_and_b32_e32 v16, 0x7fffffff, v7
	;; [unrolled: 1-line block ×3, first 2 shown]
	;;#ASMSTART
	v_max3_f32 v1, v1, v15, v16

	;;#ASMEND
	;;#ASMSTART
	v_max3_f32 v13, v1, v17, v18

	;;#ASMEND
	s_cbranch_scc0 .LBB68_10
; %bb.4:
	s_ashr_i32 s11, s7, 31
	s_delay_alu instid0(SALU_CYCLE_1) | instskip(NEXT) | instid1(SALU_CYCLE_1)
	s_lshr_b32 s3, s11, 29
	s_add_i32 s3, s7, s3
	s_delay_alu instid0(SALU_CYCLE_1) | instskip(NEXT) | instid1(SALU_CYCLE_1)
	s_ashr_i32 s3, s3, 3
	s_cmp_lt_i32 s3, 8
	s_cbranch_scc1 .LBB68_11
; %bb.5:
	s_cmp_lt_i32 s3, 16
	s_cbranch_scc1 .LBB68_12
; %bb.6:
	;; [unrolled: 3-line block ×3, first 2 shown]
	v_mov_b32_e32 v1, v13
	s_cmp_eq_u32 s3, 32
	s_cbranch_scc0 .LBB68_9
; %bb.8:
	s_delay_alu instid0(VALU_DEP_1) | instskip(SKIP_1) | instid1(VALU_DEP_1)
	v_mov_b32_dpp v1, v13 quad_perm:[1,0,3,2] row_mask:0xf bank_mask:0xf
	s_mov_b32 s12, 0x76543210
	v_cmp_gt_f32_e32 vcc_lo, v13, v1
	v_cndmask_b32_e32 v1, v1, v13, vcc_lo
	s_delay_alu instid0(VALU_DEP_1) | instskip(NEXT) | instid1(VALU_DEP_1)
	v_mov_b32_dpp v2, v1 quad_perm:[2,3,0,1] row_mask:0xf bank_mask:0xf
	v_cmp_gt_f32_e32 vcc_lo, v1, v2
	v_cndmask_b32_e32 v1, v2, v1, vcc_lo
	s_delay_alu instid0(VALU_DEP_1) | instskip(NEXT) | instid1(VALU_DEP_1)
	v_mov_b32_dpp v2, v1 row_xmask:7 row_mask:0xf bank_mask:0xf
	v_cmp_gt_f32_e32 vcc_lo, v1, v2
	v_cndmask_b32_e32 v1, v2, v1, vcc_lo
	s_delay_alu instid0(VALU_DEP_1) | instskip(NEXT) | instid1(VALU_DEP_1)
	v_mov_b32_dpp v2, v1 row_xmask:15 row_mask:0xf bank_mask:0xf
	v_cmp_gt_f32_e32 vcc_lo, v1, v2
	v_cndmask_b32_e32 v1, v2, v1, vcc_lo
	s_delay_alu instid0(VALU_DEP_1) | instskip(NEXT) | instid1(VALU_DEP_1)
	v_permlanex16_b32 v2, v1, s12, 0xfedcba98 op_sel:[1,1]
	v_cmp_gt_f32_e32 vcc_lo, v1, v2
	v_cndmask_b32_e32 v1, v2, v1, vcc_lo
.LBB68_9:
	s_mov_b32 s12, 0
	s_branch .LBB68_14
.LBB68_10:
	s_mov_b32 s3, 0
                                        ; implicit-def: $vgpr14
                                        ; implicit-def: $vgpr1_vgpr2
	s_and_b32 vcc_lo, exec_lo, s15
	s_cbranch_vccnz .LBB68_38
	s_branch .LBB68_41
.LBB68_11:
                                        ; implicit-def: $vgpr1
	s_branch .LBB68_21
.LBB68_12:
                                        ; implicit-def: $vgpr1
	s_branch .LBB68_18
.LBB68_13:
	s_mov_b32 s12, -1
                                        ; implicit-def: $vgpr1
.LBB68_14:
	s_delay_alu instid0(SALU_CYCLE_1)
	s_and_not1_b32 vcc_lo, exec_lo, s12
	s_cbranch_vccnz .LBB68_17
; %bb.15:
	v_mov_b32_e32 v1, v13
	s_cmp_eq_u32 s3, 16
	s_cbranch_scc0 .LBB68_17
; %bb.16:
	s_delay_alu instid0(VALU_DEP_1) | instskip(NEXT) | instid1(VALU_DEP_1)
	v_mov_b32_dpp v1, v13 quad_perm:[1,0,3,2] row_mask:0xf bank_mask:0xf
	v_cmp_gt_f32_e32 vcc_lo, v13, v1
	v_cndmask_b32_e32 v1, v1, v13, vcc_lo
	s_delay_alu instid0(VALU_DEP_1) | instskip(NEXT) | instid1(VALU_DEP_1)
	v_mov_b32_dpp v2, v1 quad_perm:[2,3,0,1] row_mask:0xf bank_mask:0xf
	v_cmp_gt_f32_e32 vcc_lo, v1, v2
	v_cndmask_b32_e32 v1, v2, v1, vcc_lo
	s_delay_alu instid0(VALU_DEP_1) | instskip(NEXT) | instid1(VALU_DEP_1)
	v_mov_b32_dpp v2, v1 row_half_mirror row_mask:0xf bank_mask:0xf
	v_cmp_gt_f32_e32 vcc_lo, v1, v2
	v_cndmask_b32_e32 v1, v2, v1, vcc_lo
	s_delay_alu instid0(VALU_DEP_1) | instskip(NEXT) | instid1(VALU_DEP_1)
	v_mov_b32_dpp v2, v1 row_mirror row_mask:0xf bank_mask:0xf
	v_cmp_gt_f32_e32 vcc_lo, v1, v2
	v_cndmask_b32_e32 v1, v2, v1, vcc_lo
.LBB68_17:
	s_cbranch_execnz .LBB68_20
.LBB68_18:
	v_mov_b32_e32 v1, v13
	s_cmp_eq_u32 s3, 8
	s_cbranch_scc0 .LBB68_20
; %bb.19:
	s_delay_alu instid0(VALU_DEP_1) | instskip(NEXT) | instid1(VALU_DEP_1)
	v_mov_b32_dpp v1, v13 quad_perm:[1,0,3,2] row_mask:0xf bank_mask:0xf
	v_cmp_gt_f32_e32 vcc_lo, v13, v1
	v_cndmask_b32_e32 v1, v1, v13, vcc_lo
	s_delay_alu instid0(VALU_DEP_1) | instskip(NEXT) | instid1(VALU_DEP_1)
	v_mov_b32_dpp v2, v1 quad_perm:[2,3,0,1] row_mask:0xf bank_mask:0xf
	v_cmp_gt_f32_e32 vcc_lo, v1, v2
	v_cndmask_b32_e32 v1, v2, v1, vcc_lo
	s_delay_alu instid0(VALU_DEP_1) | instskip(NEXT) | instid1(VALU_DEP_1)
	v_mov_b32_dpp v2, v1 row_half_mirror row_mask:0xf bank_mask:0xf
	v_cmp_gt_f32_e32 vcc_lo, v1, v2
	v_cndmask_b32_e32 v1, v2, v1, vcc_lo
.LBB68_20:
	s_cbranch_execnz .LBB68_28
.LBB68_21:
	s_cmp_lt_i32 s3, 4
	s_cbranch_scc1 .LBB68_24
; %bb.22:
	v_mov_b32_e32 v1, v13
	s_cmp_eq_u32 s3, 4
	s_cbranch_scc0 .LBB68_25
; %bb.23:
	s_delay_alu instid0(VALU_DEP_1) | instskip(NEXT) | instid1(VALU_DEP_1)
	v_mov_b32_dpp v1, v13 quad_perm:[1,0,3,2] row_mask:0xf bank_mask:0xf
	v_cmp_gt_f32_e32 vcc_lo, v13, v1
	v_cndmask_b32_e32 v1, v1, v13, vcc_lo
	s_delay_alu instid0(VALU_DEP_1) | instskip(NEXT) | instid1(VALU_DEP_1)
	v_mov_b32_dpp v2, v1 quad_perm:[2,3,0,1] row_mask:0xf bank_mask:0xf
	v_cmp_gt_f32_e32 vcc_lo, v1, v2
	v_cndmask_b32_e32 v1, v2, v1, vcc_lo
	s_cbranch_execz .LBB68_26
	s_branch .LBB68_28
.LBB68_24:
                                        ; implicit-def: $vgpr1
	s_branch .LBB68_26
.LBB68_25:
	s_cbranch_execnz .LBB68_28
.LBB68_26:
	v_mov_b32_e32 v1, v13
	s_cmp_lg_u32 s3, 2
	s_cbranch_scc1 .LBB68_28
; %bb.27:
	s_delay_alu instid0(VALU_DEP_1) | instskip(NEXT) | instid1(VALU_DEP_1)
	v_mov_b32_dpp v1, v13 quad_perm:[1,0,3,2] row_mask:0xf bank_mask:0xf
	v_cmp_gt_f32_e32 vcc_lo, v13, v1
	v_cndmask_b32_e32 v1, v1, v13, vcc_lo
.LBB68_28:
	v_cvt_f32_u32_e32 v2, s3
	s_sub_i32 s12, 0, s3
	s_mov_b32 s15, 0
	s_delay_alu instid0(VALU_DEP_1) | instskip(SKIP_2) | instid1(VALU_DEP_1)
	v_rcp_iflag_f32_e32 v2, v2
	s_waitcnt_depctr 0xfff
	v_mul_f32_e32 v2, 0x4f7ffffe, v2
	v_cvt_u32_f32_e32 v2, v2
	s_delay_alu instid0(VALU_DEP_1) | instskip(NEXT) | instid1(VALU_DEP_1)
	v_mul_lo_u32 v14, s12, v2
	v_mul_hi_u32 v14, v2, v14
	s_delay_alu instid0(VALU_DEP_1) | instskip(NEXT) | instid1(VALU_DEP_1)
	v_add_nc_u32_e32 v2, v2, v14
	v_mul_hi_u32 v2, v0, v2
	s_delay_alu instid0(VALU_DEP_1) | instskip(NEXT) | instid1(VALU_DEP_1)
	v_mul_lo_u32 v14, v2, s3
	v_sub_nc_u32_e32 v14, v0, v14
	s_delay_alu instid0(VALU_DEP_1) | instskip(SKIP_1) | instid1(VALU_DEP_2)
	v_subrev_nc_u32_e32 v16, s3, v14
	v_cmp_le_u32_e32 vcc_lo, s3, v14
	v_dual_cndmask_b32 v14, v14, v16 :: v_dual_add_nc_u32 v15, 1, v2
	s_delay_alu instid0(VALU_DEP_1) | instskip(NEXT) | instid1(VALU_DEP_2)
	v_cndmask_b32_e32 v2, v2, v15, vcc_lo
	v_cmp_le_u32_e32 vcc_lo, s3, v14
	s_delay_alu instid0(VALU_DEP_2) | instskip(NEXT) | instid1(VALU_DEP_1)
	v_dual_mul_f32 v14, 0x3b124925, v1 :: v_dual_add_nc_u32 v15, 1, v2
	v_cndmask_b32_e32 v15, v2, v15, vcc_lo
	v_cmp_gt_u32_e32 vcc_lo, s5, v5
	s_delay_alu instid0(VALU_DEP_2) | instskip(NEXT) | instid1(VALU_DEP_1)
	v_mul_lo_u32 v2, v15, s3
	v_sub_nc_u32_e32 v2, v0, v2
	s_delay_alu instid0(VALU_DEP_1) | instskip(NEXT) | instid1(VALU_DEP_1)
	v_cmp_eq_u32_e64 s3, 0, v2
                                        ; implicit-def: $vgpr1_vgpr2
	s_and_b32 s12, s3, vcc_lo
	s_mov_b32 s3, 0
	s_and_saveexec_b32 s13, s12
	s_delay_alu instid0(SALU_CYCLE_1)
	s_xor_b32 s14, exec_lo, s13
	s_cbranch_execz .LBB68_37
; %bb.29:
	s_bitcmp0_b32 s10, 0
	s_mov_b32 s16, 0
	s_cbranch_scc0 .LBB68_34
; %bb.30:
	s_ashr_i32 s3, s5, 31
	s_mul_hi_u32 s10, s5, s20
	s_mul_i32 s3, s3, s20
	s_mul_i32 s12, s5, s20
	s_add_i32 s13, s10, s3
	s_mov_b32 s10, s7
	s_delay_alu instid0(SALU_CYCLE_1) | instskip(NEXT) | instid1(SALU_CYCLE_1)
	s_or_b64 s[18:19], s[12:13], s[10:11]
	s_mov_b32 s17, s19
	s_delay_alu instid0(SALU_CYCLE_1)
	s_cmp_lg_u64 s[16:17], 0
	s_cbranch_scc0 .LBB68_45
; %bb.31:
	s_add_u32 s18, s10, s11
	s_mov_b32 s16, s11
	s_mov_b32 s17, s11
	s_addc_u32 s19, s11, s11
	s_delay_alu instid0(SALU_CYCLE_1) | instskip(NEXT) | instid1(SALU_CYCLE_1)
	s_xor_b64 s[18:19], s[18:19], s[16:17]
	v_cvt_f32_u32_e32 v1, s18
	v_cvt_f32_u32_e32 v2, s19
	s_sub_u32 s11, 0, s18
	s_subb_u32 s22, 0, s19
	s_delay_alu instid0(VALU_DEP_1) | instskip(NEXT) | instid1(VALU_DEP_1)
	v_fmamk_f32 v1, v2, 0x4f800000, v1
	v_rcp_f32_e32 v1, v1
	s_waitcnt_depctr 0xfff
	v_mul_f32_e32 v1, 0x5f7ffffc, v1
	s_delay_alu instid0(VALU_DEP_1) | instskip(NEXT) | instid1(VALU_DEP_1)
	v_mul_f32_e32 v2, 0x2f800000, v1
	v_trunc_f32_e32 v2, v2
	s_delay_alu instid0(VALU_DEP_1) | instskip(SKIP_1) | instid1(VALU_DEP_2)
	v_fmamk_f32 v1, v2, 0xcf800000, v1
	v_cvt_u32_f32_e32 v2, v2
	v_cvt_u32_f32_e32 v1, v1
	s_delay_alu instid0(VALU_DEP_2) | instskip(NEXT) | instid1(VALU_DEP_2)
	v_readfirstlane_b32 s3, v2
	v_readfirstlane_b32 s7, v1
	s_delay_alu instid0(VALU_DEP_2) | instskip(NEXT) | instid1(VALU_DEP_1)
	s_mul_i32 s23, s11, s3
	s_mul_hi_u32 s25, s11, s7
	s_mul_i32 s24, s22, s7
	s_add_i32 s23, s25, s23
	s_mul_i32 s26, s11, s7
	s_add_i32 s23, s23, s24
	s_mul_hi_u32 s25, s7, s26
	s_mul_hi_u32 s27, s3, s26
	s_mul_i32 s24, s3, s26
	s_mul_hi_u32 s26, s7, s23
	s_mul_i32 s7, s7, s23
	s_mul_hi_u32 s28, s3, s23
	s_add_u32 s7, s25, s7
	s_addc_u32 s25, 0, s26
	s_add_u32 s7, s7, s24
	s_mul_i32 s23, s3, s23
	s_addc_u32 s7, s25, s27
	s_addc_u32 s24, s28, 0
	s_add_u32 s7, s7, s23
	s_addc_u32 s23, 0, s24
	v_add_co_u32 v1, s7, v1, s7
	s_delay_alu instid0(VALU_DEP_1) | instskip(SKIP_1) | instid1(VALU_DEP_1)
	s_cmp_lg_u32 s7, 0
	s_addc_u32 s3, s3, s23
	v_readfirstlane_b32 s7, v1
	s_mul_i32 s23, s11, s3
	s_delay_alu instid0(VALU_DEP_1)
	s_mul_hi_u32 s24, s11, s7
	s_mul_i32 s22, s22, s7
	s_add_i32 s23, s24, s23
	s_mul_i32 s11, s11, s7
	s_add_i32 s23, s23, s22
	s_mul_hi_u32 s24, s3, s11
	s_mul_i32 s25, s3, s11
	s_mul_hi_u32 s11, s7, s11
	s_mul_hi_u32 s26, s7, s23
	s_mul_i32 s7, s7, s23
	s_mul_hi_u32 s22, s3, s23
	s_add_u32 s7, s11, s7
	s_addc_u32 s11, 0, s26
	s_add_u32 s7, s7, s25
	s_mul_i32 s23, s3, s23
	s_addc_u32 s7, s11, s24
	s_addc_u32 s11, s22, 0
	s_add_u32 s7, s7, s23
	s_addc_u32 s11, 0, s11
	v_add_co_u32 v1, s7, v1, s7
	s_delay_alu instid0(VALU_DEP_1) | instskip(SKIP_2) | instid1(VALU_DEP_1)
	s_cmp_lg_u32 s7, 0
	s_addc_u32 s3, s3, s11
	s_ashr_i32 s22, s13, 31
	v_readfirstlane_b32 s7, v1
	s_add_u32 s24, s12, s22
	s_mov_b32 s23, s22
	s_addc_u32 s25, s13, s22
	s_delay_alu instid0(SALU_CYCLE_1) | instskip(NEXT) | instid1(SALU_CYCLE_1)
	s_xor_b64 s[24:25], s[24:25], s[22:23]
	s_mul_i32 s13, s24, s3
	s_mul_hi_u32 s26, s24, s7
	s_mul_hi_u32 s11, s24, s3
	s_mul_hi_u32 s28, s25, s7
	s_mul_i32 s7, s25, s7
	s_add_u32 s13, s26, s13
	s_addc_u32 s11, 0, s11
	s_mul_hi_u32 s27, s25, s3
	s_add_u32 s7, s13, s7
	s_mul_i32 s3, s25, s3
	s_addc_u32 s7, s11, s28
	s_addc_u32 s11, s27, 0
	s_add_u32 s7, s7, s3
	s_addc_u32 s11, 0, s11
	s_mul_i32 s27, s18, s7
	s_mul_hi_u32 s3, s18, s7
	s_mul_i32 s26, s18, s11
	v_sub_co_u32 v1, s24, s24, s27
	s_mul_i32 s13, s19, s7
	s_add_i32 s3, s3, s26
	s_delay_alu instid0(SALU_CYCLE_1) | instskip(NEXT) | instid1(VALU_DEP_1)
	s_add_i32 s3, s3, s13
	v_sub_co_u32 v2, s26, v1, s18
	s_sub_i32 s13, s25, s3
	s_cmp_lg_u32 s24, 0
	s_subb_u32 s13, s13, s19
	s_cmp_lg_u32 s26, 0
	v_cmp_le_u32_e32 vcc_lo, s18, v2
	s_subb_u32 s13, s13, 0
	s_delay_alu instid0(SALU_CYCLE_1)
	s_cmp_ge_u32 s13, s19
	v_cndmask_b32_e64 v2, 0, -1, vcc_lo
	s_cselect_b32 s26, -1, 0
	s_cmp_eq_u32 s13, s19
	s_cselect_b32 vcc_lo, -1, 0
	s_add_u32 s13, s7, 1
	v_cndmask_b32_e32 v2, s26, v2, vcc_lo
	s_addc_u32 s26, s11, 0
	s_add_u32 s27, s7, 2
	s_addc_u32 s28, s11, 0
	s_cmp_lg_u32 s24, 0
	v_cmp_le_u32_e32 vcc_lo, s18, v1
	s_subb_u32 s3, s25, s3
	v_mov_b32_e32 v16, s27
	s_cmp_ge_u32 s3, s19
	v_cndmask_b32_e64 v1, 0, -1, vcc_lo
	s_cselect_b32 s18, -1, 0
	s_cmp_eq_u32 s3, s19
	v_cmp_ne_u32_e32 vcc_lo, 0, v2
	v_mov_b32_e32 v2, s28
	s_cselect_b32 s3, -1, 0
	s_xor_b64 s[16:17], s[22:23], s[16:17]
	v_cndmask_b32_e64 v1, s18, v1, s3
	v_cndmask_b32_e32 v16, s13, v16, vcc_lo
	v_cndmask_b32_e32 v2, s26, v2, vcc_lo
	s_delay_alu instid0(VALU_DEP_3) | instskip(NEXT) | instid1(VALU_DEP_2)
	v_cmp_ne_u32_e32 vcc_lo, 0, v1
	v_cndmask_b32_e32 v1, s11, v2, vcc_lo
	s_delay_alu instid0(VALU_DEP_4) | instskip(NEXT) | instid1(VALU_DEP_2)
	v_cndmask_b32_e32 v2, s7, v16, vcc_lo
	v_xor_b32_e32 v16, s17, v1
	s_delay_alu instid0(VALU_DEP_2) | instskip(NEXT) | instid1(VALU_DEP_1)
	v_xor_b32_e32 v2, s16, v2
	v_sub_co_u32 v1, vcc_lo, v2, s16
	s_delay_alu instid0(VALU_DEP_3)
	v_subrev_co_ci_u32_e32 v2, vcc_lo, s17, v16, vcc_lo
	s_cbranch_execnz .LBB68_33
.LBB68_32:
	v_cvt_f32_u32_e32 v1, s10
	s_sub_i32 s7, 0, s10
	s_delay_alu instid0(VALU_DEP_1) | instskip(SKIP_2) | instid1(VALU_DEP_1)
	v_rcp_iflag_f32_e32 v1, v1
	s_waitcnt_depctr 0xfff
	v_mul_f32_e32 v1, 0x4f7ffffe, v1
	v_cvt_u32_f32_e32 v1, v1
	s_delay_alu instid0(VALU_DEP_1) | instskip(NEXT) | instid1(VALU_DEP_1)
	v_readfirstlane_b32 s3, v1
	s_mul_i32 s7, s7, s3
	s_delay_alu instid0(SALU_CYCLE_1) | instskip(NEXT) | instid1(SALU_CYCLE_1)
	s_mul_hi_u32 s7, s3, s7
	s_add_i32 s3, s3, s7
	s_delay_alu instid0(SALU_CYCLE_1) | instskip(NEXT) | instid1(SALU_CYCLE_1)
	s_mul_hi_u32 s3, s12, s3
	s_mul_i32 s7, s3, s10
	s_add_i32 s11, s3, 1
	s_sub_i32 s7, s12, s7
	s_delay_alu instid0(SALU_CYCLE_1)
	s_sub_i32 s12, s7, s10
	s_cmp_ge_u32 s7, s10
	s_cselect_b32 s3, s11, s3
	s_cselect_b32 s7, s12, s7
	s_add_i32 s12, s3, 1
	s_cmp_ge_u32 s7, s10
	s_mov_b32 s11, 0
	s_cselect_b32 s10, s12, s3
	s_delay_alu instid0(SALU_CYCLE_1)
	v_dual_mov_b32 v1, s10 :: v_dual_mov_b32 v2, s11
.LBB68_33:
	s_delay_alu instid0(VALU_DEP_1) | instskip(NEXT) | instid1(VALU_DEP_2)
	v_add_co_u32 v1, vcc_lo, v1, v15
	v_add_co_ci_u32_e32 v2, vcc_lo, 0, v2, vcc_lo
	s_branch .LBB68_36
.LBB68_34:
                                        ; implicit-def: $vgpr1_vgpr2
	s_cbranch_execz .LBB68_36
; %bb.35:
	v_mul_lo_u32 v1, v15, s4
	s_delay_alu instid0(VALU_DEP_1) | instskip(SKIP_1) | instid1(VALU_DEP_2)
	v_ashrrev_i32_e32 v2, 31, v1
	v_add_co_u32 v1, vcc_lo, v1, s20
	v_add_co_ci_u32_e32 v2, vcc_lo, 0, v2, vcc_lo
.LBB68_36:
	s_mov_b32 s3, exec_lo
.LBB68_37:
	s_or_b32 exec_lo, exec_lo, s14
	s_delay_alu instid0(SALU_CYCLE_1)
	s_and_b32 vcc_lo, exec_lo, s15
	s_cbranch_vccz .LBB68_41
.LBB68_38:
	v_mov_b32_dpp v1, v13 quad_perm:[1,0,3,2] row_mask:0xf bank_mask:0xf
	s_delay_alu instid0(VALU_DEP_1) | instskip(SKIP_1) | instid1(VALU_DEP_1)
	v_cmp_gt_f32_e32 vcc_lo, v13, v1
	v_cndmask_b32_e32 v1, v1, v13, vcc_lo
	v_mov_b32_dpp v2, v1 quad_perm:[2,3,0,1] row_mask:0xf bank_mask:0xf
	s_delay_alu instid0(VALU_DEP_1) | instskip(SKIP_1) | instid1(VALU_DEP_1)
	v_cmp_gt_f32_e32 vcc_lo, v1, v2
	v_cndmask_b32_e32 v1, v2, v1, vcc_lo
	v_mov_b32_dpp v2, v1 row_xmask:7 row_mask:0xf bank_mask:0xf
	s_delay_alu instid0(VALU_DEP_1) | instskip(SKIP_1) | instid1(VALU_DEP_1)
	v_cmp_gt_f32_e32 vcc_lo, v1, v2
	v_cndmask_b32_e32 v1, v2, v1, vcc_lo
	v_mov_b32_dpp v2, v1 row_xmask:15 row_mask:0xf bank_mask:0xf
	s_delay_alu instid0(VALU_DEP_1)
	v_cmp_gt_f32_e32 vcc_lo, v1, v2
	s_and_saveexec_b32 s3, s2
	s_cbranch_execz .LBB68_40
; %bb.39:
	v_cndmask_b32_e32 v1, v2, v1, vcc_lo
	v_lshrrev_b32_e32 v2, 3, v0
	s_mov_b32 s2, 0x76543210
	s_delay_alu instid0(VALU_DEP_1) | instskip(NEXT) | instid1(VALU_DEP_3)
	v_and_b32_e32 v2, 0x7c, v2
	v_permlanex16_b32 v13, v1, s2, 0xfedcba98 op_sel:[1,1]
	s_delay_alu instid0(VALU_DEP_1)
	v_cmp_gt_f32_e32 vcc_lo, v1, v13
	v_cndmask_b32_e32 v1, v13, v1, vcc_lo
	ds_store_b32 v2, v1
.LBB68_40:
	s_or_b32 exec_lo, exec_lo, s3
	s_waitcnt lgkmcnt(0)
	s_barrier
	buffer_gl0_inv
	ds_load_b32 v1, v6
	v_cmp_eq_u32_e64 s3, 0, v0
	s_waitcnt lgkmcnt(0)
	v_mov_b32_dpp v2, v1 quad_perm:[1,0,3,2] row_mask:0xf bank_mask:0xf
	s_delay_alu instid0(VALU_DEP_1) | instskip(SKIP_1) | instid1(VALU_DEP_1)
	v_cmp_gt_f32_e32 vcc_lo, v1, v2
	v_cndmask_b32_e32 v1, v2, v1, vcc_lo
	v_dual_mul_f32 v14, 0x3b124925, v1 :: v_dual_mov_b32 v1, s20
	v_mov_b32_e32 v2, s21
.LBB68_41:
	s_and_saveexec_b32 s2, s3
	s_cbranch_execz .LBB68_43
; %bb.42:
	s_delay_alu instid0(VALU_DEP_1) | instskip(NEXT) | instid1(VALU_DEP_1)
	v_lshlrev_b64 v[0:1], 2, v[1:2]
	v_add_co_u32 v0, vcc_lo, s8, v0
	s_delay_alu instid0(VALU_DEP_2)
	v_add_co_ci_u32_e32 v1, vcc_lo, s9, v1, vcc_lo
	global_store_b32 v[0:1], v14, off
.LBB68_43:
	s_or_b32 exec_lo, exec_lo, s2
	;;#ASMSTART
	v_rcp_f32 v0, v14
	;;#ASMEND
	v_dual_mul_f32 v1, v11, v0 :: v_dual_mov_b32 v6, 0xc3e00000
	v_dual_mul_f32 v2, v12, v0 :: v_dual_mov_b32 v11, 0x43e00000
	v_mul_f32_e32 v9, v9, v0
	v_mul_f32_e32 v10, v10, v0
	;;#ASMSTART
	v_med3_f32 v1, v1, v6, v11
v_med3_f32 v2, v2, v6, v11
v_cvt_pk_fp8_f32 v12, v1, v2
	;;#ASMEND
	;;#ASMSTART
	v_med3_f32 v9, v9, v6, v11
v_med3_f32 v10, v10, v6, v11
v_cvt_pk_fp8_f32 v1, v9, v10
	;;#ASMEND
	v_perm_b32 v2, v1, v12, 0x5040100
	v_and_b32_e32 v1, 0xffffff00, v1
	s_load_b64 s[0:1], s[0:1], 0x0
	v_mul_f32_e32 v8, v8, v0
	s_add_i32 s2, s5, 3
	v_lshrrev_b32_e32 v9, 16, v2
	s_ashr_i32 s3, s2, 31
	v_mul_f32_e32 v7, v7, v0
	v_mul_f32_e32 v3, v3, v0
	s_ashr_i32 s4, s6, 31
	v_and_b32_e32 v9, 0xff, v9
	s_lshr_b32 s3, s3, 30
	s_mul_hi_u32 s5, s6, s20
	s_add_i32 s2, s2, s3
	s_mul_i32 s4, s4, s20
	v_or_b32_e32 v1, v9, v1
	v_mul_f32_e32 v0, v4, v0
	;;#ASMSTART
	v_med3_f32 v8, v8, v6, v11
v_med3_f32 v7, v7, v6, v11
v_cvt_pk_fp8_f32 v4, v8, v7
	;;#ASMEND
	s_mul_i32 s3, s6, s20
	s_and_b32 s2, s2, -4
	v_lshlrev_b32_e32 v1, 16, v1
	;;#ASMSTART
	v_med3_f32 v3, v3, v6, v11
v_med3_f32 v0, v0, v6, v11
v_cvt_pk_fp8_f32 v6, v3, v0
	;;#ASMEND
	v_lshlrev_b32_e32 v3, 16, v6
	s_add_i32 s5, s5, s4
	s_waitcnt lgkmcnt(0)
	s_add_u32 s0, s0, s3
	v_and_or_b32 v0, 0xffff, v2, v1
	s_addc_u32 s1, s1, s5
	v_and_or_b32 v1, 0xffff, v4, v3
	s_and_b32 s1, s1, 0xffff
	s_mov_b32 s3, -1
	buffer_store_b64 v[0:1], v5, s[0:3], 0 offen
	;;#ASMSTART
	s_nop 0
	;;#ASMEND
.LBB68_44:
	s_nop 0
	s_sendmsg sendmsg(MSG_DEALLOC_VGPRS)
	s_endpgm
.LBB68_45:
                                        ; implicit-def: $vgpr1_vgpr2
	s_branch .LBB68_32
	.section	.rodata,"a",@progbits
	.p2align	6, 0x0
	.amdhsa_kernel _ZN5aiter24add_rmsnorm_quant_kernelItDB8_Li64ELi8ELb0ELb1ELb0ELi1EEEvPT0_PT_PfS5_S5_S5_diiiiiiib
		.amdhsa_group_segment_fixed_size 16
		.amdhsa_private_segment_fixed_size 0
		.amdhsa_kernarg_size 88
		.amdhsa_user_sgpr_count 15
		.amdhsa_user_sgpr_dispatch_ptr 0
		.amdhsa_user_sgpr_queue_ptr 0
		.amdhsa_user_sgpr_kernarg_segment_ptr 1
		.amdhsa_user_sgpr_dispatch_id 0
		.amdhsa_user_sgpr_private_segment_size 0
		.amdhsa_wavefront_size32 1
		.amdhsa_uses_dynamic_stack 0
		.amdhsa_enable_private_segment 0
		.amdhsa_system_sgpr_workgroup_id_x 1
		.amdhsa_system_sgpr_workgroup_id_y 0
		.amdhsa_system_sgpr_workgroup_id_z 0
		.amdhsa_system_sgpr_workgroup_info 0
		.amdhsa_system_vgpr_workitem_id 0
		.amdhsa_next_free_vgpr 23
		.amdhsa_next_free_sgpr 29
		.amdhsa_reserve_vcc 1
		.amdhsa_float_round_mode_32 0
		.amdhsa_float_round_mode_16_64 0
		.amdhsa_float_denorm_mode_32 3
		.amdhsa_float_denorm_mode_16_64 3
		.amdhsa_dx10_clamp 1
		.amdhsa_ieee_mode 1
		.amdhsa_fp16_overflow 0
		.amdhsa_workgroup_processor_mode 1
		.amdhsa_memory_ordered 1
		.amdhsa_forward_progress 0
		.amdhsa_shared_vgpr_count 0
		.amdhsa_exception_fp_ieee_invalid_op 0
		.amdhsa_exception_fp_denorm_src 0
		.amdhsa_exception_fp_ieee_div_zero 0
		.amdhsa_exception_fp_ieee_overflow 0
		.amdhsa_exception_fp_ieee_underflow 0
		.amdhsa_exception_fp_ieee_inexact 0
		.amdhsa_exception_int_div_zero 0
	.end_amdhsa_kernel
	.section	.text._ZN5aiter24add_rmsnorm_quant_kernelItDB8_Li64ELi8ELb0ELb1ELb0ELi1EEEvPT0_PT_PfS5_S5_S5_diiiiiiib,"axG",@progbits,_ZN5aiter24add_rmsnorm_quant_kernelItDB8_Li64ELi8ELb0ELb1ELb0ELi1EEEvPT0_PT_PfS5_S5_S5_diiiiiiib,comdat
.Lfunc_end68:
	.size	_ZN5aiter24add_rmsnorm_quant_kernelItDB8_Li64ELi8ELb0ELb1ELb0ELi1EEEvPT0_PT_PfS5_S5_S5_diiiiiiib, .Lfunc_end68-_ZN5aiter24add_rmsnorm_quant_kernelItDB8_Li64ELi8ELb0ELb1ELb0ELi1EEEvPT0_PT_PfS5_S5_S5_diiiiiiib
                                        ; -- End function
	.section	.AMDGPU.csdata,"",@progbits
; Kernel info:
; codeLenInByte = 3388
; NumSgprs: 31
; NumVgprs: 23
; ScratchSize: 0
; MemoryBound: 0
; FloatMode: 240
; IeeeMode: 1
; LDSByteSize: 16 bytes/workgroup (compile time only)
; SGPRBlocks: 3
; VGPRBlocks: 2
; NumSGPRsForWavesPerEU: 31
; NumVGPRsForWavesPerEU: 23
; Occupancy: 16
; WaveLimiterHint : 0
; COMPUTE_PGM_RSRC2:SCRATCH_EN: 0
; COMPUTE_PGM_RSRC2:USER_SGPR: 15
; COMPUTE_PGM_RSRC2:TRAP_HANDLER: 0
; COMPUTE_PGM_RSRC2:TGID_X_EN: 1
; COMPUTE_PGM_RSRC2:TGID_Y_EN: 0
; COMPUTE_PGM_RSRC2:TGID_Z_EN: 0
; COMPUTE_PGM_RSRC2:TIDIG_COMP_CNT: 0
	.section	.text._ZN5aiter24add_rmsnorm_quant_kernelIDF16_DB8_Li128ELi8ELb0ELb1ELb1ELi1EEEvPT0_PT_PfS5_S5_S5_diiiiiiib,"axG",@progbits,_ZN5aiter24add_rmsnorm_quant_kernelIDF16_DB8_Li128ELi8ELb0ELb1ELb1ELi1EEEvPT0_PT_PfS5_S5_S5_diiiiiiib,comdat
	.protected	_ZN5aiter24add_rmsnorm_quant_kernelIDF16_DB8_Li128ELi8ELb0ELb1ELb1ELi1EEEvPT0_PT_PfS5_S5_S5_diiiiiiib ; -- Begin function _ZN5aiter24add_rmsnorm_quant_kernelIDF16_DB8_Li128ELi8ELb0ELb1ELb1ELi1EEEvPT0_PT_PfS5_S5_S5_diiiiiiib
	.globl	_ZN5aiter24add_rmsnorm_quant_kernelIDF16_DB8_Li128ELi8ELb0ELb1ELb1ELi1EEEvPT0_PT_PfS5_S5_S5_diiiiiiib
	.p2align	8
	.type	_ZN5aiter24add_rmsnorm_quant_kernelIDF16_DB8_Li128ELi8ELb0ELb1ELb1ELi1EEEvPT0_PT_PfS5_S5_S5_diiiiiiib,@function
_ZN5aiter24add_rmsnorm_quant_kernelIDF16_DB8_Li128ELi8ELb0ELb1ELb1ELi1EEEvPT0_PT_PfS5_S5_S5_diiiiiiib: ; @_ZN5aiter24add_rmsnorm_quant_kernelIDF16_DB8_Li128ELi8ELb0ELb1ELb1ELi1EEEvPT0_PT_PfS5_S5_S5_diiiiiiib
; %bb.0:
	s_load_b128 s[4:7], s[0:1], 0x38
	s_mov_b32 s20, s15
	s_mov_b32 s21, 0
	s_waitcnt lgkmcnt(0)
	s_ashr_i32 s3, s4, 31
	s_mov_b32 s2, s4
	s_delay_alu instid0(SALU_CYCLE_1) | instskip(NEXT) | instid1(VALU_DEP_1)
	v_cmp_ge_i64_e64 s2, s[20:21], s[2:3]
	s_and_b32 vcc_lo, exec_lo, s2
	s_cbranch_vccnz .LBB69_44
; %bb.1:
	s_clause 0x1
	s_load_b128 s[8:11], s[0:1], 0x10
	s_load_b128 s[16:19], s[0:1], 0x28
	s_ashr_i32 s2, s6, 31
	s_mul_hi_u32 s3, s6, s20
	s_mul_i32 s7, s2, s20
	s_mul_i32 s2, s6, s20
	s_add_i32 s3, s3, s7
	v_lshlrev_b32_e32 v1, 4, v0
	s_lshl_b64 s[2:3], s[2:3], 1
	s_mov_b32 s15, -1
	v_and_b32_e32 v15, 31, v0
	s_mov_b32 s27, s15
	s_waitcnt lgkmcnt(0)
	s_add_u32 s12, s10, s2
	s_addc_u32 s2, s11, s3
	s_add_i32 s3, s5, 1
	s_and_b32 s13, s2, 0xffff
	s_lshr_b32 s6, s3, 31
	s_mov_b32 s24, s16
	s_add_i32 s3, s3, s6
	s_and_b32 s25, s17, 0xffff
	s_lshl_b32 s3, s3, 1
	v_cmp_eq_u32_e64 s2, 31, v15
	s_and_b32 s14, s3, -4
	buffer_load_b128 v[9:12], v1, s[12:15], 0 offen glc slc
	s_mov_b32 s26, s14
	buffer_load_b128 v[1:4], v1, s[24:27], 0 offen
	s_waitcnt vmcnt(1)
	v_lshrrev_b32_e32 v5, 16, v9
	v_lshrrev_b32_e32 v13, 16, v10
	;; [unrolled: 1-line block ×4, first 2 shown]
	v_cvt_f32_f16_e32 v8, v10
	v_cvt_f32_f16_e32 v6, v5
	;; [unrolled: 1-line block ×4, first 2 shown]
	s_delay_alu instid0(VALU_DEP_3) | instskip(NEXT) | instid1(VALU_DEP_1)
	v_mul_f32_e32 v5, v6, v6
	v_fma_mix_f32 v5, v9, v9, v5 op_sel_hi:[1,1,0]
	v_cvt_f32_f16_e32 v9, v9
	s_delay_alu instid0(VALU_DEP_2) | instskip(NEXT) | instid1(VALU_DEP_1)
	v_fma_mix_f32 v5, v10, v10, v5 op_sel_hi:[1,1,0]
	v_fma_mix_f32 v5, v10, v10, v5 op_sel:[1,1,0] op_sel_hi:[1,1,0]
	v_cvt_f32_f16_e32 v10, v11
	s_delay_alu instid0(VALU_DEP_2) | instskip(NEXT) | instid1(VALU_DEP_1)
	v_fma_mix_f32 v5, v11, v11, v5 op_sel_hi:[1,1,0]
	v_fma_mix_f32 v5, v11, v11, v5 op_sel:[1,1,0] op_sel_hi:[1,1,0]
	;; [unrolled: 4-line block ×3, first 2 shown]
	v_cvt_f32_f16_e32 v12, v17
	s_delay_alu instid0(VALU_DEP_2) | instskip(NEXT) | instid1(VALU_DEP_1)
	v_mov_b32_dpp v7, v5 quad_perm:[1,0,3,2] row_mask:0xf bank_mask:0xf
	v_add_f32_e32 v5, v5, v7
	s_delay_alu instid0(VALU_DEP_1) | instskip(NEXT) | instid1(VALU_DEP_1)
	v_mov_b32_dpp v7, v5 quad_perm:[2,3,0,1] row_mask:0xf bank_mask:0xf
	v_add_f32_e32 v5, v5, v7
	s_delay_alu instid0(VALU_DEP_1) | instskip(NEXT) | instid1(VALU_DEP_1)
	v_mov_b32_dpp v7, v5 row_xmask:7 row_mask:0xf bank_mask:0xf
	v_add_f32_e32 v5, v5, v7
	s_delay_alu instid0(VALU_DEP_1)
	v_mov_b32_dpp v7, v5 row_xmask:15 row_mask:0xf bank_mask:0xf
	s_and_saveexec_b32 s3, s2
	s_cbranch_execz .LBB69_3
; %bb.2:
	s_delay_alu instid0(VALU_DEP_1) | instskip(SKIP_2) | instid1(VALU_DEP_2)
	v_add_f32_e32 v5, v5, v7
	s_mov_b32 s6, 0x76543210
	v_lshrrev_b32_e32 v7, 3, v0
	v_permlanex16_b32 v15, v5, s6, 0xfedcba98 op_sel:[1,1]
	s_delay_alu instid0(VALU_DEP_2) | instskip(NEXT) | instid1(VALU_DEP_2)
	v_and_b32_e32 v7, 0x7c, v7
	v_add_f32_e32 v5, v5, v15
	ds_store_b32 v7, v5 offset:16
.LBB69_3:
	s_or_b32 exec_lo, exec_lo, s3
	v_and_b32_e32 v5, 3, v0
	s_waitcnt vmcnt(0) lgkmcnt(0)
	s_barrier
	buffer_gl0_inv
	v_cvt_f32_i32_e32 v16, s5
	v_lshlrev_b32_e32 v7, 2, v5
	ds_load_b32 v5, v7 offset:16
	s_clause 0x1
	s_load_b64 s[6:7], s[0:1], 0x4c
	s_load_b32 s10, s[0:1], 0x54
	s_waitcnt lgkmcnt(0)
	s_cmp_lg_u32 s7, 0
	v_mov_b32_dpp v15, v5 quad_perm:[1,0,3,2] row_mask:0xf bank_mask:0xf
	s_delay_alu instid0(VALU_DEP_1) | instskip(NEXT) | instid1(VALU_DEP_1)
	v_add_f32_e32 v5, v5, v15
	v_mov_b32_dpp v15, v5 quad_perm:[2,3,0,1] row_mask:0xf bank_mask:0xf
	s_delay_alu instid0(VALU_DEP_1) | instskip(NEXT) | instid1(VALU_DEP_1)
	v_add_f32_e32 v5, v5, v15
	v_div_scale_f32 v15, null, v16, v16, v5
	v_div_scale_f32 v19, vcc_lo, v5, v16, v5
	s_delay_alu instid0(VALU_DEP_2) | instskip(SKIP_2) | instid1(VALU_DEP_1)
	v_rcp_f32_e32 v17, v15
	s_waitcnt_depctr 0xfff
	v_fma_f32 v18, -v15, v17, 1.0
	v_fmac_f32_e32 v17, v18, v17
	s_delay_alu instid0(VALU_DEP_1) | instskip(NEXT) | instid1(VALU_DEP_1)
	v_mul_f32_e32 v18, v19, v17
	v_fma_f32 v20, -v15, v18, v19
	s_delay_alu instid0(VALU_DEP_1) | instskip(SKIP_2) | instid1(VALU_DEP_3)
	v_fmac_f32_e32 v18, v20, v17
	v_cvt_f32_f16_e32 v20, v4
	v_lshrrev_b32_e32 v4, 16, v4
	v_fma_f32 v15, -v15, v18, v19
	s_delay_alu instid0(VALU_DEP_2) | instskip(NEXT) | instid1(VALU_DEP_2)
	v_cvt_f32_f16_e32 v4, v4
	v_div_fmas_f32 v15, v15, v17, v18
	v_cvt_f32_f16_e32 v17, v2
	v_lshrrev_b32_e32 v2, 16, v2
	v_cvt_f32_f16_e32 v18, v3
	v_lshrrev_b32_e32 v3, 16, v3
	v_div_fixup_f32 v5, v15, v16, v5
	s_delay_alu instid0(VALU_DEP_4) | instskip(NEXT) | instid1(VALU_DEP_3)
	v_cvt_f32_f16_e32 v2, v2
	v_cvt_f32_f16_e32 v3, v3
	s_delay_alu instid0(VALU_DEP_3) | instskip(NEXT) | instid1(VALU_DEP_1)
	v_cvt_f64_f32_e32 v[15:16], v5
	v_add_f64 v[15:16], v[15:16], s[18:19]
	s_delay_alu instid0(VALU_DEP_1) | instskip(SKIP_2) | instid1(VALU_DEP_1)
	v_cvt_f32_f64_e32 v5, v[15:16]
	v_cvt_f32_f16_e32 v16, v1
	v_lshrrev_b32_e32 v1, 16, v1
	v_cvt_f32_f16_e32 v1, v1
	s_delay_alu instid0(VALU_DEP_4) | instskip(SKIP_1) | instid1(VALU_DEP_2)
	v_mul_f32_e32 v15, 0x4b800000, v5
	v_cmp_gt_f32_e32 vcc_lo, 0x800000, v5
	v_cndmask_b32_e32 v5, v5, v15, vcc_lo
	s_delay_alu instid0(VALU_DEP_1) | instskip(SKIP_2) | instid1(VALU_DEP_1)
	v_rsq_f32_e32 v15, v5
	s_waitcnt_depctr 0xfff
	v_mul_f32_e32 v19, 0x45800000, v15
	v_cndmask_b32_e32 v15, v15, v19, vcc_lo
	s_delay_alu instid0(VALU_DEP_1) | instskip(SKIP_4) | instid1(VALU_DEP_4)
	v_dual_mul_f32 v22, v15, v11 :: v_dual_lshlrev_b32 v5, 3, v0
	v_mul_f32_e32 v14, v15, v14
	v_mul_f32_e32 v19, v15, v10
	;; [unrolled: 1-line block ×3, first 2 shown]
	v_dual_mul_f32 v8, v15, v8 :: v_dual_mov_b32 v21, 0x2edbe6ff
	v_dual_mul_f32 v10, v14, v2 :: v_dual_mul_f32 v13, v15, v13
	s_delay_alu instid0(VALU_DEP_1) | instskip(NEXT) | instid1(VALU_DEP_4)
	v_dual_mul_f32 v9, v15, v9 :: v_dual_and_b32 v14, 0x7fffffff, v10
	v_dual_mul_f32 v15, v15, v12 :: v_dual_mul_f32 v12, v6, v1
	s_delay_alu instid0(VALU_DEP_3) | instskip(NEXT) | instid1(VALU_DEP_3)
	v_dual_mul_f32 v6, v13, v3 :: v_dual_mul_f32 v3, v22, v20
	v_mul_f32_e32 v11, v9, v16
	v_dual_mul_f32 v9, v8, v17 :: v_dual_mul_f32 v8, v19, v18
	s_delay_alu instid0(VALU_DEP_3) | instskip(NEXT) | instid1(VALU_DEP_3)
	v_and_b32_e32 v16, 0x7fffffff, v6
	v_dual_mul_f32 v4, v15, v4 :: v_dual_and_b32 v1, 0x7fffffff, v11
	v_and_b32_e32 v2, 0x7fffffff, v12
	;;#ASMSTART
	v_max3_f32 v1, v21, v1, v2

	;;#ASMEND
	v_and_b32_e32 v13, 0x7fffffff, v9
	;;#ASMSTART
	v_max3_f32 v1, v1, v13, v14

	;;#ASMEND
	v_and_b32_e32 v15, 0x7fffffff, v8
	v_and_b32_e32 v17, 0x7fffffff, v3
	;; [unrolled: 1-line block ×3, first 2 shown]
	;;#ASMSTART
	v_max3_f32 v1, v1, v15, v16

	;;#ASMEND
	;;#ASMSTART
	v_max3_f32 v13, v1, v17, v18

	;;#ASMEND
	s_cbranch_scc0 .LBB69_10
; %bb.4:
	s_ashr_i32 s11, s7, 31
	s_delay_alu instid0(SALU_CYCLE_1) | instskip(NEXT) | instid1(SALU_CYCLE_1)
	s_lshr_b32 s3, s11, 29
	s_add_i32 s3, s7, s3
	s_delay_alu instid0(SALU_CYCLE_1) | instskip(NEXT) | instid1(SALU_CYCLE_1)
	s_ashr_i32 s3, s3, 3
	s_cmp_lt_i32 s3, 8
	s_cbranch_scc1 .LBB69_11
; %bb.5:
	s_cmp_lt_i32 s3, 16
	s_cbranch_scc1 .LBB69_12
; %bb.6:
	;; [unrolled: 3-line block ×3, first 2 shown]
	v_mov_b32_e32 v1, v13
	s_cmp_eq_u32 s3, 32
	s_cbranch_scc0 .LBB69_9
; %bb.8:
	s_delay_alu instid0(VALU_DEP_1) | instskip(SKIP_1) | instid1(VALU_DEP_1)
	v_mov_b32_dpp v1, v13 quad_perm:[1,0,3,2] row_mask:0xf bank_mask:0xf
	s_mov_b32 s12, 0x76543210
	v_cmp_gt_f32_e32 vcc_lo, v13, v1
	v_cndmask_b32_e32 v1, v1, v13, vcc_lo
	s_delay_alu instid0(VALU_DEP_1) | instskip(NEXT) | instid1(VALU_DEP_1)
	v_mov_b32_dpp v2, v1 quad_perm:[2,3,0,1] row_mask:0xf bank_mask:0xf
	v_cmp_gt_f32_e32 vcc_lo, v1, v2
	v_cndmask_b32_e32 v1, v2, v1, vcc_lo
	s_delay_alu instid0(VALU_DEP_1) | instskip(NEXT) | instid1(VALU_DEP_1)
	v_mov_b32_dpp v2, v1 row_xmask:7 row_mask:0xf bank_mask:0xf
	v_cmp_gt_f32_e32 vcc_lo, v1, v2
	v_cndmask_b32_e32 v1, v2, v1, vcc_lo
	s_delay_alu instid0(VALU_DEP_1) | instskip(NEXT) | instid1(VALU_DEP_1)
	v_mov_b32_dpp v2, v1 row_xmask:15 row_mask:0xf bank_mask:0xf
	v_cmp_gt_f32_e32 vcc_lo, v1, v2
	v_cndmask_b32_e32 v1, v2, v1, vcc_lo
	s_delay_alu instid0(VALU_DEP_1) | instskip(NEXT) | instid1(VALU_DEP_1)
	v_permlanex16_b32 v2, v1, s12, 0xfedcba98 op_sel:[1,1]
	v_cmp_gt_f32_e32 vcc_lo, v1, v2
	v_cndmask_b32_e32 v1, v2, v1, vcc_lo
.LBB69_9:
	s_mov_b32 s12, 0
	s_branch .LBB69_14
.LBB69_10:
	s_mov_b32 s3, 0
                                        ; implicit-def: $vgpr14
                                        ; implicit-def: $vgpr1_vgpr2
	s_and_b32 vcc_lo, exec_lo, s15
	s_cbranch_vccnz .LBB69_38
	s_branch .LBB69_41
.LBB69_11:
                                        ; implicit-def: $vgpr1
	s_branch .LBB69_21
.LBB69_12:
                                        ; implicit-def: $vgpr1
	s_branch .LBB69_18
.LBB69_13:
	s_mov_b32 s12, -1
                                        ; implicit-def: $vgpr1
.LBB69_14:
	s_delay_alu instid0(SALU_CYCLE_1)
	s_and_not1_b32 vcc_lo, exec_lo, s12
	s_cbranch_vccnz .LBB69_17
; %bb.15:
	v_mov_b32_e32 v1, v13
	s_cmp_eq_u32 s3, 16
	s_cbranch_scc0 .LBB69_17
; %bb.16:
	s_delay_alu instid0(VALU_DEP_1) | instskip(NEXT) | instid1(VALU_DEP_1)
	v_mov_b32_dpp v1, v13 quad_perm:[1,0,3,2] row_mask:0xf bank_mask:0xf
	v_cmp_gt_f32_e32 vcc_lo, v13, v1
	v_cndmask_b32_e32 v1, v1, v13, vcc_lo
	s_delay_alu instid0(VALU_DEP_1) | instskip(NEXT) | instid1(VALU_DEP_1)
	v_mov_b32_dpp v2, v1 quad_perm:[2,3,0,1] row_mask:0xf bank_mask:0xf
	v_cmp_gt_f32_e32 vcc_lo, v1, v2
	v_cndmask_b32_e32 v1, v2, v1, vcc_lo
	s_delay_alu instid0(VALU_DEP_1) | instskip(NEXT) | instid1(VALU_DEP_1)
	v_mov_b32_dpp v2, v1 row_half_mirror row_mask:0xf bank_mask:0xf
	v_cmp_gt_f32_e32 vcc_lo, v1, v2
	v_cndmask_b32_e32 v1, v2, v1, vcc_lo
	s_delay_alu instid0(VALU_DEP_1) | instskip(NEXT) | instid1(VALU_DEP_1)
	v_mov_b32_dpp v2, v1 row_mirror row_mask:0xf bank_mask:0xf
	v_cmp_gt_f32_e32 vcc_lo, v1, v2
	v_cndmask_b32_e32 v1, v2, v1, vcc_lo
.LBB69_17:
	s_cbranch_execnz .LBB69_20
.LBB69_18:
	v_mov_b32_e32 v1, v13
	s_cmp_eq_u32 s3, 8
	s_cbranch_scc0 .LBB69_20
; %bb.19:
	s_delay_alu instid0(VALU_DEP_1) | instskip(NEXT) | instid1(VALU_DEP_1)
	v_mov_b32_dpp v1, v13 quad_perm:[1,0,3,2] row_mask:0xf bank_mask:0xf
	v_cmp_gt_f32_e32 vcc_lo, v13, v1
	v_cndmask_b32_e32 v1, v1, v13, vcc_lo
	s_delay_alu instid0(VALU_DEP_1) | instskip(NEXT) | instid1(VALU_DEP_1)
	v_mov_b32_dpp v2, v1 quad_perm:[2,3,0,1] row_mask:0xf bank_mask:0xf
	v_cmp_gt_f32_e32 vcc_lo, v1, v2
	v_cndmask_b32_e32 v1, v2, v1, vcc_lo
	s_delay_alu instid0(VALU_DEP_1) | instskip(NEXT) | instid1(VALU_DEP_1)
	v_mov_b32_dpp v2, v1 row_half_mirror row_mask:0xf bank_mask:0xf
	v_cmp_gt_f32_e32 vcc_lo, v1, v2
	v_cndmask_b32_e32 v1, v2, v1, vcc_lo
.LBB69_20:
	s_cbranch_execnz .LBB69_28
.LBB69_21:
	s_cmp_lt_i32 s3, 4
	s_cbranch_scc1 .LBB69_24
; %bb.22:
	v_mov_b32_e32 v1, v13
	s_cmp_eq_u32 s3, 4
	s_cbranch_scc0 .LBB69_25
; %bb.23:
	s_delay_alu instid0(VALU_DEP_1) | instskip(NEXT) | instid1(VALU_DEP_1)
	v_mov_b32_dpp v1, v13 quad_perm:[1,0,3,2] row_mask:0xf bank_mask:0xf
	v_cmp_gt_f32_e32 vcc_lo, v13, v1
	v_cndmask_b32_e32 v1, v1, v13, vcc_lo
	s_delay_alu instid0(VALU_DEP_1) | instskip(NEXT) | instid1(VALU_DEP_1)
	v_mov_b32_dpp v2, v1 quad_perm:[2,3,0,1] row_mask:0xf bank_mask:0xf
	v_cmp_gt_f32_e32 vcc_lo, v1, v2
	v_cndmask_b32_e32 v1, v2, v1, vcc_lo
	s_cbranch_execz .LBB69_26
	s_branch .LBB69_28
.LBB69_24:
                                        ; implicit-def: $vgpr1
	s_branch .LBB69_26
.LBB69_25:
	s_cbranch_execnz .LBB69_28
.LBB69_26:
	v_mov_b32_e32 v1, v13
	s_cmp_lg_u32 s3, 2
	s_cbranch_scc1 .LBB69_28
; %bb.27:
	s_delay_alu instid0(VALU_DEP_1) | instskip(NEXT) | instid1(VALU_DEP_1)
	v_mov_b32_dpp v1, v13 quad_perm:[1,0,3,2] row_mask:0xf bank_mask:0xf
	v_cmp_gt_f32_e32 vcc_lo, v13, v1
	v_cndmask_b32_e32 v1, v1, v13, vcc_lo
.LBB69_28:
	v_cvt_f32_u32_e32 v2, s3
	s_sub_i32 s12, 0, s3
	s_mov_b32 s15, 0
	s_delay_alu instid0(VALU_DEP_1) | instskip(SKIP_2) | instid1(VALU_DEP_1)
	v_rcp_iflag_f32_e32 v2, v2
	s_waitcnt_depctr 0xfff
	v_mul_f32_e32 v2, 0x4f7ffffe, v2
	v_cvt_u32_f32_e32 v2, v2
	s_delay_alu instid0(VALU_DEP_1) | instskip(NEXT) | instid1(VALU_DEP_1)
	v_mul_lo_u32 v14, s12, v2
	v_mul_hi_u32 v14, v2, v14
	s_delay_alu instid0(VALU_DEP_1) | instskip(NEXT) | instid1(VALU_DEP_1)
	v_add_nc_u32_e32 v2, v2, v14
	v_mul_hi_u32 v2, v0, v2
	s_delay_alu instid0(VALU_DEP_1) | instskip(NEXT) | instid1(VALU_DEP_1)
	v_mul_lo_u32 v14, v2, s3
	v_sub_nc_u32_e32 v14, v0, v14
	s_delay_alu instid0(VALU_DEP_1) | instskip(SKIP_1) | instid1(VALU_DEP_2)
	v_subrev_nc_u32_e32 v16, s3, v14
	v_cmp_le_u32_e32 vcc_lo, s3, v14
	v_dual_cndmask_b32 v14, v14, v16 :: v_dual_add_nc_u32 v15, 1, v2
	s_delay_alu instid0(VALU_DEP_1) | instskip(NEXT) | instid1(VALU_DEP_2)
	v_cndmask_b32_e32 v2, v2, v15, vcc_lo
	v_cmp_le_u32_e32 vcc_lo, s3, v14
	s_delay_alu instid0(VALU_DEP_2) | instskip(NEXT) | instid1(VALU_DEP_1)
	v_dual_mul_f32 v14, 0x3b124925, v1 :: v_dual_add_nc_u32 v15, 1, v2
	v_cndmask_b32_e32 v15, v2, v15, vcc_lo
	v_cmp_gt_u32_e32 vcc_lo, s5, v5
	s_delay_alu instid0(VALU_DEP_2) | instskip(NEXT) | instid1(VALU_DEP_1)
	v_mul_lo_u32 v2, v15, s3
	v_sub_nc_u32_e32 v2, v0, v2
	s_delay_alu instid0(VALU_DEP_1) | instskip(NEXT) | instid1(VALU_DEP_1)
	v_cmp_eq_u32_e64 s3, 0, v2
                                        ; implicit-def: $vgpr1_vgpr2
	s_and_b32 s12, s3, vcc_lo
	s_mov_b32 s3, 0
	s_and_saveexec_b32 s13, s12
	s_delay_alu instid0(SALU_CYCLE_1)
	s_xor_b32 s14, exec_lo, s13
	s_cbranch_execz .LBB69_37
; %bb.29:
	s_bitcmp0_b32 s10, 0
	s_mov_b32 s16, 0
	s_cbranch_scc0 .LBB69_34
; %bb.30:
	s_ashr_i32 s3, s5, 31
	s_mul_hi_u32 s10, s5, s20
	s_mul_i32 s3, s3, s20
	s_mul_i32 s12, s5, s20
	s_add_i32 s13, s10, s3
	s_mov_b32 s10, s7
	s_delay_alu instid0(SALU_CYCLE_1) | instskip(NEXT) | instid1(SALU_CYCLE_1)
	s_or_b64 s[18:19], s[12:13], s[10:11]
	s_mov_b32 s17, s19
	s_delay_alu instid0(SALU_CYCLE_1)
	s_cmp_lg_u64 s[16:17], 0
	s_cbranch_scc0 .LBB69_45
; %bb.31:
	s_add_u32 s18, s10, s11
	s_mov_b32 s16, s11
	s_mov_b32 s17, s11
	s_addc_u32 s19, s11, s11
	s_delay_alu instid0(SALU_CYCLE_1) | instskip(NEXT) | instid1(SALU_CYCLE_1)
	s_xor_b64 s[18:19], s[18:19], s[16:17]
	v_cvt_f32_u32_e32 v1, s18
	v_cvt_f32_u32_e32 v2, s19
	s_sub_u32 s11, 0, s18
	s_subb_u32 s22, 0, s19
	s_delay_alu instid0(VALU_DEP_1) | instskip(NEXT) | instid1(VALU_DEP_1)
	v_fmamk_f32 v1, v2, 0x4f800000, v1
	v_rcp_f32_e32 v1, v1
	s_waitcnt_depctr 0xfff
	v_mul_f32_e32 v1, 0x5f7ffffc, v1
	s_delay_alu instid0(VALU_DEP_1) | instskip(NEXT) | instid1(VALU_DEP_1)
	v_mul_f32_e32 v2, 0x2f800000, v1
	v_trunc_f32_e32 v2, v2
	s_delay_alu instid0(VALU_DEP_1) | instskip(SKIP_1) | instid1(VALU_DEP_2)
	v_fmamk_f32 v1, v2, 0xcf800000, v1
	v_cvt_u32_f32_e32 v2, v2
	v_cvt_u32_f32_e32 v1, v1
	s_delay_alu instid0(VALU_DEP_2) | instskip(NEXT) | instid1(VALU_DEP_2)
	v_readfirstlane_b32 s3, v2
	v_readfirstlane_b32 s7, v1
	s_delay_alu instid0(VALU_DEP_2) | instskip(NEXT) | instid1(VALU_DEP_1)
	s_mul_i32 s23, s11, s3
	s_mul_hi_u32 s25, s11, s7
	s_mul_i32 s24, s22, s7
	s_add_i32 s23, s25, s23
	s_mul_i32 s26, s11, s7
	s_add_i32 s23, s23, s24
	s_mul_hi_u32 s25, s7, s26
	s_mul_hi_u32 s27, s3, s26
	s_mul_i32 s24, s3, s26
	s_mul_hi_u32 s26, s7, s23
	s_mul_i32 s7, s7, s23
	s_mul_hi_u32 s28, s3, s23
	s_add_u32 s7, s25, s7
	s_addc_u32 s25, 0, s26
	s_add_u32 s7, s7, s24
	s_mul_i32 s23, s3, s23
	s_addc_u32 s7, s25, s27
	s_addc_u32 s24, s28, 0
	s_add_u32 s7, s7, s23
	s_addc_u32 s23, 0, s24
	v_add_co_u32 v1, s7, v1, s7
	s_delay_alu instid0(VALU_DEP_1) | instskip(SKIP_1) | instid1(VALU_DEP_1)
	s_cmp_lg_u32 s7, 0
	s_addc_u32 s3, s3, s23
	v_readfirstlane_b32 s7, v1
	s_mul_i32 s23, s11, s3
	s_delay_alu instid0(VALU_DEP_1)
	s_mul_hi_u32 s24, s11, s7
	s_mul_i32 s22, s22, s7
	s_add_i32 s23, s24, s23
	s_mul_i32 s11, s11, s7
	s_add_i32 s23, s23, s22
	s_mul_hi_u32 s24, s3, s11
	s_mul_i32 s25, s3, s11
	s_mul_hi_u32 s11, s7, s11
	s_mul_hi_u32 s26, s7, s23
	s_mul_i32 s7, s7, s23
	s_mul_hi_u32 s22, s3, s23
	s_add_u32 s7, s11, s7
	s_addc_u32 s11, 0, s26
	s_add_u32 s7, s7, s25
	s_mul_i32 s23, s3, s23
	s_addc_u32 s7, s11, s24
	s_addc_u32 s11, s22, 0
	s_add_u32 s7, s7, s23
	s_addc_u32 s11, 0, s11
	v_add_co_u32 v1, s7, v1, s7
	s_delay_alu instid0(VALU_DEP_1) | instskip(SKIP_2) | instid1(VALU_DEP_1)
	s_cmp_lg_u32 s7, 0
	s_addc_u32 s3, s3, s11
	s_ashr_i32 s22, s13, 31
	v_readfirstlane_b32 s7, v1
	s_add_u32 s24, s12, s22
	s_mov_b32 s23, s22
	s_addc_u32 s25, s13, s22
	s_delay_alu instid0(SALU_CYCLE_1) | instskip(NEXT) | instid1(SALU_CYCLE_1)
	s_xor_b64 s[24:25], s[24:25], s[22:23]
	s_mul_i32 s13, s24, s3
	s_mul_hi_u32 s26, s24, s7
	s_mul_hi_u32 s11, s24, s3
	s_mul_hi_u32 s28, s25, s7
	s_mul_i32 s7, s25, s7
	s_add_u32 s13, s26, s13
	s_addc_u32 s11, 0, s11
	s_mul_hi_u32 s27, s25, s3
	s_add_u32 s7, s13, s7
	s_mul_i32 s3, s25, s3
	s_addc_u32 s7, s11, s28
	s_addc_u32 s11, s27, 0
	s_add_u32 s7, s7, s3
	s_addc_u32 s11, 0, s11
	s_mul_i32 s27, s18, s7
	s_mul_hi_u32 s3, s18, s7
	s_mul_i32 s26, s18, s11
	v_sub_co_u32 v1, s24, s24, s27
	s_mul_i32 s13, s19, s7
	s_add_i32 s3, s3, s26
	s_delay_alu instid0(SALU_CYCLE_1) | instskip(NEXT) | instid1(VALU_DEP_1)
	s_add_i32 s3, s3, s13
	v_sub_co_u32 v2, s26, v1, s18
	s_sub_i32 s13, s25, s3
	s_cmp_lg_u32 s24, 0
	s_subb_u32 s13, s13, s19
	s_cmp_lg_u32 s26, 0
	v_cmp_le_u32_e32 vcc_lo, s18, v2
	s_subb_u32 s13, s13, 0
	s_delay_alu instid0(SALU_CYCLE_1)
	s_cmp_ge_u32 s13, s19
	v_cndmask_b32_e64 v2, 0, -1, vcc_lo
	s_cselect_b32 s26, -1, 0
	s_cmp_eq_u32 s13, s19
	s_cselect_b32 vcc_lo, -1, 0
	s_add_u32 s13, s7, 1
	v_cndmask_b32_e32 v2, s26, v2, vcc_lo
	s_addc_u32 s26, s11, 0
	s_add_u32 s27, s7, 2
	s_addc_u32 s28, s11, 0
	s_cmp_lg_u32 s24, 0
	v_cmp_le_u32_e32 vcc_lo, s18, v1
	s_subb_u32 s3, s25, s3
	v_mov_b32_e32 v16, s27
	s_cmp_ge_u32 s3, s19
	v_cndmask_b32_e64 v1, 0, -1, vcc_lo
	s_cselect_b32 s18, -1, 0
	s_cmp_eq_u32 s3, s19
	v_cmp_ne_u32_e32 vcc_lo, 0, v2
	v_mov_b32_e32 v2, s28
	s_cselect_b32 s3, -1, 0
	s_xor_b64 s[16:17], s[22:23], s[16:17]
	v_cndmask_b32_e64 v1, s18, v1, s3
	v_cndmask_b32_e32 v16, s13, v16, vcc_lo
	v_cndmask_b32_e32 v2, s26, v2, vcc_lo
	s_delay_alu instid0(VALU_DEP_3) | instskip(NEXT) | instid1(VALU_DEP_2)
	v_cmp_ne_u32_e32 vcc_lo, 0, v1
	v_cndmask_b32_e32 v1, s11, v2, vcc_lo
	s_delay_alu instid0(VALU_DEP_4) | instskip(NEXT) | instid1(VALU_DEP_2)
	v_cndmask_b32_e32 v2, s7, v16, vcc_lo
	v_xor_b32_e32 v16, s17, v1
	s_delay_alu instid0(VALU_DEP_2) | instskip(NEXT) | instid1(VALU_DEP_1)
	v_xor_b32_e32 v2, s16, v2
	v_sub_co_u32 v1, vcc_lo, v2, s16
	s_delay_alu instid0(VALU_DEP_3)
	v_subrev_co_ci_u32_e32 v2, vcc_lo, s17, v16, vcc_lo
	s_cbranch_execnz .LBB69_33
.LBB69_32:
	v_cvt_f32_u32_e32 v1, s10
	s_sub_i32 s7, 0, s10
	s_delay_alu instid0(VALU_DEP_1) | instskip(SKIP_2) | instid1(VALU_DEP_1)
	v_rcp_iflag_f32_e32 v1, v1
	s_waitcnt_depctr 0xfff
	v_mul_f32_e32 v1, 0x4f7ffffe, v1
	v_cvt_u32_f32_e32 v1, v1
	s_delay_alu instid0(VALU_DEP_1) | instskip(NEXT) | instid1(VALU_DEP_1)
	v_readfirstlane_b32 s3, v1
	s_mul_i32 s7, s7, s3
	s_delay_alu instid0(SALU_CYCLE_1) | instskip(NEXT) | instid1(SALU_CYCLE_1)
	s_mul_hi_u32 s7, s3, s7
	s_add_i32 s3, s3, s7
	s_delay_alu instid0(SALU_CYCLE_1) | instskip(NEXT) | instid1(SALU_CYCLE_1)
	s_mul_hi_u32 s3, s12, s3
	s_mul_i32 s7, s3, s10
	s_add_i32 s11, s3, 1
	s_sub_i32 s7, s12, s7
	s_delay_alu instid0(SALU_CYCLE_1)
	s_sub_i32 s12, s7, s10
	s_cmp_ge_u32 s7, s10
	s_cselect_b32 s3, s11, s3
	s_cselect_b32 s7, s12, s7
	s_add_i32 s12, s3, 1
	s_cmp_ge_u32 s7, s10
	s_mov_b32 s11, 0
	s_cselect_b32 s10, s12, s3
	s_delay_alu instid0(SALU_CYCLE_1)
	v_dual_mov_b32 v1, s10 :: v_dual_mov_b32 v2, s11
.LBB69_33:
	s_delay_alu instid0(VALU_DEP_1) | instskip(NEXT) | instid1(VALU_DEP_2)
	v_add_co_u32 v1, vcc_lo, v1, v15
	v_add_co_ci_u32_e32 v2, vcc_lo, 0, v2, vcc_lo
	s_branch .LBB69_36
.LBB69_34:
                                        ; implicit-def: $vgpr1_vgpr2
	s_cbranch_execz .LBB69_36
; %bb.35:
	v_mul_lo_u32 v1, v15, s4
	s_delay_alu instid0(VALU_DEP_1) | instskip(SKIP_1) | instid1(VALU_DEP_2)
	v_ashrrev_i32_e32 v2, 31, v1
	v_add_co_u32 v1, vcc_lo, v1, s20
	v_add_co_ci_u32_e32 v2, vcc_lo, 0, v2, vcc_lo
.LBB69_36:
	s_mov_b32 s3, exec_lo
.LBB69_37:
	s_or_b32 exec_lo, exec_lo, s14
	s_delay_alu instid0(SALU_CYCLE_1)
	s_and_b32 vcc_lo, exec_lo, s15
	s_cbranch_vccz .LBB69_41
.LBB69_38:
	v_mov_b32_dpp v1, v13 quad_perm:[1,0,3,2] row_mask:0xf bank_mask:0xf
	s_delay_alu instid0(VALU_DEP_1) | instskip(SKIP_1) | instid1(VALU_DEP_1)
	v_cmp_gt_f32_e32 vcc_lo, v13, v1
	v_cndmask_b32_e32 v1, v1, v13, vcc_lo
	v_mov_b32_dpp v2, v1 quad_perm:[2,3,0,1] row_mask:0xf bank_mask:0xf
	s_delay_alu instid0(VALU_DEP_1) | instskip(SKIP_1) | instid1(VALU_DEP_1)
	v_cmp_gt_f32_e32 vcc_lo, v1, v2
	v_cndmask_b32_e32 v1, v2, v1, vcc_lo
	v_mov_b32_dpp v2, v1 row_xmask:7 row_mask:0xf bank_mask:0xf
	s_delay_alu instid0(VALU_DEP_1) | instskip(SKIP_1) | instid1(VALU_DEP_1)
	v_cmp_gt_f32_e32 vcc_lo, v1, v2
	v_cndmask_b32_e32 v1, v2, v1, vcc_lo
	v_mov_b32_dpp v2, v1 row_xmask:15 row_mask:0xf bank_mask:0xf
	s_delay_alu instid0(VALU_DEP_1)
	v_cmp_gt_f32_e32 vcc_lo, v1, v2
	s_and_saveexec_b32 s3, s2
	s_cbranch_execz .LBB69_40
; %bb.39:
	v_cndmask_b32_e32 v1, v2, v1, vcc_lo
	v_lshrrev_b32_e32 v2, 3, v0
	s_mov_b32 s2, 0x76543210
	s_delay_alu instid0(VALU_DEP_1) | instskip(NEXT) | instid1(VALU_DEP_3)
	v_and_b32_e32 v2, 0x7c, v2
	v_permlanex16_b32 v13, v1, s2, 0xfedcba98 op_sel:[1,1]
	s_delay_alu instid0(VALU_DEP_1)
	v_cmp_gt_f32_e32 vcc_lo, v1, v13
	v_cndmask_b32_e32 v1, v13, v1, vcc_lo
	ds_store_b32 v2, v1
.LBB69_40:
	s_or_b32 exec_lo, exec_lo, s3
	s_waitcnt lgkmcnt(0)
	s_barrier
	buffer_gl0_inv
	ds_load_b32 v1, v7
	v_cmp_eq_u32_e64 s3, 0, v0
	s_waitcnt lgkmcnt(0)
	v_mov_b32_dpp v2, v1 quad_perm:[1,0,3,2] row_mask:0xf bank_mask:0xf
	s_delay_alu instid0(VALU_DEP_1) | instskip(SKIP_1) | instid1(VALU_DEP_1)
	v_cmp_gt_f32_e32 vcc_lo, v1, v2
	v_cndmask_b32_e32 v1, v2, v1, vcc_lo
	v_mov_b32_dpp v2, v1 quad_perm:[2,3,0,1] row_mask:0xf bank_mask:0xf
	s_delay_alu instid0(VALU_DEP_1) | instskip(SKIP_1) | instid1(VALU_DEP_1)
	v_cmp_gt_f32_e32 vcc_lo, v1, v2
	v_cndmask_b32_e32 v1, v2, v1, vcc_lo
	v_dual_mul_f32 v14, 0x3b124925, v1 :: v_dual_mov_b32 v1, s20
	v_mov_b32_e32 v2, s21
.LBB69_41:
	s_and_saveexec_b32 s2, s3
	s_cbranch_execz .LBB69_43
; %bb.42:
	s_delay_alu instid0(VALU_DEP_1) | instskip(NEXT) | instid1(VALU_DEP_1)
	v_lshlrev_b64 v[0:1], 2, v[1:2]
	v_add_co_u32 v0, vcc_lo, s8, v0
	s_delay_alu instid0(VALU_DEP_2)
	v_add_co_ci_u32_e32 v1, vcc_lo, s9, v1, vcc_lo
	global_store_b32 v[0:1], v14, off
.LBB69_43:
	s_or_b32 exec_lo, exec_lo, s2
	;;#ASMSTART
	v_rcp_f32 v0, v14
	;;#ASMEND
	v_mul_f32_e32 v1, v11, v0
	v_dual_mul_f32 v2, v12, v0 :: v_dual_mov_b32 v7, 0xc3e00000
	v_dual_mov_b32 v11, 0x43e00000 :: v_dual_mul_f32 v10, v10, v0
	v_mul_f32_e32 v9, v9, v0
	;;#ASMSTART
	v_med3_f32 v1, v1, v7, v11
v_med3_f32 v2, v2, v7, v11
v_cvt_pk_fp8_f32 v12, v1, v2
	;;#ASMEND
	;;#ASMSTART
	v_med3_f32 v9, v9, v7, v11
v_med3_f32 v10, v10, v7, v11
v_cvt_pk_fp8_f32 v1, v9, v10
	;;#ASMEND
	v_perm_b32 v2, v1, v12, 0x5040100
	s_load_b64 s[0:1], s[0:1], 0x0
	v_dual_mul_f32 v8, v8, v0 :: v_dual_and_b32 v1, 0xffffff00, v1
	v_mul_f32_e32 v6, v6, v0
	s_delay_alu instid0(VALU_DEP_3)
	v_lshrrev_b32_e32 v9, 16, v2
	s_add_i32 s2, s5, 3
	v_mul_f32_e32 v3, v3, v0
	s_ashr_i32 s3, s2, 31
	s_ashr_i32 s4, s6, 31
	v_and_b32_e32 v9, 0xff, v9
	s_lshr_b32 s3, s3, 30
	s_mul_hi_u32 s5, s6, s20
	s_add_i32 s2, s2, s3
	s_mul_i32 s4, s4, s20
	v_or_b32_e32 v1, v9, v1
	v_mul_f32_e32 v0, v4, v0
	;;#ASMSTART
	v_med3_f32 v8, v8, v7, v11
v_med3_f32 v6, v6, v7, v11
v_cvt_pk_fp8_f32 v4, v8, v6
	;;#ASMEND
	s_mul_i32 s3, s6, s20
	s_and_b32 s2, s2, -4
	v_lshlrev_b32_e32 v1, 16, v1
	;;#ASMSTART
	v_med3_f32 v3, v3, v7, v11
v_med3_f32 v0, v0, v7, v11
v_cvt_pk_fp8_f32 v6, v3, v0
	;;#ASMEND
	v_lshlrev_b32_e32 v3, 16, v6
	s_add_i32 s5, s5, s4
	s_waitcnt lgkmcnt(0)
	s_add_u32 s0, s0, s3
	v_and_or_b32 v0, 0xffff, v2, v1
	s_addc_u32 s1, s1, s5
	v_and_or_b32 v1, 0xffff, v4, v3
	s_and_b32 s1, s1, 0xffff
	s_mov_b32 s3, -1
	buffer_store_b64 v[0:1], v5, s[0:3], 0 offen
	;;#ASMSTART
	s_nop 0
	;;#ASMEND
.LBB69_44:
	s_nop 0
	s_sendmsg sendmsg(MSG_DEALLOC_VGPRS)
	s_endpgm
.LBB69_45:
                                        ; implicit-def: $vgpr1_vgpr2
	s_branch .LBB69_32
	.section	.rodata,"a",@progbits
	.p2align	6, 0x0
	.amdhsa_kernel _ZN5aiter24add_rmsnorm_quant_kernelIDF16_DB8_Li128ELi8ELb0ELb1ELb1ELi1EEEvPT0_PT_PfS5_S5_S5_diiiiiiib
		.amdhsa_group_segment_fixed_size 32
		.amdhsa_private_segment_fixed_size 0
		.amdhsa_kernarg_size 88
		.amdhsa_user_sgpr_count 15
		.amdhsa_user_sgpr_dispatch_ptr 0
		.amdhsa_user_sgpr_queue_ptr 0
		.amdhsa_user_sgpr_kernarg_segment_ptr 1
		.amdhsa_user_sgpr_dispatch_id 0
		.amdhsa_user_sgpr_private_segment_size 0
		.amdhsa_wavefront_size32 1
		.amdhsa_uses_dynamic_stack 0
		.amdhsa_enable_private_segment 0
		.amdhsa_system_sgpr_workgroup_id_x 1
		.amdhsa_system_sgpr_workgroup_id_y 0
		.amdhsa_system_sgpr_workgroup_id_z 0
		.amdhsa_system_sgpr_workgroup_info 0
		.amdhsa_system_vgpr_workitem_id 0
		.amdhsa_next_free_vgpr 23
		.amdhsa_next_free_sgpr 29
		.amdhsa_reserve_vcc 1
		.amdhsa_float_round_mode_32 0
		.amdhsa_float_round_mode_16_64 0
		.amdhsa_float_denorm_mode_32 3
		.amdhsa_float_denorm_mode_16_64 3
		.amdhsa_dx10_clamp 1
		.amdhsa_ieee_mode 1
		.amdhsa_fp16_overflow 0
		.amdhsa_workgroup_processor_mode 1
		.amdhsa_memory_ordered 1
		.amdhsa_forward_progress 0
		.amdhsa_shared_vgpr_count 0
		.amdhsa_exception_fp_ieee_invalid_op 0
		.amdhsa_exception_fp_denorm_src 0
		.amdhsa_exception_fp_ieee_div_zero 0
		.amdhsa_exception_fp_ieee_overflow 0
		.amdhsa_exception_fp_ieee_underflow 0
		.amdhsa_exception_fp_ieee_inexact 0
		.amdhsa_exception_int_div_zero 0
	.end_amdhsa_kernel
	.section	.text._ZN5aiter24add_rmsnorm_quant_kernelIDF16_DB8_Li128ELi8ELb0ELb1ELb1ELi1EEEvPT0_PT_PfS5_S5_S5_diiiiiiib,"axG",@progbits,_ZN5aiter24add_rmsnorm_quant_kernelIDF16_DB8_Li128ELi8ELb0ELb1ELb1ELi1EEEvPT0_PT_PfS5_S5_S5_diiiiiiib,comdat
.Lfunc_end69:
	.size	_ZN5aiter24add_rmsnorm_quant_kernelIDF16_DB8_Li128ELi8ELb0ELb1ELb1ELi1EEEvPT0_PT_PfS5_S5_S5_diiiiiiib, .Lfunc_end69-_ZN5aiter24add_rmsnorm_quant_kernelIDF16_DB8_Li128ELi8ELb0ELb1ELb1ELi1EEEvPT0_PT_PfS5_S5_S5_diiiiiiib
                                        ; -- End function
	.section	.AMDGPU.csdata,"",@progbits
; Kernel info:
; codeLenInByte = 3380
; NumSgprs: 31
; NumVgprs: 23
; ScratchSize: 0
; MemoryBound: 0
; FloatMode: 240
; IeeeMode: 1
; LDSByteSize: 32 bytes/workgroup (compile time only)
; SGPRBlocks: 3
; VGPRBlocks: 2
; NumSGPRsForWavesPerEU: 31
; NumVGPRsForWavesPerEU: 23
; Occupancy: 16
; WaveLimiterHint : 0
; COMPUTE_PGM_RSRC2:SCRATCH_EN: 0
; COMPUTE_PGM_RSRC2:USER_SGPR: 15
; COMPUTE_PGM_RSRC2:TRAP_HANDLER: 0
; COMPUTE_PGM_RSRC2:TGID_X_EN: 1
; COMPUTE_PGM_RSRC2:TGID_Y_EN: 0
; COMPUTE_PGM_RSRC2:TGID_Z_EN: 0
; COMPUTE_PGM_RSRC2:TIDIG_COMP_CNT: 0
	.section	.text._ZN5aiter24add_rmsnorm_quant_kernelItDB8_Li128ELi8ELb0ELb1ELb1ELi1EEEvPT0_PT_PfS5_S5_S5_diiiiiiib,"axG",@progbits,_ZN5aiter24add_rmsnorm_quant_kernelItDB8_Li128ELi8ELb0ELb1ELb1ELi1EEEvPT0_PT_PfS5_S5_S5_diiiiiiib,comdat
	.protected	_ZN5aiter24add_rmsnorm_quant_kernelItDB8_Li128ELi8ELb0ELb1ELb1ELi1EEEvPT0_PT_PfS5_S5_S5_diiiiiiib ; -- Begin function _ZN5aiter24add_rmsnorm_quant_kernelItDB8_Li128ELi8ELb0ELb1ELb1ELi1EEEvPT0_PT_PfS5_S5_S5_diiiiiiib
	.globl	_ZN5aiter24add_rmsnorm_quant_kernelItDB8_Li128ELi8ELb0ELb1ELb1ELi1EEEvPT0_PT_PfS5_S5_S5_diiiiiiib
	.p2align	8
	.type	_ZN5aiter24add_rmsnorm_quant_kernelItDB8_Li128ELi8ELb0ELb1ELb1ELi1EEEvPT0_PT_PfS5_S5_S5_diiiiiiib,@function
_ZN5aiter24add_rmsnorm_quant_kernelItDB8_Li128ELi8ELb0ELb1ELb1ELi1EEEvPT0_PT_PfS5_S5_S5_diiiiiiib: ; @_ZN5aiter24add_rmsnorm_quant_kernelItDB8_Li128ELi8ELb0ELb1ELb1ELi1EEEvPT0_PT_PfS5_S5_S5_diiiiiiib
; %bb.0:
	s_load_b128 s[4:7], s[0:1], 0x38
	s_mov_b32 s20, s15
	s_mov_b32 s21, 0
	s_waitcnt lgkmcnt(0)
	s_ashr_i32 s3, s4, 31
	s_mov_b32 s2, s4
	s_delay_alu instid0(SALU_CYCLE_1) | instskip(NEXT) | instid1(VALU_DEP_1)
	v_cmp_ge_i64_e64 s2, s[20:21], s[2:3]
	s_and_b32 vcc_lo, exec_lo, s2
	s_cbranch_vccnz .LBB70_44
; %bb.1:
	s_clause 0x1
	s_load_b128 s[8:11], s[0:1], 0x10
	s_load_b128 s[16:19], s[0:1], 0x28
	s_ashr_i32 s2, s6, 31
	s_mul_hi_u32 s3, s6, s20
	s_mul_i32 s7, s2, s20
	s_mul_i32 s2, s6, s20
	s_add_i32 s3, s3, s7
	v_lshlrev_b32_e32 v1, 4, v0
	s_lshl_b64 s[2:3], s[2:3], 1
	s_mov_b32 s15, -1
	v_and_b32_e32 v15, 31, v0
	s_mov_b32 s27, s15
	s_waitcnt lgkmcnt(0)
	s_add_u32 s12, s10, s2
	s_addc_u32 s2, s11, s3
	s_add_i32 s3, s5, 1
	s_and_b32 s13, s2, 0xffff
	s_lshr_b32 s6, s3, 31
	s_mov_b32 s24, s16
	s_add_i32 s3, s3, s6
	s_and_b32 s25, s17, 0xffff
	s_lshl_b32 s3, s3, 1
	v_cmp_eq_u32_e64 s2, 31, v15
	s_and_b32 s14, s3, -4
	buffer_load_b128 v[10:13], v1, s[12:15], 0 offen glc slc
	s_mov_b32 s26, s14
	s_waitcnt vmcnt(0)
	v_lshrrev_b32_e32 v5, 16, v10
	v_and_b32_e32 v6, 0xffff, v10
	v_lshrrev_b32_e32 v10, 16, v11
	v_lshrrev_b32_e32 v14, 16, v13
	s_delay_alu instid0(VALU_DEP_4) | instskip(NEXT) | instid1(VALU_DEP_4)
	v_cvt_f32_u32_e32 v7, v5
	v_cvt_f32_u32_e32 v8, v6
	s_delay_alu instid0(VALU_DEP_4) | instskip(NEXT) | instid1(VALU_DEP_4)
	v_cvt_f32_u32_e32 v10, v10
	v_cvt_f32_u32_e32 v14, v14
	s_delay_alu instid0(VALU_DEP_4) | instskip(SKIP_2) | instid1(VALU_DEP_1)
	v_mul_f32_e32 v6, v7, v7
	buffer_load_b128 v[1:4], v1, s[24:27], 0 offen
	v_dual_fmac_f32 v6, v8, v8 :: v_dual_and_b32 v5, 0xffff, v11
	v_cvt_f32_u32_e32 v9, v5
	v_and_b32_e32 v5, 0xffff, v12
	v_lshrrev_b32_e32 v12, 16, v12
	s_delay_alu instid0(VALU_DEP_3) | instskip(NEXT) | instid1(VALU_DEP_3)
	v_fmac_f32_e32 v6, v9, v9
	v_cvt_f32_u32_e32 v11, v5
	v_and_b32_e32 v5, 0xffff, v13
	s_delay_alu instid0(VALU_DEP_4) | instskip(NEXT) | instid1(VALU_DEP_4)
	v_cvt_f32_u32_e32 v12, v12
	v_fmac_f32_e32 v6, v10, v10
	s_delay_alu instid0(VALU_DEP_3) | instskip(NEXT) | instid1(VALU_DEP_2)
	v_cvt_f32_u32_e32 v13, v5
	v_fmac_f32_e32 v6, v11, v11
	s_delay_alu instid0(VALU_DEP_1) | instskip(NEXT) | instid1(VALU_DEP_1)
	v_fmac_f32_e32 v6, v12, v12
	v_fmac_f32_e32 v6, v13, v13
	s_delay_alu instid0(VALU_DEP_1) | instskip(NEXT) | instid1(VALU_DEP_1)
	v_fmac_f32_e32 v6, v14, v14
	v_mov_b32_dpp v5, v6 quad_perm:[1,0,3,2] row_mask:0xf bank_mask:0xf
	s_delay_alu instid0(VALU_DEP_1) | instskip(NEXT) | instid1(VALU_DEP_1)
	v_add_f32_e32 v5, v6, v5
	v_mov_b32_dpp v6, v5 quad_perm:[2,3,0,1] row_mask:0xf bank_mask:0xf
	s_delay_alu instid0(VALU_DEP_1) | instskip(NEXT) | instid1(VALU_DEP_1)
	v_add_f32_e32 v5, v5, v6
	v_mov_b32_dpp v6, v5 row_xmask:7 row_mask:0xf bank_mask:0xf
	s_delay_alu instid0(VALU_DEP_1) | instskip(NEXT) | instid1(VALU_DEP_1)
	v_add_f32_e32 v5, v5, v6
	v_mov_b32_dpp v6, v5 row_xmask:15 row_mask:0xf bank_mask:0xf
	s_and_saveexec_b32 s3, s2
	s_cbranch_execz .LBB70_3
; %bb.2:
	s_delay_alu instid0(VALU_DEP_1) | instskip(SKIP_2) | instid1(VALU_DEP_2)
	v_add_f32_e32 v5, v5, v6
	s_mov_b32 s6, 0x76543210
	v_lshrrev_b32_e32 v6, 3, v0
	v_permlanex16_b32 v15, v5, s6, 0xfedcba98 op_sel:[1,1]
	s_delay_alu instid0(VALU_DEP_1)
	v_dual_add_f32 v5, v5, v15 :: v_dual_and_b32 v6, 0x7c, v6
	ds_store_b32 v6, v5 offset:16
.LBB70_3:
	s_or_b32 exec_lo, exec_lo, s3
	v_and_b32_e32 v5, 3, v0
	s_waitcnt vmcnt(0) lgkmcnt(0)
	s_barrier
	buffer_gl0_inv
	v_cvt_f32_i32_e32 v16, s5
	v_lshlrev_b32_e32 v6, 2, v5
	ds_load_b32 v5, v6 offset:16
	s_clause 0x1
	s_load_b64 s[6:7], s[0:1], 0x4c
	s_load_b32 s10, s[0:1], 0x54
	s_waitcnt lgkmcnt(0)
	s_cmp_lg_u32 s7, 0
	v_mov_b32_dpp v15, v5 quad_perm:[1,0,3,2] row_mask:0xf bank_mask:0xf
	s_delay_alu instid0(VALU_DEP_1) | instskip(NEXT) | instid1(VALU_DEP_1)
	v_add_f32_e32 v5, v5, v15
	v_mov_b32_dpp v15, v5 quad_perm:[2,3,0,1] row_mask:0xf bank_mask:0xf
	s_delay_alu instid0(VALU_DEP_1) | instskip(NEXT) | instid1(VALU_DEP_1)
	v_add_f32_e32 v5, v5, v15
	v_div_scale_f32 v15, null, v16, v16, v5
	v_div_scale_f32 v19, vcc_lo, v5, v16, v5
	s_delay_alu instid0(VALU_DEP_2) | instskip(SKIP_2) | instid1(VALU_DEP_1)
	v_rcp_f32_e32 v17, v15
	s_waitcnt_depctr 0xfff
	v_fma_f32 v18, -v15, v17, 1.0
	v_fmac_f32_e32 v17, v18, v17
	s_delay_alu instid0(VALU_DEP_1) | instskip(NEXT) | instid1(VALU_DEP_1)
	v_mul_f32_e32 v18, v19, v17
	v_fma_f32 v20, -v15, v18, v19
	s_delay_alu instid0(VALU_DEP_1) | instskip(SKIP_1) | instid1(VALU_DEP_2)
	v_fmac_f32_e32 v18, v20, v17
	v_mov_b32_e32 v20, 0x2edbe6ff
	v_fma_f32 v15, -v15, v18, v19
	s_delay_alu instid0(VALU_DEP_1)
	v_div_fmas_f32 v15, v15, v17, v18
	v_and_b32_e32 v18, 0xffff, v3
	v_and_b32_e32 v17, 0xffff, v2
	v_lshrrev_b32_e32 v2, 16, v2
	v_lshrrev_b32_e32 v3, 16, v3
	v_div_fixup_f32 v5, v15, v16, v5
	v_cvt_f32_u32_e32 v18, v18
	s_delay_alu instid0(VALU_DEP_4) | instskip(NEXT) | instid1(VALU_DEP_4)
	v_cvt_f32_u32_e32 v2, v2
	v_cvt_f32_u32_e32 v3, v3
	s_delay_alu instid0(VALU_DEP_4) | instskip(NEXT) | instid1(VALU_DEP_1)
	v_cvt_f64_f32_e32 v[15:16], v5
	v_add_f64 v[15:16], v[15:16], s[18:19]
	s_delay_alu instid0(VALU_DEP_1) | instskip(SKIP_2) | instid1(VALU_DEP_2)
	v_cvt_f32_f64_e32 v5, v[15:16]
	v_and_b32_e32 v16, 0xffff, v1
	v_lshrrev_b32_e32 v1, 16, v1
	v_cvt_f32_u32_e32 v16, v16
	s_delay_alu instid0(VALU_DEP_2) | instskip(SKIP_2) | instid1(VALU_DEP_2)
	v_cvt_f32_u32_e32 v1, v1
	v_mul_f32_e32 v15, 0x4b800000, v5
	v_cmp_gt_f32_e32 vcc_lo, 0x800000, v5
	v_cndmask_b32_e32 v15, v5, v15, vcc_lo
	v_lshlrev_b32_e32 v5, 3, v0
	s_delay_alu instid0(VALU_DEP_2) | instskip(SKIP_2) | instid1(VALU_DEP_1)
	v_rsq_f32_e32 v15, v15
	s_waitcnt_depctr 0xfff
	v_mul_f32_e32 v21, 0x45800000, v15
	v_cndmask_b32_e32 v15, v15, v21, vcc_lo
	s_delay_alu instid0(VALU_DEP_1) | instskip(SKIP_2) | instid1(VALU_DEP_2)
	v_mul_f32_e32 v8, v15, v8
	v_mul_f32_e32 v21, v15, v11
	v_cvt_f32_u32_e32 v17, v17
	v_dual_mul_f32 v11, v8, v16 :: v_dual_mul_f32 v8, v21, v18
	v_dual_mul_f32 v10, v15, v10 :: v_dual_and_b32 v19, 0xffff, v4
	v_lshrrev_b32_e32 v4, 16, v4
	v_mul_f32_e32 v14, v15, v14
	v_mul_f32_e32 v22, v15, v12
	s_delay_alu instid0(VALU_DEP_4) | instskip(SKIP_2) | instid1(VALU_DEP_1)
	v_cvt_f32_u32_e32 v19, v19
	v_mul_f32_e32 v10, v10, v2
	v_cvt_f32_u32_e32 v4, v4
	v_dual_mul_f32 v7, v15, v7 :: v_dual_mul_f32 v4, v14, v4
	s_delay_alu instid0(VALU_DEP_1)
	v_mul_f32_e32 v12, v7, v1
	v_mul_f32_e32 v9, v15, v9
	;; [unrolled: 1-line block ×3, first 2 shown]
	v_and_b32_e32 v1, 0x7fffffff, v11
	v_dual_mul_f32 v13, v15, v13 :: v_dual_and_b32 v18, 0x7fffffff, v4
	v_and_b32_e32 v2, 0x7fffffff, v12
	s_delay_alu instid0(VALU_DEP_4) | instskip(SKIP_1) | instid1(VALU_DEP_3)
	v_dual_mul_f32 v9, v9, v17 :: v_dual_and_b32 v16, 0x7fffffff, v7
	;;#ASMSTART
	v_max3_f32 v1, v20, v1, v2

	;;#ASMEND
	v_dual_mul_f32 v3, v13, v19 :: v_dual_and_b32 v14, 0x7fffffff, v10
	v_and_b32_e32 v15, 0x7fffffff, v8
	s_delay_alu instid0(VALU_DEP_3) | instskip(SKIP_1) | instid1(VALU_DEP_3)
	v_and_b32_e32 v13, 0x7fffffff, v9
	;;#ASMSTART
	v_max3_f32 v1, v1, v13, v14

	;;#ASMEND
	v_and_b32_e32 v17, 0x7fffffff, v3
	;;#ASMSTART
	v_max3_f32 v1, v1, v15, v16

	;;#ASMEND
	;;#ASMSTART
	v_max3_f32 v13, v1, v17, v18

	;;#ASMEND
	s_cbranch_scc0 .LBB70_10
; %bb.4:
	s_ashr_i32 s11, s7, 31
	s_delay_alu instid0(SALU_CYCLE_1) | instskip(NEXT) | instid1(SALU_CYCLE_1)
	s_lshr_b32 s3, s11, 29
	s_add_i32 s3, s7, s3
	s_delay_alu instid0(SALU_CYCLE_1) | instskip(NEXT) | instid1(SALU_CYCLE_1)
	s_ashr_i32 s3, s3, 3
	s_cmp_lt_i32 s3, 8
	s_cbranch_scc1 .LBB70_11
; %bb.5:
	s_cmp_lt_i32 s3, 16
	s_cbranch_scc1 .LBB70_12
; %bb.6:
	;; [unrolled: 3-line block ×3, first 2 shown]
	v_mov_b32_e32 v1, v13
	s_cmp_eq_u32 s3, 32
	s_cbranch_scc0 .LBB70_9
; %bb.8:
	s_delay_alu instid0(VALU_DEP_1) | instskip(SKIP_1) | instid1(VALU_DEP_1)
	v_mov_b32_dpp v1, v13 quad_perm:[1,0,3,2] row_mask:0xf bank_mask:0xf
	s_mov_b32 s12, 0x76543210
	v_cmp_gt_f32_e32 vcc_lo, v13, v1
	v_cndmask_b32_e32 v1, v1, v13, vcc_lo
	s_delay_alu instid0(VALU_DEP_1) | instskip(NEXT) | instid1(VALU_DEP_1)
	v_mov_b32_dpp v2, v1 quad_perm:[2,3,0,1] row_mask:0xf bank_mask:0xf
	v_cmp_gt_f32_e32 vcc_lo, v1, v2
	v_cndmask_b32_e32 v1, v2, v1, vcc_lo
	s_delay_alu instid0(VALU_DEP_1) | instskip(NEXT) | instid1(VALU_DEP_1)
	v_mov_b32_dpp v2, v1 row_xmask:7 row_mask:0xf bank_mask:0xf
	v_cmp_gt_f32_e32 vcc_lo, v1, v2
	v_cndmask_b32_e32 v1, v2, v1, vcc_lo
	s_delay_alu instid0(VALU_DEP_1) | instskip(NEXT) | instid1(VALU_DEP_1)
	v_mov_b32_dpp v2, v1 row_xmask:15 row_mask:0xf bank_mask:0xf
	v_cmp_gt_f32_e32 vcc_lo, v1, v2
	v_cndmask_b32_e32 v1, v2, v1, vcc_lo
	s_delay_alu instid0(VALU_DEP_1) | instskip(NEXT) | instid1(VALU_DEP_1)
	v_permlanex16_b32 v2, v1, s12, 0xfedcba98 op_sel:[1,1]
	v_cmp_gt_f32_e32 vcc_lo, v1, v2
	v_cndmask_b32_e32 v1, v2, v1, vcc_lo
.LBB70_9:
	s_mov_b32 s12, 0
	s_branch .LBB70_14
.LBB70_10:
	s_mov_b32 s3, 0
                                        ; implicit-def: $vgpr14
                                        ; implicit-def: $vgpr1_vgpr2
	s_and_b32 vcc_lo, exec_lo, s15
	s_cbranch_vccnz .LBB70_38
	s_branch .LBB70_41
.LBB70_11:
                                        ; implicit-def: $vgpr1
	s_branch .LBB70_21
.LBB70_12:
                                        ; implicit-def: $vgpr1
	s_branch .LBB70_18
.LBB70_13:
	s_mov_b32 s12, -1
                                        ; implicit-def: $vgpr1
.LBB70_14:
	s_delay_alu instid0(SALU_CYCLE_1)
	s_and_not1_b32 vcc_lo, exec_lo, s12
	s_cbranch_vccnz .LBB70_17
; %bb.15:
	v_mov_b32_e32 v1, v13
	s_cmp_eq_u32 s3, 16
	s_cbranch_scc0 .LBB70_17
; %bb.16:
	s_delay_alu instid0(VALU_DEP_1) | instskip(NEXT) | instid1(VALU_DEP_1)
	v_mov_b32_dpp v1, v13 quad_perm:[1,0,3,2] row_mask:0xf bank_mask:0xf
	v_cmp_gt_f32_e32 vcc_lo, v13, v1
	v_cndmask_b32_e32 v1, v1, v13, vcc_lo
	s_delay_alu instid0(VALU_DEP_1) | instskip(NEXT) | instid1(VALU_DEP_1)
	v_mov_b32_dpp v2, v1 quad_perm:[2,3,0,1] row_mask:0xf bank_mask:0xf
	v_cmp_gt_f32_e32 vcc_lo, v1, v2
	v_cndmask_b32_e32 v1, v2, v1, vcc_lo
	s_delay_alu instid0(VALU_DEP_1) | instskip(NEXT) | instid1(VALU_DEP_1)
	v_mov_b32_dpp v2, v1 row_half_mirror row_mask:0xf bank_mask:0xf
	v_cmp_gt_f32_e32 vcc_lo, v1, v2
	v_cndmask_b32_e32 v1, v2, v1, vcc_lo
	s_delay_alu instid0(VALU_DEP_1) | instskip(NEXT) | instid1(VALU_DEP_1)
	v_mov_b32_dpp v2, v1 row_mirror row_mask:0xf bank_mask:0xf
	v_cmp_gt_f32_e32 vcc_lo, v1, v2
	v_cndmask_b32_e32 v1, v2, v1, vcc_lo
.LBB70_17:
	s_cbranch_execnz .LBB70_20
.LBB70_18:
	v_mov_b32_e32 v1, v13
	s_cmp_eq_u32 s3, 8
	s_cbranch_scc0 .LBB70_20
; %bb.19:
	s_delay_alu instid0(VALU_DEP_1) | instskip(NEXT) | instid1(VALU_DEP_1)
	v_mov_b32_dpp v1, v13 quad_perm:[1,0,3,2] row_mask:0xf bank_mask:0xf
	v_cmp_gt_f32_e32 vcc_lo, v13, v1
	v_cndmask_b32_e32 v1, v1, v13, vcc_lo
	s_delay_alu instid0(VALU_DEP_1) | instskip(NEXT) | instid1(VALU_DEP_1)
	v_mov_b32_dpp v2, v1 quad_perm:[2,3,0,1] row_mask:0xf bank_mask:0xf
	v_cmp_gt_f32_e32 vcc_lo, v1, v2
	v_cndmask_b32_e32 v1, v2, v1, vcc_lo
	s_delay_alu instid0(VALU_DEP_1) | instskip(NEXT) | instid1(VALU_DEP_1)
	v_mov_b32_dpp v2, v1 row_half_mirror row_mask:0xf bank_mask:0xf
	v_cmp_gt_f32_e32 vcc_lo, v1, v2
	v_cndmask_b32_e32 v1, v2, v1, vcc_lo
.LBB70_20:
	s_cbranch_execnz .LBB70_28
.LBB70_21:
	s_cmp_lt_i32 s3, 4
	s_cbranch_scc1 .LBB70_24
; %bb.22:
	v_mov_b32_e32 v1, v13
	s_cmp_eq_u32 s3, 4
	s_cbranch_scc0 .LBB70_25
; %bb.23:
	s_delay_alu instid0(VALU_DEP_1) | instskip(NEXT) | instid1(VALU_DEP_1)
	v_mov_b32_dpp v1, v13 quad_perm:[1,0,3,2] row_mask:0xf bank_mask:0xf
	v_cmp_gt_f32_e32 vcc_lo, v13, v1
	v_cndmask_b32_e32 v1, v1, v13, vcc_lo
	s_delay_alu instid0(VALU_DEP_1) | instskip(NEXT) | instid1(VALU_DEP_1)
	v_mov_b32_dpp v2, v1 quad_perm:[2,3,0,1] row_mask:0xf bank_mask:0xf
	v_cmp_gt_f32_e32 vcc_lo, v1, v2
	v_cndmask_b32_e32 v1, v2, v1, vcc_lo
	s_cbranch_execz .LBB70_26
	s_branch .LBB70_28
.LBB70_24:
                                        ; implicit-def: $vgpr1
	s_branch .LBB70_26
.LBB70_25:
	s_cbranch_execnz .LBB70_28
.LBB70_26:
	v_mov_b32_e32 v1, v13
	s_cmp_lg_u32 s3, 2
	s_cbranch_scc1 .LBB70_28
; %bb.27:
	s_delay_alu instid0(VALU_DEP_1) | instskip(NEXT) | instid1(VALU_DEP_1)
	v_mov_b32_dpp v1, v13 quad_perm:[1,0,3,2] row_mask:0xf bank_mask:0xf
	v_cmp_gt_f32_e32 vcc_lo, v13, v1
	v_cndmask_b32_e32 v1, v1, v13, vcc_lo
.LBB70_28:
	v_cvt_f32_u32_e32 v2, s3
	s_sub_i32 s12, 0, s3
	s_mov_b32 s15, 0
	s_delay_alu instid0(VALU_DEP_1) | instskip(SKIP_2) | instid1(VALU_DEP_1)
	v_rcp_iflag_f32_e32 v2, v2
	s_waitcnt_depctr 0xfff
	v_mul_f32_e32 v2, 0x4f7ffffe, v2
	v_cvt_u32_f32_e32 v2, v2
	s_delay_alu instid0(VALU_DEP_1) | instskip(NEXT) | instid1(VALU_DEP_1)
	v_mul_lo_u32 v14, s12, v2
	v_mul_hi_u32 v14, v2, v14
	s_delay_alu instid0(VALU_DEP_1) | instskip(NEXT) | instid1(VALU_DEP_1)
	v_add_nc_u32_e32 v2, v2, v14
	v_mul_hi_u32 v2, v0, v2
	s_delay_alu instid0(VALU_DEP_1) | instskip(NEXT) | instid1(VALU_DEP_1)
	v_mul_lo_u32 v14, v2, s3
	v_sub_nc_u32_e32 v14, v0, v14
	s_delay_alu instid0(VALU_DEP_1) | instskip(SKIP_1) | instid1(VALU_DEP_2)
	v_subrev_nc_u32_e32 v16, s3, v14
	v_cmp_le_u32_e32 vcc_lo, s3, v14
	v_dual_cndmask_b32 v14, v14, v16 :: v_dual_add_nc_u32 v15, 1, v2
	s_delay_alu instid0(VALU_DEP_1) | instskip(NEXT) | instid1(VALU_DEP_2)
	v_cndmask_b32_e32 v2, v2, v15, vcc_lo
	v_cmp_le_u32_e32 vcc_lo, s3, v14
	s_delay_alu instid0(VALU_DEP_2) | instskip(NEXT) | instid1(VALU_DEP_1)
	v_dual_mul_f32 v14, 0x3b124925, v1 :: v_dual_add_nc_u32 v15, 1, v2
	v_cndmask_b32_e32 v15, v2, v15, vcc_lo
	v_cmp_gt_u32_e32 vcc_lo, s5, v5
	s_delay_alu instid0(VALU_DEP_2) | instskip(NEXT) | instid1(VALU_DEP_1)
	v_mul_lo_u32 v2, v15, s3
	v_sub_nc_u32_e32 v2, v0, v2
	s_delay_alu instid0(VALU_DEP_1) | instskip(NEXT) | instid1(VALU_DEP_1)
	v_cmp_eq_u32_e64 s3, 0, v2
                                        ; implicit-def: $vgpr1_vgpr2
	s_and_b32 s12, s3, vcc_lo
	s_mov_b32 s3, 0
	s_and_saveexec_b32 s13, s12
	s_delay_alu instid0(SALU_CYCLE_1)
	s_xor_b32 s14, exec_lo, s13
	s_cbranch_execz .LBB70_37
; %bb.29:
	s_bitcmp0_b32 s10, 0
	s_mov_b32 s16, 0
	s_cbranch_scc0 .LBB70_34
; %bb.30:
	s_ashr_i32 s3, s5, 31
	s_mul_hi_u32 s10, s5, s20
	s_mul_i32 s3, s3, s20
	s_mul_i32 s12, s5, s20
	s_add_i32 s13, s10, s3
	s_mov_b32 s10, s7
	s_delay_alu instid0(SALU_CYCLE_1) | instskip(NEXT) | instid1(SALU_CYCLE_1)
	s_or_b64 s[18:19], s[12:13], s[10:11]
	s_mov_b32 s17, s19
	s_delay_alu instid0(SALU_CYCLE_1)
	s_cmp_lg_u64 s[16:17], 0
	s_cbranch_scc0 .LBB70_45
; %bb.31:
	s_add_u32 s18, s10, s11
	s_mov_b32 s16, s11
	s_mov_b32 s17, s11
	s_addc_u32 s19, s11, s11
	s_delay_alu instid0(SALU_CYCLE_1) | instskip(NEXT) | instid1(SALU_CYCLE_1)
	s_xor_b64 s[18:19], s[18:19], s[16:17]
	v_cvt_f32_u32_e32 v1, s18
	v_cvt_f32_u32_e32 v2, s19
	s_sub_u32 s11, 0, s18
	s_subb_u32 s22, 0, s19
	s_delay_alu instid0(VALU_DEP_1) | instskip(NEXT) | instid1(VALU_DEP_1)
	v_fmamk_f32 v1, v2, 0x4f800000, v1
	v_rcp_f32_e32 v1, v1
	s_waitcnt_depctr 0xfff
	v_mul_f32_e32 v1, 0x5f7ffffc, v1
	s_delay_alu instid0(VALU_DEP_1) | instskip(NEXT) | instid1(VALU_DEP_1)
	v_mul_f32_e32 v2, 0x2f800000, v1
	v_trunc_f32_e32 v2, v2
	s_delay_alu instid0(VALU_DEP_1) | instskip(SKIP_1) | instid1(VALU_DEP_2)
	v_fmamk_f32 v1, v2, 0xcf800000, v1
	v_cvt_u32_f32_e32 v2, v2
	v_cvt_u32_f32_e32 v1, v1
	s_delay_alu instid0(VALU_DEP_2) | instskip(NEXT) | instid1(VALU_DEP_2)
	v_readfirstlane_b32 s3, v2
	v_readfirstlane_b32 s7, v1
	s_delay_alu instid0(VALU_DEP_2) | instskip(NEXT) | instid1(VALU_DEP_1)
	s_mul_i32 s23, s11, s3
	s_mul_hi_u32 s25, s11, s7
	s_mul_i32 s24, s22, s7
	s_add_i32 s23, s25, s23
	s_mul_i32 s26, s11, s7
	s_add_i32 s23, s23, s24
	s_mul_hi_u32 s25, s7, s26
	s_mul_hi_u32 s27, s3, s26
	s_mul_i32 s24, s3, s26
	s_mul_hi_u32 s26, s7, s23
	s_mul_i32 s7, s7, s23
	s_mul_hi_u32 s28, s3, s23
	s_add_u32 s7, s25, s7
	s_addc_u32 s25, 0, s26
	s_add_u32 s7, s7, s24
	s_mul_i32 s23, s3, s23
	s_addc_u32 s7, s25, s27
	s_addc_u32 s24, s28, 0
	s_add_u32 s7, s7, s23
	s_addc_u32 s23, 0, s24
	v_add_co_u32 v1, s7, v1, s7
	s_delay_alu instid0(VALU_DEP_1) | instskip(SKIP_1) | instid1(VALU_DEP_1)
	s_cmp_lg_u32 s7, 0
	s_addc_u32 s3, s3, s23
	v_readfirstlane_b32 s7, v1
	s_mul_i32 s23, s11, s3
	s_delay_alu instid0(VALU_DEP_1)
	s_mul_hi_u32 s24, s11, s7
	s_mul_i32 s22, s22, s7
	s_add_i32 s23, s24, s23
	s_mul_i32 s11, s11, s7
	s_add_i32 s23, s23, s22
	s_mul_hi_u32 s24, s3, s11
	s_mul_i32 s25, s3, s11
	s_mul_hi_u32 s11, s7, s11
	s_mul_hi_u32 s26, s7, s23
	s_mul_i32 s7, s7, s23
	s_mul_hi_u32 s22, s3, s23
	s_add_u32 s7, s11, s7
	s_addc_u32 s11, 0, s26
	s_add_u32 s7, s7, s25
	s_mul_i32 s23, s3, s23
	s_addc_u32 s7, s11, s24
	s_addc_u32 s11, s22, 0
	s_add_u32 s7, s7, s23
	s_addc_u32 s11, 0, s11
	v_add_co_u32 v1, s7, v1, s7
	s_delay_alu instid0(VALU_DEP_1) | instskip(SKIP_2) | instid1(VALU_DEP_1)
	s_cmp_lg_u32 s7, 0
	s_addc_u32 s3, s3, s11
	s_ashr_i32 s22, s13, 31
	v_readfirstlane_b32 s7, v1
	s_add_u32 s24, s12, s22
	s_mov_b32 s23, s22
	s_addc_u32 s25, s13, s22
	s_delay_alu instid0(SALU_CYCLE_1) | instskip(NEXT) | instid1(SALU_CYCLE_1)
	s_xor_b64 s[24:25], s[24:25], s[22:23]
	s_mul_i32 s13, s24, s3
	s_mul_hi_u32 s26, s24, s7
	s_mul_hi_u32 s11, s24, s3
	;; [unrolled: 1-line block ×3, first 2 shown]
	s_mul_i32 s7, s25, s7
	s_add_u32 s13, s26, s13
	s_addc_u32 s11, 0, s11
	s_mul_hi_u32 s27, s25, s3
	s_add_u32 s7, s13, s7
	s_mul_i32 s3, s25, s3
	s_addc_u32 s7, s11, s28
	s_addc_u32 s11, s27, 0
	s_add_u32 s7, s7, s3
	s_addc_u32 s11, 0, s11
	s_mul_i32 s27, s18, s7
	s_mul_hi_u32 s3, s18, s7
	s_mul_i32 s26, s18, s11
	v_sub_co_u32 v1, s24, s24, s27
	s_mul_i32 s13, s19, s7
	s_add_i32 s3, s3, s26
	s_delay_alu instid0(SALU_CYCLE_1) | instskip(NEXT) | instid1(VALU_DEP_1)
	s_add_i32 s3, s3, s13
	v_sub_co_u32 v2, s26, v1, s18
	s_sub_i32 s13, s25, s3
	s_cmp_lg_u32 s24, 0
	s_subb_u32 s13, s13, s19
	s_cmp_lg_u32 s26, 0
	v_cmp_le_u32_e32 vcc_lo, s18, v2
	s_subb_u32 s13, s13, 0
	s_delay_alu instid0(SALU_CYCLE_1)
	s_cmp_ge_u32 s13, s19
	v_cndmask_b32_e64 v2, 0, -1, vcc_lo
	s_cselect_b32 s26, -1, 0
	s_cmp_eq_u32 s13, s19
	s_cselect_b32 vcc_lo, -1, 0
	s_add_u32 s13, s7, 1
	v_cndmask_b32_e32 v2, s26, v2, vcc_lo
	s_addc_u32 s26, s11, 0
	s_add_u32 s27, s7, 2
	s_addc_u32 s28, s11, 0
	s_cmp_lg_u32 s24, 0
	v_cmp_le_u32_e32 vcc_lo, s18, v1
	s_subb_u32 s3, s25, s3
	v_mov_b32_e32 v16, s27
	s_cmp_ge_u32 s3, s19
	v_cndmask_b32_e64 v1, 0, -1, vcc_lo
	s_cselect_b32 s18, -1, 0
	s_cmp_eq_u32 s3, s19
	v_cmp_ne_u32_e32 vcc_lo, 0, v2
	v_mov_b32_e32 v2, s28
	s_cselect_b32 s3, -1, 0
	s_xor_b64 s[16:17], s[22:23], s[16:17]
	v_cndmask_b32_e64 v1, s18, v1, s3
	v_cndmask_b32_e32 v16, s13, v16, vcc_lo
	v_cndmask_b32_e32 v2, s26, v2, vcc_lo
	s_delay_alu instid0(VALU_DEP_3) | instskip(NEXT) | instid1(VALU_DEP_2)
	v_cmp_ne_u32_e32 vcc_lo, 0, v1
	v_cndmask_b32_e32 v1, s11, v2, vcc_lo
	s_delay_alu instid0(VALU_DEP_4) | instskip(NEXT) | instid1(VALU_DEP_2)
	v_cndmask_b32_e32 v2, s7, v16, vcc_lo
	v_xor_b32_e32 v16, s17, v1
	s_delay_alu instid0(VALU_DEP_2) | instskip(NEXT) | instid1(VALU_DEP_1)
	v_xor_b32_e32 v2, s16, v2
	v_sub_co_u32 v1, vcc_lo, v2, s16
	s_delay_alu instid0(VALU_DEP_3)
	v_subrev_co_ci_u32_e32 v2, vcc_lo, s17, v16, vcc_lo
	s_cbranch_execnz .LBB70_33
.LBB70_32:
	v_cvt_f32_u32_e32 v1, s10
	s_sub_i32 s7, 0, s10
	s_delay_alu instid0(VALU_DEP_1) | instskip(SKIP_2) | instid1(VALU_DEP_1)
	v_rcp_iflag_f32_e32 v1, v1
	s_waitcnt_depctr 0xfff
	v_mul_f32_e32 v1, 0x4f7ffffe, v1
	v_cvt_u32_f32_e32 v1, v1
	s_delay_alu instid0(VALU_DEP_1) | instskip(NEXT) | instid1(VALU_DEP_1)
	v_readfirstlane_b32 s3, v1
	s_mul_i32 s7, s7, s3
	s_delay_alu instid0(SALU_CYCLE_1) | instskip(NEXT) | instid1(SALU_CYCLE_1)
	s_mul_hi_u32 s7, s3, s7
	s_add_i32 s3, s3, s7
	s_delay_alu instid0(SALU_CYCLE_1) | instskip(NEXT) | instid1(SALU_CYCLE_1)
	s_mul_hi_u32 s3, s12, s3
	s_mul_i32 s7, s3, s10
	s_add_i32 s11, s3, 1
	s_sub_i32 s7, s12, s7
	s_delay_alu instid0(SALU_CYCLE_1)
	s_sub_i32 s12, s7, s10
	s_cmp_ge_u32 s7, s10
	s_cselect_b32 s3, s11, s3
	s_cselect_b32 s7, s12, s7
	s_add_i32 s12, s3, 1
	s_cmp_ge_u32 s7, s10
	s_mov_b32 s11, 0
	s_cselect_b32 s10, s12, s3
	s_delay_alu instid0(SALU_CYCLE_1)
	v_dual_mov_b32 v1, s10 :: v_dual_mov_b32 v2, s11
.LBB70_33:
	s_delay_alu instid0(VALU_DEP_1) | instskip(NEXT) | instid1(VALU_DEP_2)
	v_add_co_u32 v1, vcc_lo, v1, v15
	v_add_co_ci_u32_e32 v2, vcc_lo, 0, v2, vcc_lo
	s_branch .LBB70_36
.LBB70_34:
                                        ; implicit-def: $vgpr1_vgpr2
	s_cbranch_execz .LBB70_36
; %bb.35:
	v_mul_lo_u32 v1, v15, s4
	s_delay_alu instid0(VALU_DEP_1) | instskip(SKIP_1) | instid1(VALU_DEP_2)
	v_ashrrev_i32_e32 v2, 31, v1
	v_add_co_u32 v1, vcc_lo, v1, s20
	v_add_co_ci_u32_e32 v2, vcc_lo, 0, v2, vcc_lo
.LBB70_36:
	s_mov_b32 s3, exec_lo
.LBB70_37:
	s_or_b32 exec_lo, exec_lo, s14
	s_delay_alu instid0(SALU_CYCLE_1)
	s_and_b32 vcc_lo, exec_lo, s15
	s_cbranch_vccz .LBB70_41
.LBB70_38:
	v_mov_b32_dpp v1, v13 quad_perm:[1,0,3,2] row_mask:0xf bank_mask:0xf
	s_delay_alu instid0(VALU_DEP_1) | instskip(SKIP_1) | instid1(VALU_DEP_1)
	v_cmp_gt_f32_e32 vcc_lo, v13, v1
	v_cndmask_b32_e32 v1, v1, v13, vcc_lo
	v_mov_b32_dpp v2, v1 quad_perm:[2,3,0,1] row_mask:0xf bank_mask:0xf
	s_delay_alu instid0(VALU_DEP_1) | instskip(SKIP_1) | instid1(VALU_DEP_1)
	v_cmp_gt_f32_e32 vcc_lo, v1, v2
	v_cndmask_b32_e32 v1, v2, v1, vcc_lo
	v_mov_b32_dpp v2, v1 row_xmask:7 row_mask:0xf bank_mask:0xf
	s_delay_alu instid0(VALU_DEP_1) | instskip(SKIP_1) | instid1(VALU_DEP_1)
	v_cmp_gt_f32_e32 vcc_lo, v1, v2
	v_cndmask_b32_e32 v1, v2, v1, vcc_lo
	v_mov_b32_dpp v2, v1 row_xmask:15 row_mask:0xf bank_mask:0xf
	s_delay_alu instid0(VALU_DEP_1)
	v_cmp_gt_f32_e32 vcc_lo, v1, v2
	s_and_saveexec_b32 s3, s2
	s_cbranch_execz .LBB70_40
; %bb.39:
	v_cndmask_b32_e32 v1, v2, v1, vcc_lo
	v_lshrrev_b32_e32 v2, 3, v0
	s_mov_b32 s2, 0x76543210
	s_delay_alu instid0(VALU_DEP_1) | instskip(NEXT) | instid1(VALU_DEP_3)
	v_and_b32_e32 v2, 0x7c, v2
	v_permlanex16_b32 v13, v1, s2, 0xfedcba98 op_sel:[1,1]
	s_delay_alu instid0(VALU_DEP_1)
	v_cmp_gt_f32_e32 vcc_lo, v1, v13
	v_cndmask_b32_e32 v1, v13, v1, vcc_lo
	ds_store_b32 v2, v1
.LBB70_40:
	s_or_b32 exec_lo, exec_lo, s3
	s_waitcnt lgkmcnt(0)
	s_barrier
	buffer_gl0_inv
	ds_load_b32 v1, v6
	v_cmp_eq_u32_e64 s3, 0, v0
	s_waitcnt lgkmcnt(0)
	v_mov_b32_dpp v2, v1 quad_perm:[1,0,3,2] row_mask:0xf bank_mask:0xf
	s_delay_alu instid0(VALU_DEP_1) | instskip(SKIP_1) | instid1(VALU_DEP_1)
	v_cmp_gt_f32_e32 vcc_lo, v1, v2
	v_cndmask_b32_e32 v1, v2, v1, vcc_lo
	v_mov_b32_dpp v2, v1 quad_perm:[2,3,0,1] row_mask:0xf bank_mask:0xf
	s_delay_alu instid0(VALU_DEP_1) | instskip(SKIP_1) | instid1(VALU_DEP_1)
	v_cmp_gt_f32_e32 vcc_lo, v1, v2
	v_cndmask_b32_e32 v1, v2, v1, vcc_lo
	v_dual_mul_f32 v14, 0x3b124925, v1 :: v_dual_mov_b32 v1, s20
	v_mov_b32_e32 v2, s21
.LBB70_41:
	s_and_saveexec_b32 s2, s3
	s_cbranch_execz .LBB70_43
; %bb.42:
	s_delay_alu instid0(VALU_DEP_1) | instskip(NEXT) | instid1(VALU_DEP_1)
	v_lshlrev_b64 v[0:1], 2, v[1:2]
	v_add_co_u32 v0, vcc_lo, s8, v0
	s_delay_alu instid0(VALU_DEP_2)
	v_add_co_ci_u32_e32 v1, vcc_lo, s9, v1, vcc_lo
	global_store_b32 v[0:1], v14, off
.LBB70_43:
	s_or_b32 exec_lo, exec_lo, s2
	;;#ASMSTART
	v_rcp_f32 v0, v14
	;;#ASMEND
	v_dual_mul_f32 v1, v11, v0 :: v_dual_mov_b32 v6, 0xc3e00000
	v_dual_mul_f32 v2, v12, v0 :: v_dual_mov_b32 v11, 0x43e00000
	v_mul_f32_e32 v9, v9, v0
	v_mul_f32_e32 v10, v10, v0
	;;#ASMSTART
	v_med3_f32 v1, v1, v6, v11
v_med3_f32 v2, v2, v6, v11
v_cvt_pk_fp8_f32 v12, v1, v2
	;;#ASMEND
	;;#ASMSTART
	v_med3_f32 v9, v9, v6, v11
v_med3_f32 v10, v10, v6, v11
v_cvt_pk_fp8_f32 v1, v9, v10
	;;#ASMEND
	v_perm_b32 v2, v1, v12, 0x5040100
	v_and_b32_e32 v1, 0xffffff00, v1
	s_load_b64 s[0:1], s[0:1], 0x0
	v_mul_f32_e32 v8, v8, v0
	s_add_i32 s2, s5, 3
	v_lshrrev_b32_e32 v9, 16, v2
	s_ashr_i32 s3, s2, 31
	v_mul_f32_e32 v7, v7, v0
	v_mul_f32_e32 v3, v3, v0
	s_ashr_i32 s4, s6, 31
	v_and_b32_e32 v9, 0xff, v9
	s_lshr_b32 s3, s3, 30
	s_mul_hi_u32 s5, s6, s20
	s_add_i32 s2, s2, s3
	s_mul_i32 s4, s4, s20
	v_or_b32_e32 v1, v9, v1
	v_mul_f32_e32 v0, v4, v0
	;;#ASMSTART
	v_med3_f32 v8, v8, v6, v11
v_med3_f32 v7, v7, v6, v11
v_cvt_pk_fp8_f32 v4, v8, v7
	;;#ASMEND
	s_mul_i32 s3, s6, s20
	s_and_b32 s2, s2, -4
	v_lshlrev_b32_e32 v1, 16, v1
	;;#ASMSTART
	v_med3_f32 v3, v3, v6, v11
v_med3_f32 v0, v0, v6, v11
v_cvt_pk_fp8_f32 v6, v3, v0
	;;#ASMEND
	v_lshlrev_b32_e32 v3, 16, v6
	s_add_i32 s5, s5, s4
	s_waitcnt lgkmcnt(0)
	s_add_u32 s0, s0, s3
	v_and_or_b32 v0, 0xffff, v2, v1
	s_addc_u32 s1, s1, s5
	v_and_or_b32 v1, 0xffff, v4, v3
	s_and_b32 s1, s1, 0xffff
	s_mov_b32 s3, -1
	buffer_store_b64 v[0:1], v5, s[0:3], 0 offen
	;;#ASMSTART
	s_nop 0
	;;#ASMEND
.LBB70_44:
	s_nop 0
	s_sendmsg sendmsg(MSG_DEALLOC_VGPRS)
	s_endpgm
.LBB70_45:
                                        ; implicit-def: $vgpr1_vgpr2
	s_branch .LBB70_32
	.section	.rodata,"a",@progbits
	.p2align	6, 0x0
	.amdhsa_kernel _ZN5aiter24add_rmsnorm_quant_kernelItDB8_Li128ELi8ELb0ELb1ELb1ELi1EEEvPT0_PT_PfS5_S5_S5_diiiiiiib
		.amdhsa_group_segment_fixed_size 32
		.amdhsa_private_segment_fixed_size 0
		.amdhsa_kernarg_size 88
		.amdhsa_user_sgpr_count 15
		.amdhsa_user_sgpr_dispatch_ptr 0
		.amdhsa_user_sgpr_queue_ptr 0
		.amdhsa_user_sgpr_kernarg_segment_ptr 1
		.amdhsa_user_sgpr_dispatch_id 0
		.amdhsa_user_sgpr_private_segment_size 0
		.amdhsa_wavefront_size32 1
		.amdhsa_uses_dynamic_stack 0
		.amdhsa_enable_private_segment 0
		.amdhsa_system_sgpr_workgroup_id_x 1
		.amdhsa_system_sgpr_workgroup_id_y 0
		.amdhsa_system_sgpr_workgroup_id_z 0
		.amdhsa_system_sgpr_workgroup_info 0
		.amdhsa_system_vgpr_workitem_id 0
		.amdhsa_next_free_vgpr 23
		.amdhsa_next_free_sgpr 29
		.amdhsa_reserve_vcc 1
		.amdhsa_float_round_mode_32 0
		.amdhsa_float_round_mode_16_64 0
		.amdhsa_float_denorm_mode_32 3
		.amdhsa_float_denorm_mode_16_64 3
		.amdhsa_dx10_clamp 1
		.amdhsa_ieee_mode 1
		.amdhsa_fp16_overflow 0
		.amdhsa_workgroup_processor_mode 1
		.amdhsa_memory_ordered 1
		.amdhsa_forward_progress 0
		.amdhsa_shared_vgpr_count 0
		.amdhsa_exception_fp_ieee_invalid_op 0
		.amdhsa_exception_fp_denorm_src 0
		.amdhsa_exception_fp_ieee_div_zero 0
		.amdhsa_exception_fp_ieee_overflow 0
		.amdhsa_exception_fp_ieee_underflow 0
		.amdhsa_exception_fp_ieee_inexact 0
		.amdhsa_exception_int_div_zero 0
	.end_amdhsa_kernel
	.section	.text._ZN5aiter24add_rmsnorm_quant_kernelItDB8_Li128ELi8ELb0ELb1ELb1ELi1EEEvPT0_PT_PfS5_S5_S5_diiiiiiib,"axG",@progbits,_ZN5aiter24add_rmsnorm_quant_kernelItDB8_Li128ELi8ELb0ELb1ELb1ELi1EEEvPT0_PT_PfS5_S5_S5_diiiiiiib,comdat
.Lfunc_end70:
	.size	_ZN5aiter24add_rmsnorm_quant_kernelItDB8_Li128ELi8ELb0ELb1ELb1ELi1EEEvPT0_PT_PfS5_S5_S5_diiiiiiib, .Lfunc_end70-_ZN5aiter24add_rmsnorm_quant_kernelItDB8_Li128ELi8ELb0ELb1ELb1ELi1EEEvPT0_PT_PfS5_S5_S5_diiiiiiib
                                        ; -- End function
	.section	.AMDGPU.csdata,"",@progbits
; Kernel info:
; codeLenInByte = 3428
; NumSgprs: 31
; NumVgprs: 23
; ScratchSize: 0
; MemoryBound: 0
; FloatMode: 240
; IeeeMode: 1
; LDSByteSize: 32 bytes/workgroup (compile time only)
; SGPRBlocks: 3
; VGPRBlocks: 2
; NumSGPRsForWavesPerEU: 31
; NumVGPRsForWavesPerEU: 23
; Occupancy: 16
; WaveLimiterHint : 0
; COMPUTE_PGM_RSRC2:SCRATCH_EN: 0
; COMPUTE_PGM_RSRC2:USER_SGPR: 15
; COMPUTE_PGM_RSRC2:TRAP_HANDLER: 0
; COMPUTE_PGM_RSRC2:TGID_X_EN: 1
; COMPUTE_PGM_RSRC2:TGID_Y_EN: 0
; COMPUTE_PGM_RSRC2:TGID_Z_EN: 0
; COMPUTE_PGM_RSRC2:TIDIG_COMP_CNT: 0
	.section	.text._ZN5aiter24add_rmsnorm_quant_kernelIDF16_DB8_Li128ELi8ELb0ELb1ELb0ELi1EEEvPT0_PT_PfS5_S5_S5_diiiiiiib,"axG",@progbits,_ZN5aiter24add_rmsnorm_quant_kernelIDF16_DB8_Li128ELi8ELb0ELb1ELb0ELi1EEEvPT0_PT_PfS5_S5_S5_diiiiiiib,comdat
	.protected	_ZN5aiter24add_rmsnorm_quant_kernelIDF16_DB8_Li128ELi8ELb0ELb1ELb0ELi1EEEvPT0_PT_PfS5_S5_S5_diiiiiiib ; -- Begin function _ZN5aiter24add_rmsnorm_quant_kernelIDF16_DB8_Li128ELi8ELb0ELb1ELb0ELi1EEEvPT0_PT_PfS5_S5_S5_diiiiiiib
	.globl	_ZN5aiter24add_rmsnorm_quant_kernelIDF16_DB8_Li128ELi8ELb0ELb1ELb0ELi1EEEvPT0_PT_PfS5_S5_S5_diiiiiiib
	.p2align	8
	.type	_ZN5aiter24add_rmsnorm_quant_kernelIDF16_DB8_Li128ELi8ELb0ELb1ELb0ELi1EEEvPT0_PT_PfS5_S5_S5_diiiiiiib,@function
_ZN5aiter24add_rmsnorm_quant_kernelIDF16_DB8_Li128ELi8ELb0ELb1ELb0ELi1EEEvPT0_PT_PfS5_S5_S5_diiiiiiib: ; @_ZN5aiter24add_rmsnorm_quant_kernelIDF16_DB8_Li128ELi8ELb0ELb1ELb0ELi1EEEvPT0_PT_PfS5_S5_S5_diiiiiiib
; %bb.0:
	s_load_b128 s[4:7], s[0:1], 0x38
	s_mov_b32 s20, s15
	s_mov_b32 s21, 0
	s_waitcnt lgkmcnt(0)
	s_ashr_i32 s3, s4, 31
	s_mov_b32 s2, s4
	s_delay_alu instid0(SALU_CYCLE_1) | instskip(NEXT) | instid1(VALU_DEP_1)
	v_cmp_ge_i64_e64 s2, s[20:21], s[2:3]
	s_and_b32 vcc_lo, exec_lo, s2
	s_cbranch_vccnz .LBB71_44
; %bb.1:
	s_clause 0x1
	s_load_b128 s[8:11], s[0:1], 0x10
	s_load_b128 s[16:19], s[0:1], 0x28
	s_ashr_i32 s2, s6, 31
	s_mul_hi_u32 s3, s6, s20
	s_mul_i32 s7, s2, s20
	s_mul_i32 s2, s6, s20
	s_add_i32 s3, s3, s7
	v_lshlrev_b32_e32 v1, 4, v0
	s_lshl_b64 s[2:3], s[2:3], 1
	s_mov_b32 s15, -1
	v_and_b32_e32 v15, 31, v0
	s_mov_b32 s27, s15
	s_waitcnt lgkmcnt(0)
	s_add_u32 s12, s10, s2
	s_addc_u32 s2, s11, s3
	s_add_i32 s3, s5, 1
	s_and_b32 s13, s2, 0xffff
	s_lshr_b32 s6, s3, 31
	s_mov_b32 s24, s16
	s_add_i32 s3, s3, s6
	s_and_b32 s25, s17, 0xffff
	s_lshl_b32 s3, s3, 1
	v_cmp_eq_u32_e64 s2, 31, v15
	s_and_b32 s14, s3, -4
	buffer_load_b128 v[9:12], v1, s[12:15], 0 offen glc slc
	s_mov_b32 s26, s14
	buffer_load_b128 v[1:4], v1, s[24:27], 0 offen
	s_waitcnt vmcnt(1)
	v_lshrrev_b32_e32 v5, 16, v9
	v_lshrrev_b32_e32 v13, 16, v10
	;; [unrolled: 1-line block ×4, first 2 shown]
	v_cvt_f32_f16_e32 v8, v10
	v_cvt_f32_f16_e32 v6, v5
	;; [unrolled: 1-line block ×4, first 2 shown]
	s_delay_alu instid0(VALU_DEP_3) | instskip(NEXT) | instid1(VALU_DEP_1)
	v_mul_f32_e32 v5, v6, v6
	v_fma_mix_f32 v5, v9, v9, v5 op_sel_hi:[1,1,0]
	v_cvt_f32_f16_e32 v9, v9
	s_delay_alu instid0(VALU_DEP_2) | instskip(NEXT) | instid1(VALU_DEP_1)
	v_fma_mix_f32 v5, v10, v10, v5 op_sel_hi:[1,1,0]
	v_fma_mix_f32 v5, v10, v10, v5 op_sel:[1,1,0] op_sel_hi:[1,1,0]
	v_cvt_f32_f16_e32 v10, v11
	s_delay_alu instid0(VALU_DEP_2) | instskip(NEXT) | instid1(VALU_DEP_1)
	v_fma_mix_f32 v5, v11, v11, v5 op_sel_hi:[1,1,0]
	v_fma_mix_f32 v5, v11, v11, v5 op_sel:[1,1,0] op_sel_hi:[1,1,0]
	;; [unrolled: 4-line block ×3, first 2 shown]
	v_cvt_f32_f16_e32 v12, v17
	s_delay_alu instid0(VALU_DEP_2) | instskip(NEXT) | instid1(VALU_DEP_1)
	v_mov_b32_dpp v7, v5 quad_perm:[1,0,3,2] row_mask:0xf bank_mask:0xf
	v_add_f32_e32 v5, v5, v7
	s_delay_alu instid0(VALU_DEP_1) | instskip(NEXT) | instid1(VALU_DEP_1)
	v_mov_b32_dpp v7, v5 quad_perm:[2,3,0,1] row_mask:0xf bank_mask:0xf
	v_add_f32_e32 v5, v5, v7
	s_delay_alu instid0(VALU_DEP_1) | instskip(NEXT) | instid1(VALU_DEP_1)
	v_mov_b32_dpp v7, v5 row_xmask:7 row_mask:0xf bank_mask:0xf
	v_add_f32_e32 v5, v5, v7
	s_delay_alu instid0(VALU_DEP_1)
	v_mov_b32_dpp v7, v5 row_xmask:15 row_mask:0xf bank_mask:0xf
	s_and_saveexec_b32 s3, s2
	s_cbranch_execz .LBB71_3
; %bb.2:
	s_delay_alu instid0(VALU_DEP_1) | instskip(SKIP_2) | instid1(VALU_DEP_2)
	v_add_f32_e32 v5, v5, v7
	s_mov_b32 s6, 0x76543210
	v_lshrrev_b32_e32 v7, 3, v0
	v_permlanex16_b32 v15, v5, s6, 0xfedcba98 op_sel:[1,1]
	s_delay_alu instid0(VALU_DEP_2) | instskip(NEXT) | instid1(VALU_DEP_2)
	v_and_b32_e32 v7, 0x7c, v7
	v_add_f32_e32 v5, v5, v15
	ds_store_b32 v7, v5 offset:16
.LBB71_3:
	s_or_b32 exec_lo, exec_lo, s3
	v_and_b32_e32 v5, 3, v0
	s_waitcnt vmcnt(0) lgkmcnt(0)
	s_barrier
	buffer_gl0_inv
	v_cvt_f32_i32_e32 v16, s5
	v_lshlrev_b32_e32 v7, 2, v5
	ds_load_b32 v5, v7 offset:16
	s_clause 0x1
	s_load_b64 s[6:7], s[0:1], 0x4c
	s_load_b32 s10, s[0:1], 0x54
	s_waitcnt lgkmcnt(0)
	s_cmp_lg_u32 s7, 0
	v_mov_b32_dpp v15, v5 quad_perm:[1,0,3,2] row_mask:0xf bank_mask:0xf
	s_delay_alu instid0(VALU_DEP_1) | instskip(NEXT) | instid1(VALU_DEP_1)
	v_add_f32_e32 v5, v5, v15
	v_mov_b32_dpp v15, v5 quad_perm:[2,3,0,1] row_mask:0xf bank_mask:0xf
	s_delay_alu instid0(VALU_DEP_1) | instskip(NEXT) | instid1(VALU_DEP_1)
	v_add_f32_e32 v5, v5, v15
	v_div_scale_f32 v15, null, v16, v16, v5
	v_div_scale_f32 v19, vcc_lo, v5, v16, v5
	s_delay_alu instid0(VALU_DEP_2) | instskip(SKIP_2) | instid1(VALU_DEP_1)
	v_rcp_f32_e32 v17, v15
	s_waitcnt_depctr 0xfff
	v_fma_f32 v18, -v15, v17, 1.0
	v_fmac_f32_e32 v17, v18, v17
	s_delay_alu instid0(VALU_DEP_1) | instskip(NEXT) | instid1(VALU_DEP_1)
	v_mul_f32_e32 v18, v19, v17
	v_fma_f32 v20, -v15, v18, v19
	s_delay_alu instid0(VALU_DEP_1) | instskip(SKIP_2) | instid1(VALU_DEP_3)
	v_fmac_f32_e32 v18, v20, v17
	v_cvt_f32_f16_e32 v20, v4
	v_lshrrev_b32_e32 v4, 16, v4
	v_fma_f32 v15, -v15, v18, v19
	s_delay_alu instid0(VALU_DEP_2) | instskip(NEXT) | instid1(VALU_DEP_2)
	v_cvt_f32_f16_e32 v4, v4
	v_div_fmas_f32 v15, v15, v17, v18
	v_cvt_f32_f16_e32 v17, v2
	v_lshrrev_b32_e32 v2, 16, v2
	v_cvt_f32_f16_e32 v18, v3
	v_lshrrev_b32_e32 v3, 16, v3
	v_div_fixup_f32 v5, v15, v16, v5
	s_delay_alu instid0(VALU_DEP_4) | instskip(NEXT) | instid1(VALU_DEP_3)
	v_cvt_f32_f16_e32 v2, v2
	v_cvt_f32_f16_e32 v3, v3
	s_delay_alu instid0(VALU_DEP_3) | instskip(NEXT) | instid1(VALU_DEP_1)
	v_cvt_f64_f32_e32 v[15:16], v5
	v_add_f64 v[15:16], v[15:16], s[18:19]
	s_delay_alu instid0(VALU_DEP_1) | instskip(SKIP_2) | instid1(VALU_DEP_1)
	v_cvt_f32_f64_e32 v5, v[15:16]
	v_cvt_f32_f16_e32 v16, v1
	v_lshrrev_b32_e32 v1, 16, v1
	v_cvt_f32_f16_e32 v1, v1
	s_delay_alu instid0(VALU_DEP_4) | instskip(SKIP_1) | instid1(VALU_DEP_2)
	v_mul_f32_e32 v15, 0x4b800000, v5
	v_cmp_gt_f32_e32 vcc_lo, 0x800000, v5
	v_cndmask_b32_e32 v5, v5, v15, vcc_lo
	s_delay_alu instid0(VALU_DEP_1) | instskip(SKIP_2) | instid1(VALU_DEP_1)
	v_rsq_f32_e32 v15, v5
	s_waitcnt_depctr 0xfff
	v_mul_f32_e32 v19, 0x45800000, v15
	v_cndmask_b32_e32 v15, v15, v19, vcc_lo
	s_delay_alu instid0(VALU_DEP_1) | instskip(SKIP_4) | instid1(VALU_DEP_4)
	v_dual_mul_f32 v22, v15, v11 :: v_dual_lshlrev_b32 v5, 3, v0
	v_mul_f32_e32 v14, v15, v14
	v_mul_f32_e32 v19, v15, v10
	;; [unrolled: 1-line block ×3, first 2 shown]
	v_dual_mul_f32 v8, v15, v8 :: v_dual_mov_b32 v21, 0x2edbe6ff
	v_dual_mul_f32 v10, v14, v2 :: v_dual_mul_f32 v13, v15, v13
	s_delay_alu instid0(VALU_DEP_1) | instskip(NEXT) | instid1(VALU_DEP_4)
	v_dual_mul_f32 v9, v15, v9 :: v_dual_and_b32 v14, 0x7fffffff, v10
	v_dual_mul_f32 v15, v15, v12 :: v_dual_mul_f32 v12, v6, v1
	s_delay_alu instid0(VALU_DEP_3) | instskip(NEXT) | instid1(VALU_DEP_3)
	v_dual_mul_f32 v6, v13, v3 :: v_dual_mul_f32 v3, v22, v20
	v_mul_f32_e32 v11, v9, v16
	v_dual_mul_f32 v9, v8, v17 :: v_dual_mul_f32 v8, v19, v18
	s_delay_alu instid0(VALU_DEP_3) | instskip(NEXT) | instid1(VALU_DEP_3)
	v_and_b32_e32 v16, 0x7fffffff, v6
	v_dual_mul_f32 v4, v15, v4 :: v_dual_and_b32 v1, 0x7fffffff, v11
	v_and_b32_e32 v2, 0x7fffffff, v12
	;;#ASMSTART
	v_max3_f32 v1, v21, v1, v2

	;;#ASMEND
	v_and_b32_e32 v13, 0x7fffffff, v9
	;;#ASMSTART
	v_max3_f32 v1, v1, v13, v14

	;;#ASMEND
	v_and_b32_e32 v15, 0x7fffffff, v8
	v_and_b32_e32 v17, 0x7fffffff, v3
	;; [unrolled: 1-line block ×3, first 2 shown]
	;;#ASMSTART
	v_max3_f32 v1, v1, v15, v16

	;;#ASMEND
	;;#ASMSTART
	v_max3_f32 v13, v1, v17, v18

	;;#ASMEND
	s_cbranch_scc0 .LBB71_10
; %bb.4:
	s_ashr_i32 s11, s7, 31
	s_delay_alu instid0(SALU_CYCLE_1) | instskip(NEXT) | instid1(SALU_CYCLE_1)
	s_lshr_b32 s3, s11, 29
	s_add_i32 s3, s7, s3
	s_delay_alu instid0(SALU_CYCLE_1) | instskip(NEXT) | instid1(SALU_CYCLE_1)
	s_ashr_i32 s3, s3, 3
	s_cmp_lt_i32 s3, 8
	s_cbranch_scc1 .LBB71_11
; %bb.5:
	s_cmp_lt_i32 s3, 16
	s_cbranch_scc1 .LBB71_12
; %bb.6:
	;; [unrolled: 3-line block ×3, first 2 shown]
	v_mov_b32_e32 v1, v13
	s_cmp_eq_u32 s3, 32
	s_cbranch_scc0 .LBB71_9
; %bb.8:
	s_delay_alu instid0(VALU_DEP_1) | instskip(SKIP_1) | instid1(VALU_DEP_1)
	v_mov_b32_dpp v1, v13 quad_perm:[1,0,3,2] row_mask:0xf bank_mask:0xf
	s_mov_b32 s12, 0x76543210
	v_cmp_gt_f32_e32 vcc_lo, v13, v1
	v_cndmask_b32_e32 v1, v1, v13, vcc_lo
	s_delay_alu instid0(VALU_DEP_1) | instskip(NEXT) | instid1(VALU_DEP_1)
	v_mov_b32_dpp v2, v1 quad_perm:[2,3,0,1] row_mask:0xf bank_mask:0xf
	v_cmp_gt_f32_e32 vcc_lo, v1, v2
	v_cndmask_b32_e32 v1, v2, v1, vcc_lo
	s_delay_alu instid0(VALU_DEP_1) | instskip(NEXT) | instid1(VALU_DEP_1)
	v_mov_b32_dpp v2, v1 row_xmask:7 row_mask:0xf bank_mask:0xf
	v_cmp_gt_f32_e32 vcc_lo, v1, v2
	v_cndmask_b32_e32 v1, v2, v1, vcc_lo
	s_delay_alu instid0(VALU_DEP_1) | instskip(NEXT) | instid1(VALU_DEP_1)
	v_mov_b32_dpp v2, v1 row_xmask:15 row_mask:0xf bank_mask:0xf
	v_cmp_gt_f32_e32 vcc_lo, v1, v2
	v_cndmask_b32_e32 v1, v2, v1, vcc_lo
	s_delay_alu instid0(VALU_DEP_1) | instskip(NEXT) | instid1(VALU_DEP_1)
	v_permlanex16_b32 v2, v1, s12, 0xfedcba98 op_sel:[1,1]
	v_cmp_gt_f32_e32 vcc_lo, v1, v2
	v_cndmask_b32_e32 v1, v2, v1, vcc_lo
.LBB71_9:
	s_mov_b32 s12, 0
	s_branch .LBB71_14
.LBB71_10:
	s_mov_b32 s3, 0
                                        ; implicit-def: $vgpr14
                                        ; implicit-def: $vgpr1_vgpr2
	s_and_b32 vcc_lo, exec_lo, s15
	s_cbranch_vccnz .LBB71_38
	s_branch .LBB71_41
.LBB71_11:
                                        ; implicit-def: $vgpr1
	s_branch .LBB71_21
.LBB71_12:
                                        ; implicit-def: $vgpr1
	s_branch .LBB71_18
.LBB71_13:
	s_mov_b32 s12, -1
                                        ; implicit-def: $vgpr1
.LBB71_14:
	s_delay_alu instid0(SALU_CYCLE_1)
	s_and_not1_b32 vcc_lo, exec_lo, s12
	s_cbranch_vccnz .LBB71_17
; %bb.15:
	v_mov_b32_e32 v1, v13
	s_cmp_eq_u32 s3, 16
	s_cbranch_scc0 .LBB71_17
; %bb.16:
	s_delay_alu instid0(VALU_DEP_1) | instskip(NEXT) | instid1(VALU_DEP_1)
	v_mov_b32_dpp v1, v13 quad_perm:[1,0,3,2] row_mask:0xf bank_mask:0xf
	v_cmp_gt_f32_e32 vcc_lo, v13, v1
	v_cndmask_b32_e32 v1, v1, v13, vcc_lo
	s_delay_alu instid0(VALU_DEP_1) | instskip(NEXT) | instid1(VALU_DEP_1)
	v_mov_b32_dpp v2, v1 quad_perm:[2,3,0,1] row_mask:0xf bank_mask:0xf
	v_cmp_gt_f32_e32 vcc_lo, v1, v2
	v_cndmask_b32_e32 v1, v2, v1, vcc_lo
	s_delay_alu instid0(VALU_DEP_1) | instskip(NEXT) | instid1(VALU_DEP_1)
	v_mov_b32_dpp v2, v1 row_half_mirror row_mask:0xf bank_mask:0xf
	v_cmp_gt_f32_e32 vcc_lo, v1, v2
	v_cndmask_b32_e32 v1, v2, v1, vcc_lo
	s_delay_alu instid0(VALU_DEP_1) | instskip(NEXT) | instid1(VALU_DEP_1)
	v_mov_b32_dpp v2, v1 row_mirror row_mask:0xf bank_mask:0xf
	v_cmp_gt_f32_e32 vcc_lo, v1, v2
	v_cndmask_b32_e32 v1, v2, v1, vcc_lo
.LBB71_17:
	s_cbranch_execnz .LBB71_20
.LBB71_18:
	v_mov_b32_e32 v1, v13
	s_cmp_eq_u32 s3, 8
	s_cbranch_scc0 .LBB71_20
; %bb.19:
	s_delay_alu instid0(VALU_DEP_1) | instskip(NEXT) | instid1(VALU_DEP_1)
	v_mov_b32_dpp v1, v13 quad_perm:[1,0,3,2] row_mask:0xf bank_mask:0xf
	v_cmp_gt_f32_e32 vcc_lo, v13, v1
	v_cndmask_b32_e32 v1, v1, v13, vcc_lo
	s_delay_alu instid0(VALU_DEP_1) | instskip(NEXT) | instid1(VALU_DEP_1)
	v_mov_b32_dpp v2, v1 quad_perm:[2,3,0,1] row_mask:0xf bank_mask:0xf
	v_cmp_gt_f32_e32 vcc_lo, v1, v2
	v_cndmask_b32_e32 v1, v2, v1, vcc_lo
	s_delay_alu instid0(VALU_DEP_1) | instskip(NEXT) | instid1(VALU_DEP_1)
	v_mov_b32_dpp v2, v1 row_half_mirror row_mask:0xf bank_mask:0xf
	v_cmp_gt_f32_e32 vcc_lo, v1, v2
	v_cndmask_b32_e32 v1, v2, v1, vcc_lo
.LBB71_20:
	s_cbranch_execnz .LBB71_28
.LBB71_21:
	s_cmp_lt_i32 s3, 4
	s_cbranch_scc1 .LBB71_24
; %bb.22:
	v_mov_b32_e32 v1, v13
	s_cmp_eq_u32 s3, 4
	s_cbranch_scc0 .LBB71_25
; %bb.23:
	s_delay_alu instid0(VALU_DEP_1) | instskip(NEXT) | instid1(VALU_DEP_1)
	v_mov_b32_dpp v1, v13 quad_perm:[1,0,3,2] row_mask:0xf bank_mask:0xf
	v_cmp_gt_f32_e32 vcc_lo, v13, v1
	v_cndmask_b32_e32 v1, v1, v13, vcc_lo
	s_delay_alu instid0(VALU_DEP_1) | instskip(NEXT) | instid1(VALU_DEP_1)
	v_mov_b32_dpp v2, v1 quad_perm:[2,3,0,1] row_mask:0xf bank_mask:0xf
	v_cmp_gt_f32_e32 vcc_lo, v1, v2
	v_cndmask_b32_e32 v1, v2, v1, vcc_lo
	s_cbranch_execz .LBB71_26
	s_branch .LBB71_28
.LBB71_24:
                                        ; implicit-def: $vgpr1
	s_branch .LBB71_26
.LBB71_25:
	s_cbranch_execnz .LBB71_28
.LBB71_26:
	v_mov_b32_e32 v1, v13
	s_cmp_lg_u32 s3, 2
	s_cbranch_scc1 .LBB71_28
; %bb.27:
	s_delay_alu instid0(VALU_DEP_1) | instskip(NEXT) | instid1(VALU_DEP_1)
	v_mov_b32_dpp v1, v13 quad_perm:[1,0,3,2] row_mask:0xf bank_mask:0xf
	v_cmp_gt_f32_e32 vcc_lo, v13, v1
	v_cndmask_b32_e32 v1, v1, v13, vcc_lo
.LBB71_28:
	v_cvt_f32_u32_e32 v2, s3
	s_sub_i32 s12, 0, s3
	s_mov_b32 s15, 0
	s_delay_alu instid0(VALU_DEP_1) | instskip(SKIP_2) | instid1(VALU_DEP_1)
	v_rcp_iflag_f32_e32 v2, v2
	s_waitcnt_depctr 0xfff
	v_mul_f32_e32 v2, 0x4f7ffffe, v2
	v_cvt_u32_f32_e32 v2, v2
	s_delay_alu instid0(VALU_DEP_1) | instskip(NEXT) | instid1(VALU_DEP_1)
	v_mul_lo_u32 v14, s12, v2
	v_mul_hi_u32 v14, v2, v14
	s_delay_alu instid0(VALU_DEP_1) | instskip(NEXT) | instid1(VALU_DEP_1)
	v_add_nc_u32_e32 v2, v2, v14
	v_mul_hi_u32 v2, v0, v2
	s_delay_alu instid0(VALU_DEP_1) | instskip(NEXT) | instid1(VALU_DEP_1)
	v_mul_lo_u32 v14, v2, s3
	v_sub_nc_u32_e32 v14, v0, v14
	s_delay_alu instid0(VALU_DEP_1) | instskip(SKIP_1) | instid1(VALU_DEP_2)
	v_subrev_nc_u32_e32 v16, s3, v14
	v_cmp_le_u32_e32 vcc_lo, s3, v14
	v_dual_cndmask_b32 v14, v14, v16 :: v_dual_add_nc_u32 v15, 1, v2
	s_delay_alu instid0(VALU_DEP_1) | instskip(NEXT) | instid1(VALU_DEP_2)
	v_cndmask_b32_e32 v2, v2, v15, vcc_lo
	v_cmp_le_u32_e32 vcc_lo, s3, v14
	s_delay_alu instid0(VALU_DEP_2) | instskip(NEXT) | instid1(VALU_DEP_1)
	v_dual_mul_f32 v14, 0x3b124925, v1 :: v_dual_add_nc_u32 v15, 1, v2
	v_cndmask_b32_e32 v15, v2, v15, vcc_lo
	v_cmp_gt_u32_e32 vcc_lo, s5, v5
	s_delay_alu instid0(VALU_DEP_2) | instskip(NEXT) | instid1(VALU_DEP_1)
	v_mul_lo_u32 v2, v15, s3
	v_sub_nc_u32_e32 v2, v0, v2
	s_delay_alu instid0(VALU_DEP_1) | instskip(NEXT) | instid1(VALU_DEP_1)
	v_cmp_eq_u32_e64 s3, 0, v2
                                        ; implicit-def: $vgpr1_vgpr2
	s_and_b32 s12, s3, vcc_lo
	s_mov_b32 s3, 0
	s_and_saveexec_b32 s13, s12
	s_delay_alu instid0(SALU_CYCLE_1)
	s_xor_b32 s14, exec_lo, s13
	s_cbranch_execz .LBB71_37
; %bb.29:
	s_bitcmp0_b32 s10, 0
	s_mov_b32 s16, 0
	s_cbranch_scc0 .LBB71_34
; %bb.30:
	s_ashr_i32 s3, s5, 31
	s_mul_hi_u32 s10, s5, s20
	s_mul_i32 s3, s3, s20
	s_mul_i32 s12, s5, s20
	s_add_i32 s13, s10, s3
	s_mov_b32 s10, s7
	s_delay_alu instid0(SALU_CYCLE_1) | instskip(NEXT) | instid1(SALU_CYCLE_1)
	s_or_b64 s[18:19], s[12:13], s[10:11]
	s_mov_b32 s17, s19
	s_delay_alu instid0(SALU_CYCLE_1)
	s_cmp_lg_u64 s[16:17], 0
	s_cbranch_scc0 .LBB71_45
; %bb.31:
	s_add_u32 s18, s10, s11
	s_mov_b32 s16, s11
	s_mov_b32 s17, s11
	s_addc_u32 s19, s11, s11
	s_delay_alu instid0(SALU_CYCLE_1) | instskip(NEXT) | instid1(SALU_CYCLE_1)
	s_xor_b64 s[18:19], s[18:19], s[16:17]
	v_cvt_f32_u32_e32 v1, s18
	v_cvt_f32_u32_e32 v2, s19
	s_sub_u32 s11, 0, s18
	s_subb_u32 s22, 0, s19
	s_delay_alu instid0(VALU_DEP_1) | instskip(NEXT) | instid1(VALU_DEP_1)
	v_fmamk_f32 v1, v2, 0x4f800000, v1
	v_rcp_f32_e32 v1, v1
	s_waitcnt_depctr 0xfff
	v_mul_f32_e32 v1, 0x5f7ffffc, v1
	s_delay_alu instid0(VALU_DEP_1) | instskip(NEXT) | instid1(VALU_DEP_1)
	v_mul_f32_e32 v2, 0x2f800000, v1
	v_trunc_f32_e32 v2, v2
	s_delay_alu instid0(VALU_DEP_1) | instskip(SKIP_1) | instid1(VALU_DEP_2)
	v_fmamk_f32 v1, v2, 0xcf800000, v1
	v_cvt_u32_f32_e32 v2, v2
	v_cvt_u32_f32_e32 v1, v1
	s_delay_alu instid0(VALU_DEP_2) | instskip(NEXT) | instid1(VALU_DEP_2)
	v_readfirstlane_b32 s3, v2
	v_readfirstlane_b32 s7, v1
	s_delay_alu instid0(VALU_DEP_2) | instskip(NEXT) | instid1(VALU_DEP_1)
	s_mul_i32 s23, s11, s3
	s_mul_hi_u32 s25, s11, s7
	s_mul_i32 s24, s22, s7
	s_add_i32 s23, s25, s23
	s_mul_i32 s26, s11, s7
	s_add_i32 s23, s23, s24
	s_mul_hi_u32 s25, s7, s26
	s_mul_hi_u32 s27, s3, s26
	s_mul_i32 s24, s3, s26
	s_mul_hi_u32 s26, s7, s23
	s_mul_i32 s7, s7, s23
	s_mul_hi_u32 s28, s3, s23
	s_add_u32 s7, s25, s7
	s_addc_u32 s25, 0, s26
	s_add_u32 s7, s7, s24
	s_mul_i32 s23, s3, s23
	s_addc_u32 s7, s25, s27
	s_addc_u32 s24, s28, 0
	s_add_u32 s7, s7, s23
	s_addc_u32 s23, 0, s24
	v_add_co_u32 v1, s7, v1, s7
	s_delay_alu instid0(VALU_DEP_1) | instskip(SKIP_1) | instid1(VALU_DEP_1)
	s_cmp_lg_u32 s7, 0
	s_addc_u32 s3, s3, s23
	v_readfirstlane_b32 s7, v1
	s_mul_i32 s23, s11, s3
	s_delay_alu instid0(VALU_DEP_1)
	s_mul_hi_u32 s24, s11, s7
	s_mul_i32 s22, s22, s7
	s_add_i32 s23, s24, s23
	s_mul_i32 s11, s11, s7
	s_add_i32 s23, s23, s22
	s_mul_hi_u32 s24, s3, s11
	s_mul_i32 s25, s3, s11
	s_mul_hi_u32 s11, s7, s11
	s_mul_hi_u32 s26, s7, s23
	s_mul_i32 s7, s7, s23
	s_mul_hi_u32 s22, s3, s23
	s_add_u32 s7, s11, s7
	s_addc_u32 s11, 0, s26
	s_add_u32 s7, s7, s25
	s_mul_i32 s23, s3, s23
	s_addc_u32 s7, s11, s24
	s_addc_u32 s11, s22, 0
	s_add_u32 s7, s7, s23
	s_addc_u32 s11, 0, s11
	v_add_co_u32 v1, s7, v1, s7
	s_delay_alu instid0(VALU_DEP_1) | instskip(SKIP_2) | instid1(VALU_DEP_1)
	s_cmp_lg_u32 s7, 0
	s_addc_u32 s3, s3, s11
	s_ashr_i32 s22, s13, 31
	v_readfirstlane_b32 s7, v1
	s_add_u32 s24, s12, s22
	s_mov_b32 s23, s22
	s_addc_u32 s25, s13, s22
	s_delay_alu instid0(SALU_CYCLE_1) | instskip(NEXT) | instid1(SALU_CYCLE_1)
	s_xor_b64 s[24:25], s[24:25], s[22:23]
	s_mul_i32 s13, s24, s3
	s_mul_hi_u32 s26, s24, s7
	s_mul_hi_u32 s11, s24, s3
	;; [unrolled: 1-line block ×3, first 2 shown]
	s_mul_i32 s7, s25, s7
	s_add_u32 s13, s26, s13
	s_addc_u32 s11, 0, s11
	s_mul_hi_u32 s27, s25, s3
	s_add_u32 s7, s13, s7
	s_mul_i32 s3, s25, s3
	s_addc_u32 s7, s11, s28
	s_addc_u32 s11, s27, 0
	s_add_u32 s7, s7, s3
	s_addc_u32 s11, 0, s11
	s_mul_i32 s27, s18, s7
	s_mul_hi_u32 s3, s18, s7
	s_mul_i32 s26, s18, s11
	v_sub_co_u32 v1, s24, s24, s27
	s_mul_i32 s13, s19, s7
	s_add_i32 s3, s3, s26
	s_delay_alu instid0(SALU_CYCLE_1) | instskip(NEXT) | instid1(VALU_DEP_1)
	s_add_i32 s3, s3, s13
	v_sub_co_u32 v2, s26, v1, s18
	s_sub_i32 s13, s25, s3
	s_cmp_lg_u32 s24, 0
	s_subb_u32 s13, s13, s19
	s_cmp_lg_u32 s26, 0
	v_cmp_le_u32_e32 vcc_lo, s18, v2
	s_subb_u32 s13, s13, 0
	s_delay_alu instid0(SALU_CYCLE_1)
	s_cmp_ge_u32 s13, s19
	v_cndmask_b32_e64 v2, 0, -1, vcc_lo
	s_cselect_b32 s26, -1, 0
	s_cmp_eq_u32 s13, s19
	s_cselect_b32 vcc_lo, -1, 0
	s_add_u32 s13, s7, 1
	v_cndmask_b32_e32 v2, s26, v2, vcc_lo
	s_addc_u32 s26, s11, 0
	s_add_u32 s27, s7, 2
	s_addc_u32 s28, s11, 0
	s_cmp_lg_u32 s24, 0
	v_cmp_le_u32_e32 vcc_lo, s18, v1
	s_subb_u32 s3, s25, s3
	v_mov_b32_e32 v16, s27
	s_cmp_ge_u32 s3, s19
	v_cndmask_b32_e64 v1, 0, -1, vcc_lo
	s_cselect_b32 s18, -1, 0
	s_cmp_eq_u32 s3, s19
	v_cmp_ne_u32_e32 vcc_lo, 0, v2
	v_mov_b32_e32 v2, s28
	s_cselect_b32 s3, -1, 0
	s_xor_b64 s[16:17], s[22:23], s[16:17]
	v_cndmask_b32_e64 v1, s18, v1, s3
	v_cndmask_b32_e32 v16, s13, v16, vcc_lo
	v_cndmask_b32_e32 v2, s26, v2, vcc_lo
	s_delay_alu instid0(VALU_DEP_3) | instskip(NEXT) | instid1(VALU_DEP_2)
	v_cmp_ne_u32_e32 vcc_lo, 0, v1
	v_cndmask_b32_e32 v1, s11, v2, vcc_lo
	s_delay_alu instid0(VALU_DEP_4) | instskip(NEXT) | instid1(VALU_DEP_2)
	v_cndmask_b32_e32 v2, s7, v16, vcc_lo
	v_xor_b32_e32 v16, s17, v1
	s_delay_alu instid0(VALU_DEP_2) | instskip(NEXT) | instid1(VALU_DEP_1)
	v_xor_b32_e32 v2, s16, v2
	v_sub_co_u32 v1, vcc_lo, v2, s16
	s_delay_alu instid0(VALU_DEP_3)
	v_subrev_co_ci_u32_e32 v2, vcc_lo, s17, v16, vcc_lo
	s_cbranch_execnz .LBB71_33
.LBB71_32:
	v_cvt_f32_u32_e32 v1, s10
	s_sub_i32 s7, 0, s10
	s_delay_alu instid0(VALU_DEP_1) | instskip(SKIP_2) | instid1(VALU_DEP_1)
	v_rcp_iflag_f32_e32 v1, v1
	s_waitcnt_depctr 0xfff
	v_mul_f32_e32 v1, 0x4f7ffffe, v1
	v_cvt_u32_f32_e32 v1, v1
	s_delay_alu instid0(VALU_DEP_1) | instskip(NEXT) | instid1(VALU_DEP_1)
	v_readfirstlane_b32 s3, v1
	s_mul_i32 s7, s7, s3
	s_delay_alu instid0(SALU_CYCLE_1) | instskip(NEXT) | instid1(SALU_CYCLE_1)
	s_mul_hi_u32 s7, s3, s7
	s_add_i32 s3, s3, s7
	s_delay_alu instid0(SALU_CYCLE_1) | instskip(NEXT) | instid1(SALU_CYCLE_1)
	s_mul_hi_u32 s3, s12, s3
	s_mul_i32 s7, s3, s10
	s_add_i32 s11, s3, 1
	s_sub_i32 s7, s12, s7
	s_delay_alu instid0(SALU_CYCLE_1)
	s_sub_i32 s12, s7, s10
	s_cmp_ge_u32 s7, s10
	s_cselect_b32 s3, s11, s3
	s_cselect_b32 s7, s12, s7
	s_add_i32 s12, s3, 1
	s_cmp_ge_u32 s7, s10
	s_mov_b32 s11, 0
	s_cselect_b32 s10, s12, s3
	s_delay_alu instid0(SALU_CYCLE_1)
	v_dual_mov_b32 v1, s10 :: v_dual_mov_b32 v2, s11
.LBB71_33:
	s_delay_alu instid0(VALU_DEP_1) | instskip(NEXT) | instid1(VALU_DEP_2)
	v_add_co_u32 v1, vcc_lo, v1, v15
	v_add_co_ci_u32_e32 v2, vcc_lo, 0, v2, vcc_lo
	s_branch .LBB71_36
.LBB71_34:
                                        ; implicit-def: $vgpr1_vgpr2
	s_cbranch_execz .LBB71_36
; %bb.35:
	v_mul_lo_u32 v1, v15, s4
	s_delay_alu instid0(VALU_DEP_1) | instskip(SKIP_1) | instid1(VALU_DEP_2)
	v_ashrrev_i32_e32 v2, 31, v1
	v_add_co_u32 v1, vcc_lo, v1, s20
	v_add_co_ci_u32_e32 v2, vcc_lo, 0, v2, vcc_lo
.LBB71_36:
	s_mov_b32 s3, exec_lo
.LBB71_37:
	s_or_b32 exec_lo, exec_lo, s14
	s_delay_alu instid0(SALU_CYCLE_1)
	s_and_b32 vcc_lo, exec_lo, s15
	s_cbranch_vccz .LBB71_41
.LBB71_38:
	v_mov_b32_dpp v1, v13 quad_perm:[1,0,3,2] row_mask:0xf bank_mask:0xf
	s_delay_alu instid0(VALU_DEP_1) | instskip(SKIP_1) | instid1(VALU_DEP_1)
	v_cmp_gt_f32_e32 vcc_lo, v13, v1
	v_cndmask_b32_e32 v1, v1, v13, vcc_lo
	v_mov_b32_dpp v2, v1 quad_perm:[2,3,0,1] row_mask:0xf bank_mask:0xf
	s_delay_alu instid0(VALU_DEP_1) | instskip(SKIP_1) | instid1(VALU_DEP_1)
	v_cmp_gt_f32_e32 vcc_lo, v1, v2
	v_cndmask_b32_e32 v1, v2, v1, vcc_lo
	v_mov_b32_dpp v2, v1 row_xmask:7 row_mask:0xf bank_mask:0xf
	s_delay_alu instid0(VALU_DEP_1) | instskip(SKIP_1) | instid1(VALU_DEP_1)
	v_cmp_gt_f32_e32 vcc_lo, v1, v2
	v_cndmask_b32_e32 v1, v2, v1, vcc_lo
	v_mov_b32_dpp v2, v1 row_xmask:15 row_mask:0xf bank_mask:0xf
	s_delay_alu instid0(VALU_DEP_1)
	v_cmp_gt_f32_e32 vcc_lo, v1, v2
	s_and_saveexec_b32 s3, s2
	s_cbranch_execz .LBB71_40
; %bb.39:
	v_cndmask_b32_e32 v1, v2, v1, vcc_lo
	v_lshrrev_b32_e32 v2, 3, v0
	s_mov_b32 s2, 0x76543210
	s_delay_alu instid0(VALU_DEP_1) | instskip(NEXT) | instid1(VALU_DEP_3)
	v_and_b32_e32 v2, 0x7c, v2
	v_permlanex16_b32 v13, v1, s2, 0xfedcba98 op_sel:[1,1]
	s_delay_alu instid0(VALU_DEP_1)
	v_cmp_gt_f32_e32 vcc_lo, v1, v13
	v_cndmask_b32_e32 v1, v13, v1, vcc_lo
	ds_store_b32 v2, v1
.LBB71_40:
	s_or_b32 exec_lo, exec_lo, s3
	s_waitcnt lgkmcnt(0)
	s_barrier
	buffer_gl0_inv
	ds_load_b32 v1, v7
	v_cmp_eq_u32_e64 s3, 0, v0
	s_waitcnt lgkmcnt(0)
	v_mov_b32_dpp v2, v1 quad_perm:[1,0,3,2] row_mask:0xf bank_mask:0xf
	s_delay_alu instid0(VALU_DEP_1) | instskip(SKIP_1) | instid1(VALU_DEP_1)
	v_cmp_gt_f32_e32 vcc_lo, v1, v2
	v_cndmask_b32_e32 v1, v2, v1, vcc_lo
	v_mov_b32_dpp v2, v1 quad_perm:[2,3,0,1] row_mask:0xf bank_mask:0xf
	s_delay_alu instid0(VALU_DEP_1) | instskip(SKIP_1) | instid1(VALU_DEP_1)
	v_cmp_gt_f32_e32 vcc_lo, v1, v2
	v_cndmask_b32_e32 v1, v2, v1, vcc_lo
	v_dual_mul_f32 v14, 0x3b124925, v1 :: v_dual_mov_b32 v1, s20
	v_mov_b32_e32 v2, s21
.LBB71_41:
	s_and_saveexec_b32 s2, s3
	s_cbranch_execz .LBB71_43
; %bb.42:
	s_delay_alu instid0(VALU_DEP_1) | instskip(NEXT) | instid1(VALU_DEP_1)
	v_lshlrev_b64 v[0:1], 2, v[1:2]
	v_add_co_u32 v0, vcc_lo, s8, v0
	s_delay_alu instid0(VALU_DEP_2)
	v_add_co_ci_u32_e32 v1, vcc_lo, s9, v1, vcc_lo
	global_store_b32 v[0:1], v14, off
.LBB71_43:
	s_or_b32 exec_lo, exec_lo, s2
	;;#ASMSTART
	v_rcp_f32 v0, v14
	;;#ASMEND
	v_mul_f32_e32 v1, v11, v0
	v_dual_mul_f32 v2, v12, v0 :: v_dual_mov_b32 v7, 0xc3e00000
	v_dual_mov_b32 v11, 0x43e00000 :: v_dual_mul_f32 v10, v10, v0
	v_mul_f32_e32 v9, v9, v0
	;;#ASMSTART
	v_med3_f32 v1, v1, v7, v11
v_med3_f32 v2, v2, v7, v11
v_cvt_pk_fp8_f32 v12, v1, v2
	;;#ASMEND
	;;#ASMSTART
	v_med3_f32 v9, v9, v7, v11
v_med3_f32 v10, v10, v7, v11
v_cvt_pk_fp8_f32 v1, v9, v10
	;;#ASMEND
	v_perm_b32 v2, v1, v12, 0x5040100
	s_load_b64 s[0:1], s[0:1], 0x0
	v_dual_mul_f32 v8, v8, v0 :: v_dual_and_b32 v1, 0xffffff00, v1
	v_mul_f32_e32 v6, v6, v0
	s_delay_alu instid0(VALU_DEP_3)
	v_lshrrev_b32_e32 v9, 16, v2
	s_add_i32 s2, s5, 3
	v_mul_f32_e32 v3, v3, v0
	s_ashr_i32 s3, s2, 31
	s_ashr_i32 s4, s6, 31
	v_and_b32_e32 v9, 0xff, v9
	s_lshr_b32 s3, s3, 30
	s_mul_hi_u32 s5, s6, s20
	s_add_i32 s2, s2, s3
	s_mul_i32 s4, s4, s20
	v_or_b32_e32 v1, v9, v1
	v_mul_f32_e32 v0, v4, v0
	;;#ASMSTART
	v_med3_f32 v8, v8, v7, v11
v_med3_f32 v6, v6, v7, v11
v_cvt_pk_fp8_f32 v4, v8, v6
	;;#ASMEND
	s_mul_i32 s3, s6, s20
	s_and_b32 s2, s2, -4
	v_lshlrev_b32_e32 v1, 16, v1
	;;#ASMSTART
	v_med3_f32 v3, v3, v7, v11
v_med3_f32 v0, v0, v7, v11
v_cvt_pk_fp8_f32 v6, v3, v0
	;;#ASMEND
	v_lshlrev_b32_e32 v3, 16, v6
	s_add_i32 s5, s5, s4
	s_waitcnt lgkmcnt(0)
	s_add_u32 s0, s0, s3
	v_and_or_b32 v0, 0xffff, v2, v1
	s_addc_u32 s1, s1, s5
	v_and_or_b32 v1, 0xffff, v4, v3
	s_and_b32 s1, s1, 0xffff
	s_mov_b32 s3, -1
	buffer_store_b64 v[0:1], v5, s[0:3], 0 offen
	;;#ASMSTART
	s_nop 0
	;;#ASMEND
.LBB71_44:
	s_nop 0
	s_sendmsg sendmsg(MSG_DEALLOC_VGPRS)
	s_endpgm
.LBB71_45:
                                        ; implicit-def: $vgpr1_vgpr2
	s_branch .LBB71_32
	.section	.rodata,"a",@progbits
	.p2align	6, 0x0
	.amdhsa_kernel _ZN5aiter24add_rmsnorm_quant_kernelIDF16_DB8_Li128ELi8ELb0ELb1ELb0ELi1EEEvPT0_PT_PfS5_S5_S5_diiiiiiib
		.amdhsa_group_segment_fixed_size 32
		.amdhsa_private_segment_fixed_size 0
		.amdhsa_kernarg_size 88
		.amdhsa_user_sgpr_count 15
		.amdhsa_user_sgpr_dispatch_ptr 0
		.amdhsa_user_sgpr_queue_ptr 0
		.amdhsa_user_sgpr_kernarg_segment_ptr 1
		.amdhsa_user_sgpr_dispatch_id 0
		.amdhsa_user_sgpr_private_segment_size 0
		.amdhsa_wavefront_size32 1
		.amdhsa_uses_dynamic_stack 0
		.amdhsa_enable_private_segment 0
		.amdhsa_system_sgpr_workgroup_id_x 1
		.amdhsa_system_sgpr_workgroup_id_y 0
		.amdhsa_system_sgpr_workgroup_id_z 0
		.amdhsa_system_sgpr_workgroup_info 0
		.amdhsa_system_vgpr_workitem_id 0
		.amdhsa_next_free_vgpr 23
		.amdhsa_next_free_sgpr 29
		.amdhsa_reserve_vcc 1
		.amdhsa_float_round_mode_32 0
		.amdhsa_float_round_mode_16_64 0
		.amdhsa_float_denorm_mode_32 3
		.amdhsa_float_denorm_mode_16_64 3
		.amdhsa_dx10_clamp 1
		.amdhsa_ieee_mode 1
		.amdhsa_fp16_overflow 0
		.amdhsa_workgroup_processor_mode 1
		.amdhsa_memory_ordered 1
		.amdhsa_forward_progress 0
		.amdhsa_shared_vgpr_count 0
		.amdhsa_exception_fp_ieee_invalid_op 0
		.amdhsa_exception_fp_denorm_src 0
		.amdhsa_exception_fp_ieee_div_zero 0
		.amdhsa_exception_fp_ieee_overflow 0
		.amdhsa_exception_fp_ieee_underflow 0
		.amdhsa_exception_fp_ieee_inexact 0
		.amdhsa_exception_int_div_zero 0
	.end_amdhsa_kernel
	.section	.text._ZN5aiter24add_rmsnorm_quant_kernelIDF16_DB8_Li128ELi8ELb0ELb1ELb0ELi1EEEvPT0_PT_PfS5_S5_S5_diiiiiiib,"axG",@progbits,_ZN5aiter24add_rmsnorm_quant_kernelIDF16_DB8_Li128ELi8ELb0ELb1ELb0ELi1EEEvPT0_PT_PfS5_S5_S5_diiiiiiib,comdat
.Lfunc_end71:
	.size	_ZN5aiter24add_rmsnorm_quant_kernelIDF16_DB8_Li128ELi8ELb0ELb1ELb0ELi1EEEvPT0_PT_PfS5_S5_S5_diiiiiiib, .Lfunc_end71-_ZN5aiter24add_rmsnorm_quant_kernelIDF16_DB8_Li128ELi8ELb0ELb1ELb0ELi1EEEvPT0_PT_PfS5_S5_S5_diiiiiiib
                                        ; -- End function
	.section	.AMDGPU.csdata,"",@progbits
; Kernel info:
; codeLenInByte = 3380
; NumSgprs: 31
; NumVgprs: 23
; ScratchSize: 0
; MemoryBound: 0
; FloatMode: 240
; IeeeMode: 1
; LDSByteSize: 32 bytes/workgroup (compile time only)
; SGPRBlocks: 3
; VGPRBlocks: 2
; NumSGPRsForWavesPerEU: 31
; NumVGPRsForWavesPerEU: 23
; Occupancy: 16
; WaveLimiterHint : 0
; COMPUTE_PGM_RSRC2:SCRATCH_EN: 0
; COMPUTE_PGM_RSRC2:USER_SGPR: 15
; COMPUTE_PGM_RSRC2:TRAP_HANDLER: 0
; COMPUTE_PGM_RSRC2:TGID_X_EN: 1
; COMPUTE_PGM_RSRC2:TGID_Y_EN: 0
; COMPUTE_PGM_RSRC2:TGID_Z_EN: 0
; COMPUTE_PGM_RSRC2:TIDIG_COMP_CNT: 0
	.section	.text._ZN5aiter24add_rmsnorm_quant_kernelItDB8_Li128ELi8ELb0ELb1ELb0ELi1EEEvPT0_PT_PfS5_S5_S5_diiiiiiib,"axG",@progbits,_ZN5aiter24add_rmsnorm_quant_kernelItDB8_Li128ELi8ELb0ELb1ELb0ELi1EEEvPT0_PT_PfS5_S5_S5_diiiiiiib,comdat
	.protected	_ZN5aiter24add_rmsnorm_quant_kernelItDB8_Li128ELi8ELb0ELb1ELb0ELi1EEEvPT0_PT_PfS5_S5_S5_diiiiiiib ; -- Begin function _ZN5aiter24add_rmsnorm_quant_kernelItDB8_Li128ELi8ELb0ELb1ELb0ELi1EEEvPT0_PT_PfS5_S5_S5_diiiiiiib
	.globl	_ZN5aiter24add_rmsnorm_quant_kernelItDB8_Li128ELi8ELb0ELb1ELb0ELi1EEEvPT0_PT_PfS5_S5_S5_diiiiiiib
	.p2align	8
	.type	_ZN5aiter24add_rmsnorm_quant_kernelItDB8_Li128ELi8ELb0ELb1ELb0ELi1EEEvPT0_PT_PfS5_S5_S5_diiiiiiib,@function
_ZN5aiter24add_rmsnorm_quant_kernelItDB8_Li128ELi8ELb0ELb1ELb0ELi1EEEvPT0_PT_PfS5_S5_S5_diiiiiiib: ; @_ZN5aiter24add_rmsnorm_quant_kernelItDB8_Li128ELi8ELb0ELb1ELb0ELi1EEEvPT0_PT_PfS5_S5_S5_diiiiiiib
; %bb.0:
	s_load_b128 s[4:7], s[0:1], 0x38
	s_mov_b32 s20, s15
	s_mov_b32 s21, 0
	s_waitcnt lgkmcnt(0)
	s_ashr_i32 s3, s4, 31
	s_mov_b32 s2, s4
	s_delay_alu instid0(SALU_CYCLE_1) | instskip(NEXT) | instid1(VALU_DEP_1)
	v_cmp_ge_i64_e64 s2, s[20:21], s[2:3]
	s_and_b32 vcc_lo, exec_lo, s2
	s_cbranch_vccnz .LBB72_44
; %bb.1:
	s_clause 0x1
	s_load_b128 s[8:11], s[0:1], 0x10
	s_load_b128 s[16:19], s[0:1], 0x28
	s_ashr_i32 s2, s6, 31
	s_mul_hi_u32 s3, s6, s20
	s_mul_i32 s7, s2, s20
	s_mul_i32 s2, s6, s20
	s_add_i32 s3, s3, s7
	v_lshlrev_b32_e32 v1, 4, v0
	s_lshl_b64 s[2:3], s[2:3], 1
	s_mov_b32 s15, -1
	v_and_b32_e32 v15, 31, v0
	s_mov_b32 s27, s15
	s_waitcnt lgkmcnt(0)
	s_add_u32 s12, s10, s2
	s_addc_u32 s2, s11, s3
	s_add_i32 s3, s5, 1
	s_and_b32 s13, s2, 0xffff
	s_lshr_b32 s6, s3, 31
	s_mov_b32 s24, s16
	s_add_i32 s3, s3, s6
	s_and_b32 s25, s17, 0xffff
	s_lshl_b32 s3, s3, 1
	v_cmp_eq_u32_e64 s2, 31, v15
	s_and_b32 s14, s3, -4
	buffer_load_b128 v[10:13], v1, s[12:15], 0 offen glc slc
	s_mov_b32 s26, s14
	s_waitcnt vmcnt(0)
	v_lshrrev_b32_e32 v5, 16, v10
	v_and_b32_e32 v6, 0xffff, v10
	v_lshrrev_b32_e32 v10, 16, v11
	v_lshrrev_b32_e32 v14, 16, v13
	s_delay_alu instid0(VALU_DEP_4) | instskip(NEXT) | instid1(VALU_DEP_4)
	v_cvt_f32_u32_e32 v7, v5
	v_cvt_f32_u32_e32 v8, v6
	s_delay_alu instid0(VALU_DEP_4) | instskip(NEXT) | instid1(VALU_DEP_4)
	v_cvt_f32_u32_e32 v10, v10
	v_cvt_f32_u32_e32 v14, v14
	s_delay_alu instid0(VALU_DEP_4) | instskip(SKIP_2) | instid1(VALU_DEP_1)
	v_mul_f32_e32 v6, v7, v7
	buffer_load_b128 v[1:4], v1, s[24:27], 0 offen
	v_dual_fmac_f32 v6, v8, v8 :: v_dual_and_b32 v5, 0xffff, v11
	v_cvt_f32_u32_e32 v9, v5
	v_and_b32_e32 v5, 0xffff, v12
	v_lshrrev_b32_e32 v12, 16, v12
	s_delay_alu instid0(VALU_DEP_3) | instskip(NEXT) | instid1(VALU_DEP_3)
	v_fmac_f32_e32 v6, v9, v9
	v_cvt_f32_u32_e32 v11, v5
	v_and_b32_e32 v5, 0xffff, v13
	s_delay_alu instid0(VALU_DEP_4) | instskip(NEXT) | instid1(VALU_DEP_4)
	v_cvt_f32_u32_e32 v12, v12
	v_fmac_f32_e32 v6, v10, v10
	s_delay_alu instid0(VALU_DEP_3) | instskip(NEXT) | instid1(VALU_DEP_2)
	v_cvt_f32_u32_e32 v13, v5
	v_fmac_f32_e32 v6, v11, v11
	s_delay_alu instid0(VALU_DEP_1) | instskip(NEXT) | instid1(VALU_DEP_1)
	v_fmac_f32_e32 v6, v12, v12
	v_fmac_f32_e32 v6, v13, v13
	s_delay_alu instid0(VALU_DEP_1) | instskip(NEXT) | instid1(VALU_DEP_1)
	v_fmac_f32_e32 v6, v14, v14
	v_mov_b32_dpp v5, v6 quad_perm:[1,0,3,2] row_mask:0xf bank_mask:0xf
	s_delay_alu instid0(VALU_DEP_1) | instskip(NEXT) | instid1(VALU_DEP_1)
	v_add_f32_e32 v5, v6, v5
	v_mov_b32_dpp v6, v5 quad_perm:[2,3,0,1] row_mask:0xf bank_mask:0xf
	s_delay_alu instid0(VALU_DEP_1) | instskip(NEXT) | instid1(VALU_DEP_1)
	v_add_f32_e32 v5, v5, v6
	v_mov_b32_dpp v6, v5 row_xmask:7 row_mask:0xf bank_mask:0xf
	s_delay_alu instid0(VALU_DEP_1) | instskip(NEXT) | instid1(VALU_DEP_1)
	v_add_f32_e32 v5, v5, v6
	v_mov_b32_dpp v6, v5 row_xmask:15 row_mask:0xf bank_mask:0xf
	s_and_saveexec_b32 s3, s2
	s_cbranch_execz .LBB72_3
; %bb.2:
	s_delay_alu instid0(VALU_DEP_1) | instskip(SKIP_2) | instid1(VALU_DEP_2)
	v_add_f32_e32 v5, v5, v6
	s_mov_b32 s6, 0x76543210
	v_lshrrev_b32_e32 v6, 3, v0
	v_permlanex16_b32 v15, v5, s6, 0xfedcba98 op_sel:[1,1]
	s_delay_alu instid0(VALU_DEP_1)
	v_dual_add_f32 v5, v5, v15 :: v_dual_and_b32 v6, 0x7c, v6
	ds_store_b32 v6, v5 offset:16
.LBB72_3:
	s_or_b32 exec_lo, exec_lo, s3
	v_and_b32_e32 v5, 3, v0
	s_waitcnt vmcnt(0) lgkmcnt(0)
	s_barrier
	buffer_gl0_inv
	v_cvt_f32_i32_e32 v16, s5
	v_lshlrev_b32_e32 v6, 2, v5
	ds_load_b32 v5, v6 offset:16
	s_clause 0x1
	s_load_b64 s[6:7], s[0:1], 0x4c
	s_load_b32 s10, s[0:1], 0x54
	s_waitcnt lgkmcnt(0)
	s_cmp_lg_u32 s7, 0
	v_mov_b32_dpp v15, v5 quad_perm:[1,0,3,2] row_mask:0xf bank_mask:0xf
	s_delay_alu instid0(VALU_DEP_1) | instskip(NEXT) | instid1(VALU_DEP_1)
	v_add_f32_e32 v5, v5, v15
	v_mov_b32_dpp v15, v5 quad_perm:[2,3,0,1] row_mask:0xf bank_mask:0xf
	s_delay_alu instid0(VALU_DEP_1) | instskip(NEXT) | instid1(VALU_DEP_1)
	v_add_f32_e32 v5, v5, v15
	v_div_scale_f32 v15, null, v16, v16, v5
	v_div_scale_f32 v19, vcc_lo, v5, v16, v5
	s_delay_alu instid0(VALU_DEP_2) | instskip(SKIP_2) | instid1(VALU_DEP_1)
	v_rcp_f32_e32 v17, v15
	s_waitcnt_depctr 0xfff
	v_fma_f32 v18, -v15, v17, 1.0
	v_fmac_f32_e32 v17, v18, v17
	s_delay_alu instid0(VALU_DEP_1) | instskip(NEXT) | instid1(VALU_DEP_1)
	v_mul_f32_e32 v18, v19, v17
	v_fma_f32 v20, -v15, v18, v19
	s_delay_alu instid0(VALU_DEP_1) | instskip(SKIP_1) | instid1(VALU_DEP_2)
	v_fmac_f32_e32 v18, v20, v17
	v_mov_b32_e32 v20, 0x2edbe6ff
	v_fma_f32 v15, -v15, v18, v19
	s_delay_alu instid0(VALU_DEP_1)
	v_div_fmas_f32 v15, v15, v17, v18
	v_and_b32_e32 v18, 0xffff, v3
	v_and_b32_e32 v17, 0xffff, v2
	v_lshrrev_b32_e32 v2, 16, v2
	v_lshrrev_b32_e32 v3, 16, v3
	v_div_fixup_f32 v5, v15, v16, v5
	v_cvt_f32_u32_e32 v18, v18
	s_delay_alu instid0(VALU_DEP_4) | instskip(NEXT) | instid1(VALU_DEP_4)
	v_cvt_f32_u32_e32 v2, v2
	v_cvt_f32_u32_e32 v3, v3
	s_delay_alu instid0(VALU_DEP_4) | instskip(NEXT) | instid1(VALU_DEP_1)
	v_cvt_f64_f32_e32 v[15:16], v5
	v_add_f64 v[15:16], v[15:16], s[18:19]
	s_delay_alu instid0(VALU_DEP_1) | instskip(SKIP_2) | instid1(VALU_DEP_2)
	v_cvt_f32_f64_e32 v5, v[15:16]
	v_and_b32_e32 v16, 0xffff, v1
	v_lshrrev_b32_e32 v1, 16, v1
	v_cvt_f32_u32_e32 v16, v16
	s_delay_alu instid0(VALU_DEP_2) | instskip(SKIP_2) | instid1(VALU_DEP_2)
	v_cvt_f32_u32_e32 v1, v1
	v_mul_f32_e32 v15, 0x4b800000, v5
	v_cmp_gt_f32_e32 vcc_lo, 0x800000, v5
	v_cndmask_b32_e32 v15, v5, v15, vcc_lo
	v_lshlrev_b32_e32 v5, 3, v0
	s_delay_alu instid0(VALU_DEP_2) | instskip(SKIP_2) | instid1(VALU_DEP_1)
	v_rsq_f32_e32 v15, v15
	s_waitcnt_depctr 0xfff
	v_mul_f32_e32 v21, 0x45800000, v15
	v_cndmask_b32_e32 v15, v15, v21, vcc_lo
	s_delay_alu instid0(VALU_DEP_1) | instskip(SKIP_2) | instid1(VALU_DEP_2)
	v_mul_f32_e32 v8, v15, v8
	v_mul_f32_e32 v21, v15, v11
	v_cvt_f32_u32_e32 v17, v17
	v_dual_mul_f32 v11, v8, v16 :: v_dual_mul_f32 v8, v21, v18
	v_dual_mul_f32 v10, v15, v10 :: v_dual_and_b32 v19, 0xffff, v4
	v_lshrrev_b32_e32 v4, 16, v4
	v_mul_f32_e32 v14, v15, v14
	v_mul_f32_e32 v22, v15, v12
	s_delay_alu instid0(VALU_DEP_4) | instskip(SKIP_2) | instid1(VALU_DEP_1)
	v_cvt_f32_u32_e32 v19, v19
	v_mul_f32_e32 v10, v10, v2
	v_cvt_f32_u32_e32 v4, v4
	v_dual_mul_f32 v7, v15, v7 :: v_dual_mul_f32 v4, v14, v4
	s_delay_alu instid0(VALU_DEP_1)
	v_mul_f32_e32 v12, v7, v1
	v_mul_f32_e32 v9, v15, v9
	;; [unrolled: 1-line block ×3, first 2 shown]
	v_and_b32_e32 v1, 0x7fffffff, v11
	v_dual_mul_f32 v13, v15, v13 :: v_dual_and_b32 v18, 0x7fffffff, v4
	v_and_b32_e32 v2, 0x7fffffff, v12
	s_delay_alu instid0(VALU_DEP_4) | instskip(SKIP_1) | instid1(VALU_DEP_3)
	v_dual_mul_f32 v9, v9, v17 :: v_dual_and_b32 v16, 0x7fffffff, v7
	;;#ASMSTART
	v_max3_f32 v1, v20, v1, v2

	;;#ASMEND
	v_dual_mul_f32 v3, v13, v19 :: v_dual_and_b32 v14, 0x7fffffff, v10
	v_and_b32_e32 v15, 0x7fffffff, v8
	s_delay_alu instid0(VALU_DEP_3) | instskip(SKIP_1) | instid1(VALU_DEP_3)
	v_and_b32_e32 v13, 0x7fffffff, v9
	;;#ASMSTART
	v_max3_f32 v1, v1, v13, v14

	;;#ASMEND
	v_and_b32_e32 v17, 0x7fffffff, v3
	;;#ASMSTART
	v_max3_f32 v1, v1, v15, v16

	;;#ASMEND
	;;#ASMSTART
	v_max3_f32 v13, v1, v17, v18

	;;#ASMEND
	s_cbranch_scc0 .LBB72_10
; %bb.4:
	s_ashr_i32 s11, s7, 31
	s_delay_alu instid0(SALU_CYCLE_1) | instskip(NEXT) | instid1(SALU_CYCLE_1)
	s_lshr_b32 s3, s11, 29
	s_add_i32 s3, s7, s3
	s_delay_alu instid0(SALU_CYCLE_1) | instskip(NEXT) | instid1(SALU_CYCLE_1)
	s_ashr_i32 s3, s3, 3
	s_cmp_lt_i32 s3, 8
	s_cbranch_scc1 .LBB72_11
; %bb.5:
	s_cmp_lt_i32 s3, 16
	s_cbranch_scc1 .LBB72_12
; %bb.6:
	;; [unrolled: 3-line block ×3, first 2 shown]
	v_mov_b32_e32 v1, v13
	s_cmp_eq_u32 s3, 32
	s_cbranch_scc0 .LBB72_9
; %bb.8:
	s_delay_alu instid0(VALU_DEP_1) | instskip(SKIP_1) | instid1(VALU_DEP_1)
	v_mov_b32_dpp v1, v13 quad_perm:[1,0,3,2] row_mask:0xf bank_mask:0xf
	s_mov_b32 s12, 0x76543210
	v_cmp_gt_f32_e32 vcc_lo, v13, v1
	v_cndmask_b32_e32 v1, v1, v13, vcc_lo
	s_delay_alu instid0(VALU_DEP_1) | instskip(NEXT) | instid1(VALU_DEP_1)
	v_mov_b32_dpp v2, v1 quad_perm:[2,3,0,1] row_mask:0xf bank_mask:0xf
	v_cmp_gt_f32_e32 vcc_lo, v1, v2
	v_cndmask_b32_e32 v1, v2, v1, vcc_lo
	s_delay_alu instid0(VALU_DEP_1) | instskip(NEXT) | instid1(VALU_DEP_1)
	v_mov_b32_dpp v2, v1 row_xmask:7 row_mask:0xf bank_mask:0xf
	v_cmp_gt_f32_e32 vcc_lo, v1, v2
	v_cndmask_b32_e32 v1, v2, v1, vcc_lo
	s_delay_alu instid0(VALU_DEP_1) | instskip(NEXT) | instid1(VALU_DEP_1)
	v_mov_b32_dpp v2, v1 row_xmask:15 row_mask:0xf bank_mask:0xf
	v_cmp_gt_f32_e32 vcc_lo, v1, v2
	v_cndmask_b32_e32 v1, v2, v1, vcc_lo
	s_delay_alu instid0(VALU_DEP_1) | instskip(NEXT) | instid1(VALU_DEP_1)
	v_permlanex16_b32 v2, v1, s12, 0xfedcba98 op_sel:[1,1]
	v_cmp_gt_f32_e32 vcc_lo, v1, v2
	v_cndmask_b32_e32 v1, v2, v1, vcc_lo
.LBB72_9:
	s_mov_b32 s12, 0
	s_branch .LBB72_14
.LBB72_10:
	s_mov_b32 s3, 0
                                        ; implicit-def: $vgpr14
                                        ; implicit-def: $vgpr1_vgpr2
	s_and_b32 vcc_lo, exec_lo, s15
	s_cbranch_vccnz .LBB72_38
	s_branch .LBB72_41
.LBB72_11:
                                        ; implicit-def: $vgpr1
	s_branch .LBB72_21
.LBB72_12:
                                        ; implicit-def: $vgpr1
	s_branch .LBB72_18
.LBB72_13:
	s_mov_b32 s12, -1
                                        ; implicit-def: $vgpr1
.LBB72_14:
	s_delay_alu instid0(SALU_CYCLE_1)
	s_and_not1_b32 vcc_lo, exec_lo, s12
	s_cbranch_vccnz .LBB72_17
; %bb.15:
	v_mov_b32_e32 v1, v13
	s_cmp_eq_u32 s3, 16
	s_cbranch_scc0 .LBB72_17
; %bb.16:
	s_delay_alu instid0(VALU_DEP_1) | instskip(NEXT) | instid1(VALU_DEP_1)
	v_mov_b32_dpp v1, v13 quad_perm:[1,0,3,2] row_mask:0xf bank_mask:0xf
	v_cmp_gt_f32_e32 vcc_lo, v13, v1
	v_cndmask_b32_e32 v1, v1, v13, vcc_lo
	s_delay_alu instid0(VALU_DEP_1) | instskip(NEXT) | instid1(VALU_DEP_1)
	v_mov_b32_dpp v2, v1 quad_perm:[2,3,0,1] row_mask:0xf bank_mask:0xf
	v_cmp_gt_f32_e32 vcc_lo, v1, v2
	v_cndmask_b32_e32 v1, v2, v1, vcc_lo
	s_delay_alu instid0(VALU_DEP_1) | instskip(NEXT) | instid1(VALU_DEP_1)
	v_mov_b32_dpp v2, v1 row_half_mirror row_mask:0xf bank_mask:0xf
	v_cmp_gt_f32_e32 vcc_lo, v1, v2
	v_cndmask_b32_e32 v1, v2, v1, vcc_lo
	s_delay_alu instid0(VALU_DEP_1) | instskip(NEXT) | instid1(VALU_DEP_1)
	v_mov_b32_dpp v2, v1 row_mirror row_mask:0xf bank_mask:0xf
	v_cmp_gt_f32_e32 vcc_lo, v1, v2
	v_cndmask_b32_e32 v1, v2, v1, vcc_lo
.LBB72_17:
	s_cbranch_execnz .LBB72_20
.LBB72_18:
	v_mov_b32_e32 v1, v13
	s_cmp_eq_u32 s3, 8
	s_cbranch_scc0 .LBB72_20
; %bb.19:
	s_delay_alu instid0(VALU_DEP_1) | instskip(NEXT) | instid1(VALU_DEP_1)
	v_mov_b32_dpp v1, v13 quad_perm:[1,0,3,2] row_mask:0xf bank_mask:0xf
	v_cmp_gt_f32_e32 vcc_lo, v13, v1
	v_cndmask_b32_e32 v1, v1, v13, vcc_lo
	s_delay_alu instid0(VALU_DEP_1) | instskip(NEXT) | instid1(VALU_DEP_1)
	v_mov_b32_dpp v2, v1 quad_perm:[2,3,0,1] row_mask:0xf bank_mask:0xf
	v_cmp_gt_f32_e32 vcc_lo, v1, v2
	v_cndmask_b32_e32 v1, v2, v1, vcc_lo
	s_delay_alu instid0(VALU_DEP_1) | instskip(NEXT) | instid1(VALU_DEP_1)
	v_mov_b32_dpp v2, v1 row_half_mirror row_mask:0xf bank_mask:0xf
	v_cmp_gt_f32_e32 vcc_lo, v1, v2
	v_cndmask_b32_e32 v1, v2, v1, vcc_lo
.LBB72_20:
	s_cbranch_execnz .LBB72_28
.LBB72_21:
	s_cmp_lt_i32 s3, 4
	s_cbranch_scc1 .LBB72_24
; %bb.22:
	v_mov_b32_e32 v1, v13
	s_cmp_eq_u32 s3, 4
	s_cbranch_scc0 .LBB72_25
; %bb.23:
	s_delay_alu instid0(VALU_DEP_1) | instskip(NEXT) | instid1(VALU_DEP_1)
	v_mov_b32_dpp v1, v13 quad_perm:[1,0,3,2] row_mask:0xf bank_mask:0xf
	v_cmp_gt_f32_e32 vcc_lo, v13, v1
	v_cndmask_b32_e32 v1, v1, v13, vcc_lo
	s_delay_alu instid0(VALU_DEP_1) | instskip(NEXT) | instid1(VALU_DEP_1)
	v_mov_b32_dpp v2, v1 quad_perm:[2,3,0,1] row_mask:0xf bank_mask:0xf
	v_cmp_gt_f32_e32 vcc_lo, v1, v2
	v_cndmask_b32_e32 v1, v2, v1, vcc_lo
	s_cbranch_execz .LBB72_26
	s_branch .LBB72_28
.LBB72_24:
                                        ; implicit-def: $vgpr1
	s_branch .LBB72_26
.LBB72_25:
	s_cbranch_execnz .LBB72_28
.LBB72_26:
	v_mov_b32_e32 v1, v13
	s_cmp_lg_u32 s3, 2
	s_cbranch_scc1 .LBB72_28
; %bb.27:
	s_delay_alu instid0(VALU_DEP_1) | instskip(NEXT) | instid1(VALU_DEP_1)
	v_mov_b32_dpp v1, v13 quad_perm:[1,0,3,2] row_mask:0xf bank_mask:0xf
	v_cmp_gt_f32_e32 vcc_lo, v13, v1
	v_cndmask_b32_e32 v1, v1, v13, vcc_lo
.LBB72_28:
	v_cvt_f32_u32_e32 v2, s3
	s_sub_i32 s12, 0, s3
	s_mov_b32 s15, 0
	s_delay_alu instid0(VALU_DEP_1) | instskip(SKIP_2) | instid1(VALU_DEP_1)
	v_rcp_iflag_f32_e32 v2, v2
	s_waitcnt_depctr 0xfff
	v_mul_f32_e32 v2, 0x4f7ffffe, v2
	v_cvt_u32_f32_e32 v2, v2
	s_delay_alu instid0(VALU_DEP_1) | instskip(NEXT) | instid1(VALU_DEP_1)
	v_mul_lo_u32 v14, s12, v2
	v_mul_hi_u32 v14, v2, v14
	s_delay_alu instid0(VALU_DEP_1) | instskip(NEXT) | instid1(VALU_DEP_1)
	v_add_nc_u32_e32 v2, v2, v14
	v_mul_hi_u32 v2, v0, v2
	s_delay_alu instid0(VALU_DEP_1) | instskip(NEXT) | instid1(VALU_DEP_1)
	v_mul_lo_u32 v14, v2, s3
	v_sub_nc_u32_e32 v14, v0, v14
	s_delay_alu instid0(VALU_DEP_1) | instskip(SKIP_1) | instid1(VALU_DEP_2)
	v_subrev_nc_u32_e32 v16, s3, v14
	v_cmp_le_u32_e32 vcc_lo, s3, v14
	v_dual_cndmask_b32 v14, v14, v16 :: v_dual_add_nc_u32 v15, 1, v2
	s_delay_alu instid0(VALU_DEP_1) | instskip(NEXT) | instid1(VALU_DEP_2)
	v_cndmask_b32_e32 v2, v2, v15, vcc_lo
	v_cmp_le_u32_e32 vcc_lo, s3, v14
	s_delay_alu instid0(VALU_DEP_2) | instskip(NEXT) | instid1(VALU_DEP_1)
	v_dual_mul_f32 v14, 0x3b124925, v1 :: v_dual_add_nc_u32 v15, 1, v2
	v_cndmask_b32_e32 v15, v2, v15, vcc_lo
	v_cmp_gt_u32_e32 vcc_lo, s5, v5
	s_delay_alu instid0(VALU_DEP_2) | instskip(NEXT) | instid1(VALU_DEP_1)
	v_mul_lo_u32 v2, v15, s3
	v_sub_nc_u32_e32 v2, v0, v2
	s_delay_alu instid0(VALU_DEP_1) | instskip(NEXT) | instid1(VALU_DEP_1)
	v_cmp_eq_u32_e64 s3, 0, v2
                                        ; implicit-def: $vgpr1_vgpr2
	s_and_b32 s12, s3, vcc_lo
	s_mov_b32 s3, 0
	s_and_saveexec_b32 s13, s12
	s_delay_alu instid0(SALU_CYCLE_1)
	s_xor_b32 s14, exec_lo, s13
	s_cbranch_execz .LBB72_37
; %bb.29:
	s_bitcmp0_b32 s10, 0
	s_mov_b32 s16, 0
	s_cbranch_scc0 .LBB72_34
; %bb.30:
	s_ashr_i32 s3, s5, 31
	s_mul_hi_u32 s10, s5, s20
	s_mul_i32 s3, s3, s20
	s_mul_i32 s12, s5, s20
	s_add_i32 s13, s10, s3
	s_mov_b32 s10, s7
	s_delay_alu instid0(SALU_CYCLE_1) | instskip(NEXT) | instid1(SALU_CYCLE_1)
	s_or_b64 s[18:19], s[12:13], s[10:11]
	s_mov_b32 s17, s19
	s_delay_alu instid0(SALU_CYCLE_1)
	s_cmp_lg_u64 s[16:17], 0
	s_cbranch_scc0 .LBB72_45
; %bb.31:
	s_add_u32 s18, s10, s11
	s_mov_b32 s16, s11
	s_mov_b32 s17, s11
	s_addc_u32 s19, s11, s11
	s_delay_alu instid0(SALU_CYCLE_1) | instskip(NEXT) | instid1(SALU_CYCLE_1)
	s_xor_b64 s[18:19], s[18:19], s[16:17]
	v_cvt_f32_u32_e32 v1, s18
	v_cvt_f32_u32_e32 v2, s19
	s_sub_u32 s11, 0, s18
	s_subb_u32 s22, 0, s19
	s_delay_alu instid0(VALU_DEP_1) | instskip(NEXT) | instid1(VALU_DEP_1)
	v_fmamk_f32 v1, v2, 0x4f800000, v1
	v_rcp_f32_e32 v1, v1
	s_waitcnt_depctr 0xfff
	v_mul_f32_e32 v1, 0x5f7ffffc, v1
	s_delay_alu instid0(VALU_DEP_1) | instskip(NEXT) | instid1(VALU_DEP_1)
	v_mul_f32_e32 v2, 0x2f800000, v1
	v_trunc_f32_e32 v2, v2
	s_delay_alu instid0(VALU_DEP_1) | instskip(SKIP_1) | instid1(VALU_DEP_2)
	v_fmamk_f32 v1, v2, 0xcf800000, v1
	v_cvt_u32_f32_e32 v2, v2
	v_cvt_u32_f32_e32 v1, v1
	s_delay_alu instid0(VALU_DEP_2) | instskip(NEXT) | instid1(VALU_DEP_2)
	v_readfirstlane_b32 s3, v2
	v_readfirstlane_b32 s7, v1
	s_delay_alu instid0(VALU_DEP_2) | instskip(NEXT) | instid1(VALU_DEP_1)
	s_mul_i32 s23, s11, s3
	s_mul_hi_u32 s25, s11, s7
	s_mul_i32 s24, s22, s7
	s_add_i32 s23, s25, s23
	s_mul_i32 s26, s11, s7
	s_add_i32 s23, s23, s24
	s_mul_hi_u32 s25, s7, s26
	s_mul_hi_u32 s27, s3, s26
	s_mul_i32 s24, s3, s26
	s_mul_hi_u32 s26, s7, s23
	s_mul_i32 s7, s7, s23
	s_mul_hi_u32 s28, s3, s23
	s_add_u32 s7, s25, s7
	s_addc_u32 s25, 0, s26
	s_add_u32 s7, s7, s24
	s_mul_i32 s23, s3, s23
	s_addc_u32 s7, s25, s27
	s_addc_u32 s24, s28, 0
	s_add_u32 s7, s7, s23
	s_addc_u32 s23, 0, s24
	v_add_co_u32 v1, s7, v1, s7
	s_delay_alu instid0(VALU_DEP_1) | instskip(SKIP_1) | instid1(VALU_DEP_1)
	s_cmp_lg_u32 s7, 0
	s_addc_u32 s3, s3, s23
	v_readfirstlane_b32 s7, v1
	s_mul_i32 s23, s11, s3
	s_delay_alu instid0(VALU_DEP_1)
	s_mul_hi_u32 s24, s11, s7
	s_mul_i32 s22, s22, s7
	s_add_i32 s23, s24, s23
	s_mul_i32 s11, s11, s7
	s_add_i32 s23, s23, s22
	s_mul_hi_u32 s24, s3, s11
	s_mul_i32 s25, s3, s11
	s_mul_hi_u32 s11, s7, s11
	s_mul_hi_u32 s26, s7, s23
	s_mul_i32 s7, s7, s23
	s_mul_hi_u32 s22, s3, s23
	s_add_u32 s7, s11, s7
	s_addc_u32 s11, 0, s26
	s_add_u32 s7, s7, s25
	s_mul_i32 s23, s3, s23
	s_addc_u32 s7, s11, s24
	s_addc_u32 s11, s22, 0
	s_add_u32 s7, s7, s23
	s_addc_u32 s11, 0, s11
	v_add_co_u32 v1, s7, v1, s7
	s_delay_alu instid0(VALU_DEP_1) | instskip(SKIP_2) | instid1(VALU_DEP_1)
	s_cmp_lg_u32 s7, 0
	s_addc_u32 s3, s3, s11
	s_ashr_i32 s22, s13, 31
	v_readfirstlane_b32 s7, v1
	s_add_u32 s24, s12, s22
	s_mov_b32 s23, s22
	s_addc_u32 s25, s13, s22
	s_delay_alu instid0(SALU_CYCLE_1) | instskip(NEXT) | instid1(SALU_CYCLE_1)
	s_xor_b64 s[24:25], s[24:25], s[22:23]
	s_mul_i32 s13, s24, s3
	s_mul_hi_u32 s26, s24, s7
	s_mul_hi_u32 s11, s24, s3
	s_mul_hi_u32 s28, s25, s7
	s_mul_i32 s7, s25, s7
	s_add_u32 s13, s26, s13
	s_addc_u32 s11, 0, s11
	s_mul_hi_u32 s27, s25, s3
	s_add_u32 s7, s13, s7
	s_mul_i32 s3, s25, s3
	s_addc_u32 s7, s11, s28
	s_addc_u32 s11, s27, 0
	s_add_u32 s7, s7, s3
	s_addc_u32 s11, 0, s11
	s_mul_i32 s27, s18, s7
	s_mul_hi_u32 s3, s18, s7
	s_mul_i32 s26, s18, s11
	v_sub_co_u32 v1, s24, s24, s27
	s_mul_i32 s13, s19, s7
	s_add_i32 s3, s3, s26
	s_delay_alu instid0(SALU_CYCLE_1) | instskip(NEXT) | instid1(VALU_DEP_1)
	s_add_i32 s3, s3, s13
	v_sub_co_u32 v2, s26, v1, s18
	s_sub_i32 s13, s25, s3
	s_cmp_lg_u32 s24, 0
	s_subb_u32 s13, s13, s19
	s_cmp_lg_u32 s26, 0
	v_cmp_le_u32_e32 vcc_lo, s18, v2
	s_subb_u32 s13, s13, 0
	s_delay_alu instid0(SALU_CYCLE_1)
	s_cmp_ge_u32 s13, s19
	v_cndmask_b32_e64 v2, 0, -1, vcc_lo
	s_cselect_b32 s26, -1, 0
	s_cmp_eq_u32 s13, s19
	s_cselect_b32 vcc_lo, -1, 0
	s_add_u32 s13, s7, 1
	v_cndmask_b32_e32 v2, s26, v2, vcc_lo
	s_addc_u32 s26, s11, 0
	s_add_u32 s27, s7, 2
	s_addc_u32 s28, s11, 0
	s_cmp_lg_u32 s24, 0
	v_cmp_le_u32_e32 vcc_lo, s18, v1
	s_subb_u32 s3, s25, s3
	v_mov_b32_e32 v16, s27
	s_cmp_ge_u32 s3, s19
	v_cndmask_b32_e64 v1, 0, -1, vcc_lo
	s_cselect_b32 s18, -1, 0
	s_cmp_eq_u32 s3, s19
	v_cmp_ne_u32_e32 vcc_lo, 0, v2
	v_mov_b32_e32 v2, s28
	s_cselect_b32 s3, -1, 0
	s_xor_b64 s[16:17], s[22:23], s[16:17]
	v_cndmask_b32_e64 v1, s18, v1, s3
	v_cndmask_b32_e32 v16, s13, v16, vcc_lo
	v_cndmask_b32_e32 v2, s26, v2, vcc_lo
	s_delay_alu instid0(VALU_DEP_3) | instskip(NEXT) | instid1(VALU_DEP_2)
	v_cmp_ne_u32_e32 vcc_lo, 0, v1
	v_cndmask_b32_e32 v1, s11, v2, vcc_lo
	s_delay_alu instid0(VALU_DEP_4) | instskip(NEXT) | instid1(VALU_DEP_2)
	v_cndmask_b32_e32 v2, s7, v16, vcc_lo
	v_xor_b32_e32 v16, s17, v1
	s_delay_alu instid0(VALU_DEP_2) | instskip(NEXT) | instid1(VALU_DEP_1)
	v_xor_b32_e32 v2, s16, v2
	v_sub_co_u32 v1, vcc_lo, v2, s16
	s_delay_alu instid0(VALU_DEP_3)
	v_subrev_co_ci_u32_e32 v2, vcc_lo, s17, v16, vcc_lo
	s_cbranch_execnz .LBB72_33
.LBB72_32:
	v_cvt_f32_u32_e32 v1, s10
	s_sub_i32 s7, 0, s10
	s_delay_alu instid0(VALU_DEP_1) | instskip(SKIP_2) | instid1(VALU_DEP_1)
	v_rcp_iflag_f32_e32 v1, v1
	s_waitcnt_depctr 0xfff
	v_mul_f32_e32 v1, 0x4f7ffffe, v1
	v_cvt_u32_f32_e32 v1, v1
	s_delay_alu instid0(VALU_DEP_1) | instskip(NEXT) | instid1(VALU_DEP_1)
	v_readfirstlane_b32 s3, v1
	s_mul_i32 s7, s7, s3
	s_delay_alu instid0(SALU_CYCLE_1) | instskip(NEXT) | instid1(SALU_CYCLE_1)
	s_mul_hi_u32 s7, s3, s7
	s_add_i32 s3, s3, s7
	s_delay_alu instid0(SALU_CYCLE_1) | instskip(NEXT) | instid1(SALU_CYCLE_1)
	s_mul_hi_u32 s3, s12, s3
	s_mul_i32 s7, s3, s10
	s_add_i32 s11, s3, 1
	s_sub_i32 s7, s12, s7
	s_delay_alu instid0(SALU_CYCLE_1)
	s_sub_i32 s12, s7, s10
	s_cmp_ge_u32 s7, s10
	s_cselect_b32 s3, s11, s3
	s_cselect_b32 s7, s12, s7
	s_add_i32 s12, s3, 1
	s_cmp_ge_u32 s7, s10
	s_mov_b32 s11, 0
	s_cselect_b32 s10, s12, s3
	s_delay_alu instid0(SALU_CYCLE_1)
	v_dual_mov_b32 v1, s10 :: v_dual_mov_b32 v2, s11
.LBB72_33:
	s_delay_alu instid0(VALU_DEP_1) | instskip(NEXT) | instid1(VALU_DEP_2)
	v_add_co_u32 v1, vcc_lo, v1, v15
	v_add_co_ci_u32_e32 v2, vcc_lo, 0, v2, vcc_lo
	s_branch .LBB72_36
.LBB72_34:
                                        ; implicit-def: $vgpr1_vgpr2
	s_cbranch_execz .LBB72_36
; %bb.35:
	v_mul_lo_u32 v1, v15, s4
	s_delay_alu instid0(VALU_DEP_1) | instskip(SKIP_1) | instid1(VALU_DEP_2)
	v_ashrrev_i32_e32 v2, 31, v1
	v_add_co_u32 v1, vcc_lo, v1, s20
	v_add_co_ci_u32_e32 v2, vcc_lo, 0, v2, vcc_lo
.LBB72_36:
	s_mov_b32 s3, exec_lo
.LBB72_37:
	s_or_b32 exec_lo, exec_lo, s14
	s_delay_alu instid0(SALU_CYCLE_1)
	s_and_b32 vcc_lo, exec_lo, s15
	s_cbranch_vccz .LBB72_41
.LBB72_38:
	v_mov_b32_dpp v1, v13 quad_perm:[1,0,3,2] row_mask:0xf bank_mask:0xf
	s_delay_alu instid0(VALU_DEP_1) | instskip(SKIP_1) | instid1(VALU_DEP_1)
	v_cmp_gt_f32_e32 vcc_lo, v13, v1
	v_cndmask_b32_e32 v1, v1, v13, vcc_lo
	v_mov_b32_dpp v2, v1 quad_perm:[2,3,0,1] row_mask:0xf bank_mask:0xf
	s_delay_alu instid0(VALU_DEP_1) | instskip(SKIP_1) | instid1(VALU_DEP_1)
	v_cmp_gt_f32_e32 vcc_lo, v1, v2
	v_cndmask_b32_e32 v1, v2, v1, vcc_lo
	v_mov_b32_dpp v2, v1 row_xmask:7 row_mask:0xf bank_mask:0xf
	s_delay_alu instid0(VALU_DEP_1) | instskip(SKIP_1) | instid1(VALU_DEP_1)
	v_cmp_gt_f32_e32 vcc_lo, v1, v2
	v_cndmask_b32_e32 v1, v2, v1, vcc_lo
	v_mov_b32_dpp v2, v1 row_xmask:15 row_mask:0xf bank_mask:0xf
	s_delay_alu instid0(VALU_DEP_1)
	v_cmp_gt_f32_e32 vcc_lo, v1, v2
	s_and_saveexec_b32 s3, s2
	s_cbranch_execz .LBB72_40
; %bb.39:
	v_cndmask_b32_e32 v1, v2, v1, vcc_lo
	v_lshrrev_b32_e32 v2, 3, v0
	s_mov_b32 s2, 0x76543210
	s_delay_alu instid0(VALU_DEP_1) | instskip(NEXT) | instid1(VALU_DEP_3)
	v_and_b32_e32 v2, 0x7c, v2
	v_permlanex16_b32 v13, v1, s2, 0xfedcba98 op_sel:[1,1]
	s_delay_alu instid0(VALU_DEP_1)
	v_cmp_gt_f32_e32 vcc_lo, v1, v13
	v_cndmask_b32_e32 v1, v13, v1, vcc_lo
	ds_store_b32 v2, v1
.LBB72_40:
	s_or_b32 exec_lo, exec_lo, s3
	s_waitcnt lgkmcnt(0)
	s_barrier
	buffer_gl0_inv
	ds_load_b32 v1, v6
	v_cmp_eq_u32_e64 s3, 0, v0
	s_waitcnt lgkmcnt(0)
	v_mov_b32_dpp v2, v1 quad_perm:[1,0,3,2] row_mask:0xf bank_mask:0xf
	s_delay_alu instid0(VALU_DEP_1) | instskip(SKIP_1) | instid1(VALU_DEP_1)
	v_cmp_gt_f32_e32 vcc_lo, v1, v2
	v_cndmask_b32_e32 v1, v2, v1, vcc_lo
	v_mov_b32_dpp v2, v1 quad_perm:[2,3,0,1] row_mask:0xf bank_mask:0xf
	s_delay_alu instid0(VALU_DEP_1) | instskip(SKIP_1) | instid1(VALU_DEP_1)
	v_cmp_gt_f32_e32 vcc_lo, v1, v2
	v_cndmask_b32_e32 v1, v2, v1, vcc_lo
	v_dual_mul_f32 v14, 0x3b124925, v1 :: v_dual_mov_b32 v1, s20
	v_mov_b32_e32 v2, s21
.LBB72_41:
	s_and_saveexec_b32 s2, s3
	s_cbranch_execz .LBB72_43
; %bb.42:
	s_delay_alu instid0(VALU_DEP_1) | instskip(NEXT) | instid1(VALU_DEP_1)
	v_lshlrev_b64 v[0:1], 2, v[1:2]
	v_add_co_u32 v0, vcc_lo, s8, v0
	s_delay_alu instid0(VALU_DEP_2)
	v_add_co_ci_u32_e32 v1, vcc_lo, s9, v1, vcc_lo
	global_store_b32 v[0:1], v14, off
.LBB72_43:
	s_or_b32 exec_lo, exec_lo, s2
	;;#ASMSTART
	v_rcp_f32 v0, v14
	;;#ASMEND
	v_dual_mul_f32 v1, v11, v0 :: v_dual_mov_b32 v6, 0xc3e00000
	v_dual_mul_f32 v2, v12, v0 :: v_dual_mov_b32 v11, 0x43e00000
	v_mul_f32_e32 v9, v9, v0
	v_mul_f32_e32 v10, v10, v0
	;;#ASMSTART
	v_med3_f32 v1, v1, v6, v11
v_med3_f32 v2, v2, v6, v11
v_cvt_pk_fp8_f32 v12, v1, v2
	;;#ASMEND
	;;#ASMSTART
	v_med3_f32 v9, v9, v6, v11
v_med3_f32 v10, v10, v6, v11
v_cvt_pk_fp8_f32 v1, v9, v10
	;;#ASMEND
	v_perm_b32 v2, v1, v12, 0x5040100
	v_and_b32_e32 v1, 0xffffff00, v1
	s_load_b64 s[0:1], s[0:1], 0x0
	v_mul_f32_e32 v8, v8, v0
	s_add_i32 s2, s5, 3
	v_lshrrev_b32_e32 v9, 16, v2
	s_ashr_i32 s3, s2, 31
	v_mul_f32_e32 v7, v7, v0
	v_mul_f32_e32 v3, v3, v0
	s_ashr_i32 s4, s6, 31
	v_and_b32_e32 v9, 0xff, v9
	s_lshr_b32 s3, s3, 30
	s_mul_hi_u32 s5, s6, s20
	s_add_i32 s2, s2, s3
	s_mul_i32 s4, s4, s20
	v_or_b32_e32 v1, v9, v1
	v_mul_f32_e32 v0, v4, v0
	;;#ASMSTART
	v_med3_f32 v8, v8, v6, v11
v_med3_f32 v7, v7, v6, v11
v_cvt_pk_fp8_f32 v4, v8, v7
	;;#ASMEND
	s_mul_i32 s3, s6, s20
	s_and_b32 s2, s2, -4
	v_lshlrev_b32_e32 v1, 16, v1
	;;#ASMSTART
	v_med3_f32 v3, v3, v6, v11
v_med3_f32 v0, v0, v6, v11
v_cvt_pk_fp8_f32 v6, v3, v0
	;;#ASMEND
	v_lshlrev_b32_e32 v3, 16, v6
	s_add_i32 s5, s5, s4
	s_waitcnt lgkmcnt(0)
	s_add_u32 s0, s0, s3
	v_and_or_b32 v0, 0xffff, v2, v1
	s_addc_u32 s1, s1, s5
	v_and_or_b32 v1, 0xffff, v4, v3
	s_and_b32 s1, s1, 0xffff
	s_mov_b32 s3, -1
	buffer_store_b64 v[0:1], v5, s[0:3], 0 offen
	;;#ASMSTART
	s_nop 0
	;;#ASMEND
.LBB72_44:
	s_nop 0
	s_sendmsg sendmsg(MSG_DEALLOC_VGPRS)
	s_endpgm
.LBB72_45:
                                        ; implicit-def: $vgpr1_vgpr2
	s_branch .LBB72_32
	.section	.rodata,"a",@progbits
	.p2align	6, 0x0
	.amdhsa_kernel _ZN5aiter24add_rmsnorm_quant_kernelItDB8_Li128ELi8ELb0ELb1ELb0ELi1EEEvPT0_PT_PfS5_S5_S5_diiiiiiib
		.amdhsa_group_segment_fixed_size 32
		.amdhsa_private_segment_fixed_size 0
		.amdhsa_kernarg_size 88
		.amdhsa_user_sgpr_count 15
		.amdhsa_user_sgpr_dispatch_ptr 0
		.amdhsa_user_sgpr_queue_ptr 0
		.amdhsa_user_sgpr_kernarg_segment_ptr 1
		.amdhsa_user_sgpr_dispatch_id 0
		.amdhsa_user_sgpr_private_segment_size 0
		.amdhsa_wavefront_size32 1
		.amdhsa_uses_dynamic_stack 0
		.amdhsa_enable_private_segment 0
		.amdhsa_system_sgpr_workgroup_id_x 1
		.amdhsa_system_sgpr_workgroup_id_y 0
		.amdhsa_system_sgpr_workgroup_id_z 0
		.amdhsa_system_sgpr_workgroup_info 0
		.amdhsa_system_vgpr_workitem_id 0
		.amdhsa_next_free_vgpr 23
		.amdhsa_next_free_sgpr 29
		.amdhsa_reserve_vcc 1
		.amdhsa_float_round_mode_32 0
		.amdhsa_float_round_mode_16_64 0
		.amdhsa_float_denorm_mode_32 3
		.amdhsa_float_denorm_mode_16_64 3
		.amdhsa_dx10_clamp 1
		.amdhsa_ieee_mode 1
		.amdhsa_fp16_overflow 0
		.amdhsa_workgroup_processor_mode 1
		.amdhsa_memory_ordered 1
		.amdhsa_forward_progress 0
		.amdhsa_shared_vgpr_count 0
		.amdhsa_exception_fp_ieee_invalid_op 0
		.amdhsa_exception_fp_denorm_src 0
		.amdhsa_exception_fp_ieee_div_zero 0
		.amdhsa_exception_fp_ieee_overflow 0
		.amdhsa_exception_fp_ieee_underflow 0
		.amdhsa_exception_fp_ieee_inexact 0
		.amdhsa_exception_int_div_zero 0
	.end_amdhsa_kernel
	.section	.text._ZN5aiter24add_rmsnorm_quant_kernelItDB8_Li128ELi8ELb0ELb1ELb0ELi1EEEvPT0_PT_PfS5_S5_S5_diiiiiiib,"axG",@progbits,_ZN5aiter24add_rmsnorm_quant_kernelItDB8_Li128ELi8ELb0ELb1ELb0ELi1EEEvPT0_PT_PfS5_S5_S5_diiiiiiib,comdat
.Lfunc_end72:
	.size	_ZN5aiter24add_rmsnorm_quant_kernelItDB8_Li128ELi8ELb0ELb1ELb0ELi1EEEvPT0_PT_PfS5_S5_S5_diiiiiiib, .Lfunc_end72-_ZN5aiter24add_rmsnorm_quant_kernelItDB8_Li128ELi8ELb0ELb1ELb0ELi1EEEvPT0_PT_PfS5_S5_S5_diiiiiiib
                                        ; -- End function
	.section	.AMDGPU.csdata,"",@progbits
; Kernel info:
; codeLenInByte = 3428
; NumSgprs: 31
; NumVgprs: 23
; ScratchSize: 0
; MemoryBound: 0
; FloatMode: 240
; IeeeMode: 1
; LDSByteSize: 32 bytes/workgroup (compile time only)
; SGPRBlocks: 3
; VGPRBlocks: 2
; NumSGPRsForWavesPerEU: 31
; NumVGPRsForWavesPerEU: 23
; Occupancy: 16
; WaveLimiterHint : 0
; COMPUTE_PGM_RSRC2:SCRATCH_EN: 0
; COMPUTE_PGM_RSRC2:USER_SGPR: 15
; COMPUTE_PGM_RSRC2:TRAP_HANDLER: 0
; COMPUTE_PGM_RSRC2:TGID_X_EN: 1
; COMPUTE_PGM_RSRC2:TGID_Y_EN: 0
; COMPUTE_PGM_RSRC2:TGID_Z_EN: 0
; COMPUTE_PGM_RSRC2:TIDIG_COMP_CNT: 0
	.section	.text._ZN5aiter24add_rmsnorm_quant_kernelIDF16_DB8_Li256ELi8ELb0ELb1ELb1ELi1EEEvPT0_PT_PfS5_S5_S5_diiiiiiib,"axG",@progbits,_ZN5aiter24add_rmsnorm_quant_kernelIDF16_DB8_Li256ELi8ELb0ELb1ELb1ELi1EEEvPT0_PT_PfS5_S5_S5_diiiiiiib,comdat
	.protected	_ZN5aiter24add_rmsnorm_quant_kernelIDF16_DB8_Li256ELi8ELb0ELb1ELb1ELi1EEEvPT0_PT_PfS5_S5_S5_diiiiiiib ; -- Begin function _ZN5aiter24add_rmsnorm_quant_kernelIDF16_DB8_Li256ELi8ELb0ELb1ELb1ELi1EEEvPT0_PT_PfS5_S5_S5_diiiiiiib
	.globl	_ZN5aiter24add_rmsnorm_quant_kernelIDF16_DB8_Li256ELi8ELb0ELb1ELb1ELi1EEEvPT0_PT_PfS5_S5_S5_diiiiiiib
	.p2align	8
	.type	_ZN5aiter24add_rmsnorm_quant_kernelIDF16_DB8_Li256ELi8ELb0ELb1ELb1ELi1EEEvPT0_PT_PfS5_S5_S5_diiiiiiib,@function
_ZN5aiter24add_rmsnorm_quant_kernelIDF16_DB8_Li256ELi8ELb0ELb1ELb1ELi1EEEvPT0_PT_PfS5_S5_S5_diiiiiiib: ; @_ZN5aiter24add_rmsnorm_quant_kernelIDF16_DB8_Li256ELi8ELb0ELb1ELb1ELi1EEEvPT0_PT_PfS5_S5_S5_diiiiiiib
; %bb.0:
	s_load_b128 s[4:7], s[0:1], 0x38
	s_mov_b32 s20, s15
	s_mov_b32 s21, 0
	s_waitcnt lgkmcnt(0)
	s_ashr_i32 s3, s4, 31
	s_mov_b32 s2, s4
	s_delay_alu instid0(SALU_CYCLE_1) | instskip(NEXT) | instid1(VALU_DEP_1)
	v_cmp_ge_i64_e64 s2, s[20:21], s[2:3]
	s_and_b32 vcc_lo, exec_lo, s2
	s_cbranch_vccnz .LBB73_44
; %bb.1:
	s_clause 0x1
	s_load_b128 s[8:11], s[0:1], 0x10
	s_load_b128 s[16:19], s[0:1], 0x28
	s_ashr_i32 s2, s6, 31
	s_mul_hi_u32 s3, s6, s20
	s_mul_i32 s7, s2, s20
	s_mul_i32 s2, s6, s20
	s_add_i32 s3, s3, s7
	v_lshlrev_b32_e32 v1, 4, v0
	s_lshl_b64 s[2:3], s[2:3], 1
	s_mov_b32 s15, -1
	v_and_b32_e32 v15, 31, v0
	s_mov_b32 s27, s15
	s_waitcnt lgkmcnt(0)
	s_add_u32 s12, s10, s2
	s_addc_u32 s2, s11, s3
	s_add_i32 s3, s5, 1
	s_and_b32 s13, s2, 0xffff
	s_lshr_b32 s6, s3, 31
	s_mov_b32 s24, s16
	s_add_i32 s3, s3, s6
	s_and_b32 s25, s17, 0xffff
	s_lshl_b32 s3, s3, 1
	v_cmp_eq_u32_e64 s2, 31, v15
	s_and_b32 s14, s3, -4
	buffer_load_b128 v[9:12], v1, s[12:15], 0 offen glc slc
	s_mov_b32 s26, s14
	buffer_load_b128 v[1:4], v1, s[24:27], 0 offen
	s_waitcnt vmcnt(1)
	v_lshrrev_b32_e32 v5, 16, v9
	v_lshrrev_b32_e32 v13, 16, v10
	;; [unrolled: 1-line block ×4, first 2 shown]
	s_delay_alu instid0(VALU_DEP_4) | instskip(NEXT) | instid1(VALU_DEP_4)
	v_cvt_f32_f16_e32 v6, v5
	v_cvt_f32_f16_e32 v14, v13
	s_delay_alu instid0(VALU_DEP_4) | instskip(NEXT) | instid1(VALU_DEP_3)
	v_cvt_f32_f16_e32 v13, v16
	v_mul_f32_e32 v5, v6, v6
	s_delay_alu instid0(VALU_DEP_1) | instskip(SKIP_1) | instid1(VALU_DEP_2)
	v_fma_mix_f32 v5, v9, v9, v5 op_sel_hi:[1,1,0]
	v_cvt_f32_f16_e32 v9, v9
	v_fma_mix_f32 v5, v10, v10, v5 op_sel_hi:[1,1,0]
	s_delay_alu instid0(VALU_DEP_1) | instskip(NEXT) | instid1(VALU_DEP_1)
	v_fma_mix_f32 v5, v10, v10, v5 op_sel:[1,1,0] op_sel_hi:[1,1,0]
	v_fma_mix_f32 v5, v11, v11, v5 op_sel_hi:[1,1,0]
	s_delay_alu instid0(VALU_DEP_1) | instskip(NEXT) | instid1(VALU_DEP_1)
	v_fma_mix_f32 v5, v11, v11, v5 op_sel:[1,1,0] op_sel_hi:[1,1,0]
	;; [unrolled: 3-line block ×3, first 2 shown]
	v_mov_b32_dpp v7, v5 quad_perm:[1,0,3,2] row_mask:0xf bank_mask:0xf
	s_delay_alu instid0(VALU_DEP_1) | instskip(NEXT) | instid1(VALU_DEP_1)
	v_add_f32_e32 v5, v5, v7
	v_mov_b32_dpp v7, v5 quad_perm:[2,3,0,1] row_mask:0xf bank_mask:0xf
	s_delay_alu instid0(VALU_DEP_1)
	v_add_f32_e32 v5, v5, v7
	v_cvt_f32_f16_e32 v7, v10
	v_cvt_f32_f16_e32 v10, v11
	;; [unrolled: 1-line block ×4, first 2 shown]
	v_mov_b32_dpp v8, v5 row_xmask:7 row_mask:0xf bank_mask:0xf
	s_delay_alu instid0(VALU_DEP_1) | instskip(NEXT) | instid1(VALU_DEP_1)
	v_add_f32_e32 v5, v5, v8
	v_mov_b32_dpp v8, v5 row_xmask:15 row_mask:0xf bank_mask:0xf
	s_and_saveexec_b32 s3, s2
	s_cbranch_execz .LBB73_3
; %bb.2:
	s_delay_alu instid0(VALU_DEP_1) | instskip(SKIP_2) | instid1(VALU_DEP_2)
	v_add_f32_e32 v5, v5, v8
	s_mov_b32 s6, 0x76543210
	v_lshrrev_b32_e32 v8, 3, v0
	v_permlanex16_b32 v15, v5, s6, 0xfedcba98 op_sel:[1,1]
	s_delay_alu instid0(VALU_DEP_1)
	v_dual_add_f32 v5, v5, v15 :: v_dual_and_b32 v8, 0x7c, v8
	ds_store_b32 v8, v5 offset:32
.LBB73_3:
	s_or_b32 exec_lo, exec_lo, s3
	v_and_b32_e32 v5, 7, v0
	s_waitcnt vmcnt(0) lgkmcnt(0)
	s_barrier
	buffer_gl0_inv
	v_cvt_f32_i32_e32 v16, s5
	v_lshlrev_b32_e32 v8, 2, v5
	ds_load_b32 v5, v8 offset:32
	s_clause 0x1
	s_load_b64 s[6:7], s[0:1], 0x4c
	s_load_b32 s10, s[0:1], 0x54
	s_waitcnt lgkmcnt(0)
	s_cmp_lg_u32 s7, 0
	v_mov_b32_dpp v15, v5 quad_perm:[1,0,3,2] row_mask:0xf bank_mask:0xf
	s_delay_alu instid0(VALU_DEP_1) | instskip(NEXT) | instid1(VALU_DEP_1)
	v_add_f32_e32 v5, v5, v15
	v_mov_b32_dpp v15, v5 quad_perm:[2,3,0,1] row_mask:0xf bank_mask:0xf
	s_delay_alu instid0(VALU_DEP_1) | instskip(NEXT) | instid1(VALU_DEP_1)
	v_add_f32_e32 v5, v5, v15
	v_mov_b32_dpp v15, v5 row_xmask:7 row_mask:0xf bank_mask:0xf
	s_delay_alu instid0(VALU_DEP_1) | instskip(NEXT) | instid1(VALU_DEP_1)
	v_add_f32_e32 v5, v5, v15
	v_div_scale_f32 v15, null, v16, v16, v5
	v_div_scale_f32 v19, vcc_lo, v5, v16, v5
	s_delay_alu instid0(VALU_DEP_2) | instskip(SKIP_2) | instid1(VALU_DEP_1)
	v_rcp_f32_e32 v17, v15
	s_waitcnt_depctr 0xfff
	v_fma_f32 v18, -v15, v17, 1.0
	v_fmac_f32_e32 v17, v18, v17
	s_delay_alu instid0(VALU_DEP_1) | instskip(NEXT) | instid1(VALU_DEP_1)
	v_mul_f32_e32 v18, v19, v17
	v_fma_f32 v20, -v15, v18, v19
	s_delay_alu instid0(VALU_DEP_1) | instskip(SKIP_2) | instid1(VALU_DEP_3)
	v_fmac_f32_e32 v18, v20, v17
	v_cvt_f32_f16_e32 v20, v4
	v_lshrrev_b32_e32 v4, 16, v4
	v_fma_f32 v15, -v15, v18, v19
	s_delay_alu instid0(VALU_DEP_2) | instskip(NEXT) | instid1(VALU_DEP_2)
	v_cvt_f32_f16_e32 v4, v4
	v_div_fmas_f32 v15, v15, v17, v18
	v_cvt_f32_f16_e32 v17, v2
	v_lshrrev_b32_e32 v2, 16, v2
	v_cvt_f32_f16_e32 v18, v3
	v_lshrrev_b32_e32 v3, 16, v3
	v_div_fixup_f32 v5, v15, v16, v5
	s_delay_alu instid0(VALU_DEP_4) | instskip(NEXT) | instid1(VALU_DEP_3)
	v_cvt_f32_f16_e32 v2, v2
	v_cvt_f32_f16_e32 v3, v3
	s_delay_alu instid0(VALU_DEP_3) | instskip(NEXT) | instid1(VALU_DEP_1)
	v_cvt_f64_f32_e32 v[15:16], v5
	v_add_f64 v[15:16], v[15:16], s[18:19]
	s_delay_alu instid0(VALU_DEP_1) | instskip(SKIP_2) | instid1(VALU_DEP_1)
	v_cvt_f32_f64_e32 v5, v[15:16]
	v_cvt_f32_f16_e32 v16, v1
	v_lshrrev_b32_e32 v1, 16, v1
	v_cvt_f32_f16_e32 v1, v1
	s_delay_alu instid0(VALU_DEP_4) | instskip(SKIP_1) | instid1(VALU_DEP_2)
	v_mul_f32_e32 v15, 0x4b800000, v5
	v_cmp_gt_f32_e32 vcc_lo, 0x800000, v5
	v_cndmask_b32_e32 v5, v5, v15, vcc_lo
	s_delay_alu instid0(VALU_DEP_1) | instskip(SKIP_2) | instid1(VALU_DEP_1)
	v_rsq_f32_e32 v15, v5
	s_waitcnt_depctr 0xfff
	v_mul_f32_e32 v19, 0x45800000, v15
	v_cndmask_b32_e32 v15, v15, v19, vcc_lo
	s_delay_alu instid0(VALU_DEP_1) | instskip(SKIP_4) | instid1(VALU_DEP_4)
	v_dual_mul_f32 v22, v15, v11 :: v_dual_lshlrev_b32 v5, 3, v0
	v_mul_f32_e32 v14, v15, v14
	v_mul_f32_e32 v6, v15, v6
	;; [unrolled: 1-line block ×4, first 2 shown]
	v_dual_mov_b32 v21, 0x2edbe6ff :: v_dual_mul_f32 v10, v14, v2
	v_mul_f32_e32 v9, v15, v9
	v_mul_f32_e32 v7, v15, v7
	v_dual_mul_f32 v15, v15, v12 :: v_dual_mul_f32 v12, v6, v1
	v_mul_f32_e32 v6, v13, v3
	s_delay_alu instid0(VALU_DEP_4) | instskip(SKIP_1) | instid1(VALU_DEP_4)
	v_dual_mul_f32 v11, v9, v16 :: v_dual_and_b32 v14, 0x7fffffff, v10
	v_mul_f32_e32 v3, v22, v20
	v_mul_f32_e32 v4, v15, v4
	s_delay_alu instid0(VALU_DEP_4)
	v_dual_mul_f32 v9, v7, v17 :: v_dual_and_b32 v16, 0x7fffffff, v6
	v_mul_f32_e32 v7, v19, v18
	v_and_b32_e32 v1, 0x7fffffff, v11
	v_and_b32_e32 v2, 0x7fffffff, v12
	;;#ASMSTART
	v_max3_f32 v1, v21, v1, v2

	;;#ASMEND
	v_and_b32_e32 v13, 0x7fffffff, v9
	;;#ASMSTART
	v_max3_f32 v1, v1, v13, v14

	;;#ASMEND
	v_and_b32_e32 v15, 0x7fffffff, v7
	v_and_b32_e32 v17, 0x7fffffff, v3
	;; [unrolled: 1-line block ×3, first 2 shown]
	;;#ASMSTART
	v_max3_f32 v1, v1, v15, v16

	;;#ASMEND
	;;#ASMSTART
	v_max3_f32 v13, v1, v17, v18

	;;#ASMEND
	s_cbranch_scc0 .LBB73_10
; %bb.4:
	s_ashr_i32 s11, s7, 31
	s_delay_alu instid0(SALU_CYCLE_1) | instskip(NEXT) | instid1(SALU_CYCLE_1)
	s_lshr_b32 s3, s11, 29
	s_add_i32 s3, s7, s3
	s_delay_alu instid0(SALU_CYCLE_1) | instskip(NEXT) | instid1(SALU_CYCLE_1)
	s_ashr_i32 s3, s3, 3
	s_cmp_lt_i32 s3, 8
	s_cbranch_scc1 .LBB73_11
; %bb.5:
	s_cmp_lt_i32 s3, 16
	s_cbranch_scc1 .LBB73_12
; %bb.6:
	;; [unrolled: 3-line block ×3, first 2 shown]
	v_mov_b32_e32 v1, v13
	s_cmp_eq_u32 s3, 32
	s_cbranch_scc0 .LBB73_9
; %bb.8:
	s_delay_alu instid0(VALU_DEP_1) | instskip(SKIP_1) | instid1(VALU_DEP_1)
	v_mov_b32_dpp v1, v13 quad_perm:[1,0,3,2] row_mask:0xf bank_mask:0xf
	s_mov_b32 s12, 0x76543210
	v_cmp_gt_f32_e32 vcc_lo, v13, v1
	v_cndmask_b32_e32 v1, v1, v13, vcc_lo
	s_delay_alu instid0(VALU_DEP_1) | instskip(NEXT) | instid1(VALU_DEP_1)
	v_mov_b32_dpp v2, v1 quad_perm:[2,3,0,1] row_mask:0xf bank_mask:0xf
	v_cmp_gt_f32_e32 vcc_lo, v1, v2
	v_cndmask_b32_e32 v1, v2, v1, vcc_lo
	s_delay_alu instid0(VALU_DEP_1) | instskip(NEXT) | instid1(VALU_DEP_1)
	v_mov_b32_dpp v2, v1 row_xmask:7 row_mask:0xf bank_mask:0xf
	v_cmp_gt_f32_e32 vcc_lo, v1, v2
	v_cndmask_b32_e32 v1, v2, v1, vcc_lo
	s_delay_alu instid0(VALU_DEP_1) | instskip(NEXT) | instid1(VALU_DEP_1)
	v_mov_b32_dpp v2, v1 row_xmask:15 row_mask:0xf bank_mask:0xf
	v_cmp_gt_f32_e32 vcc_lo, v1, v2
	v_cndmask_b32_e32 v1, v2, v1, vcc_lo
	s_delay_alu instid0(VALU_DEP_1) | instskip(NEXT) | instid1(VALU_DEP_1)
	v_permlanex16_b32 v2, v1, s12, 0xfedcba98 op_sel:[1,1]
	v_cmp_gt_f32_e32 vcc_lo, v1, v2
	v_cndmask_b32_e32 v1, v2, v1, vcc_lo
.LBB73_9:
	s_mov_b32 s12, 0
	s_branch .LBB73_14
.LBB73_10:
	s_mov_b32 s3, 0
                                        ; implicit-def: $vgpr14
                                        ; implicit-def: $vgpr1_vgpr2
	s_and_b32 vcc_lo, exec_lo, s15
	s_cbranch_vccnz .LBB73_38
	s_branch .LBB73_41
.LBB73_11:
                                        ; implicit-def: $vgpr1
	s_branch .LBB73_21
.LBB73_12:
                                        ; implicit-def: $vgpr1
	s_branch .LBB73_18
.LBB73_13:
	s_mov_b32 s12, -1
                                        ; implicit-def: $vgpr1
.LBB73_14:
	s_delay_alu instid0(SALU_CYCLE_1)
	s_and_not1_b32 vcc_lo, exec_lo, s12
	s_cbranch_vccnz .LBB73_17
; %bb.15:
	v_mov_b32_e32 v1, v13
	s_cmp_eq_u32 s3, 16
	s_cbranch_scc0 .LBB73_17
; %bb.16:
	s_delay_alu instid0(VALU_DEP_1) | instskip(NEXT) | instid1(VALU_DEP_1)
	v_mov_b32_dpp v1, v13 quad_perm:[1,0,3,2] row_mask:0xf bank_mask:0xf
	v_cmp_gt_f32_e32 vcc_lo, v13, v1
	v_cndmask_b32_e32 v1, v1, v13, vcc_lo
	s_delay_alu instid0(VALU_DEP_1) | instskip(NEXT) | instid1(VALU_DEP_1)
	v_mov_b32_dpp v2, v1 quad_perm:[2,3,0,1] row_mask:0xf bank_mask:0xf
	v_cmp_gt_f32_e32 vcc_lo, v1, v2
	v_cndmask_b32_e32 v1, v2, v1, vcc_lo
	s_delay_alu instid0(VALU_DEP_1) | instskip(NEXT) | instid1(VALU_DEP_1)
	v_mov_b32_dpp v2, v1 row_half_mirror row_mask:0xf bank_mask:0xf
	v_cmp_gt_f32_e32 vcc_lo, v1, v2
	v_cndmask_b32_e32 v1, v2, v1, vcc_lo
	s_delay_alu instid0(VALU_DEP_1) | instskip(NEXT) | instid1(VALU_DEP_1)
	v_mov_b32_dpp v2, v1 row_mirror row_mask:0xf bank_mask:0xf
	v_cmp_gt_f32_e32 vcc_lo, v1, v2
	v_cndmask_b32_e32 v1, v2, v1, vcc_lo
.LBB73_17:
	s_cbranch_execnz .LBB73_20
.LBB73_18:
	v_mov_b32_e32 v1, v13
	s_cmp_eq_u32 s3, 8
	s_cbranch_scc0 .LBB73_20
; %bb.19:
	s_delay_alu instid0(VALU_DEP_1) | instskip(NEXT) | instid1(VALU_DEP_1)
	v_mov_b32_dpp v1, v13 quad_perm:[1,0,3,2] row_mask:0xf bank_mask:0xf
	v_cmp_gt_f32_e32 vcc_lo, v13, v1
	v_cndmask_b32_e32 v1, v1, v13, vcc_lo
	s_delay_alu instid0(VALU_DEP_1) | instskip(NEXT) | instid1(VALU_DEP_1)
	v_mov_b32_dpp v2, v1 quad_perm:[2,3,0,1] row_mask:0xf bank_mask:0xf
	v_cmp_gt_f32_e32 vcc_lo, v1, v2
	v_cndmask_b32_e32 v1, v2, v1, vcc_lo
	s_delay_alu instid0(VALU_DEP_1) | instskip(NEXT) | instid1(VALU_DEP_1)
	v_mov_b32_dpp v2, v1 row_half_mirror row_mask:0xf bank_mask:0xf
	v_cmp_gt_f32_e32 vcc_lo, v1, v2
	v_cndmask_b32_e32 v1, v2, v1, vcc_lo
.LBB73_20:
	s_cbranch_execnz .LBB73_28
.LBB73_21:
	s_cmp_lt_i32 s3, 4
	s_cbranch_scc1 .LBB73_24
; %bb.22:
	v_mov_b32_e32 v1, v13
	s_cmp_eq_u32 s3, 4
	s_cbranch_scc0 .LBB73_25
; %bb.23:
	s_delay_alu instid0(VALU_DEP_1) | instskip(NEXT) | instid1(VALU_DEP_1)
	v_mov_b32_dpp v1, v13 quad_perm:[1,0,3,2] row_mask:0xf bank_mask:0xf
	v_cmp_gt_f32_e32 vcc_lo, v13, v1
	v_cndmask_b32_e32 v1, v1, v13, vcc_lo
	s_delay_alu instid0(VALU_DEP_1) | instskip(NEXT) | instid1(VALU_DEP_1)
	v_mov_b32_dpp v2, v1 quad_perm:[2,3,0,1] row_mask:0xf bank_mask:0xf
	v_cmp_gt_f32_e32 vcc_lo, v1, v2
	v_cndmask_b32_e32 v1, v2, v1, vcc_lo
	s_cbranch_execz .LBB73_26
	s_branch .LBB73_28
.LBB73_24:
                                        ; implicit-def: $vgpr1
	s_branch .LBB73_26
.LBB73_25:
	s_cbranch_execnz .LBB73_28
.LBB73_26:
	v_mov_b32_e32 v1, v13
	s_cmp_lg_u32 s3, 2
	s_cbranch_scc1 .LBB73_28
; %bb.27:
	s_delay_alu instid0(VALU_DEP_1) | instskip(NEXT) | instid1(VALU_DEP_1)
	v_mov_b32_dpp v1, v13 quad_perm:[1,0,3,2] row_mask:0xf bank_mask:0xf
	v_cmp_gt_f32_e32 vcc_lo, v13, v1
	v_cndmask_b32_e32 v1, v1, v13, vcc_lo
.LBB73_28:
	v_cvt_f32_u32_e32 v2, s3
	s_sub_i32 s12, 0, s3
	s_mov_b32 s15, 0
	s_delay_alu instid0(VALU_DEP_1) | instskip(SKIP_2) | instid1(VALU_DEP_1)
	v_rcp_iflag_f32_e32 v2, v2
	s_waitcnt_depctr 0xfff
	v_mul_f32_e32 v2, 0x4f7ffffe, v2
	v_cvt_u32_f32_e32 v2, v2
	s_delay_alu instid0(VALU_DEP_1) | instskip(NEXT) | instid1(VALU_DEP_1)
	v_mul_lo_u32 v14, s12, v2
	v_mul_hi_u32 v14, v2, v14
	s_delay_alu instid0(VALU_DEP_1) | instskip(NEXT) | instid1(VALU_DEP_1)
	v_add_nc_u32_e32 v2, v2, v14
	v_mul_hi_u32 v2, v0, v2
	s_delay_alu instid0(VALU_DEP_1) | instskip(NEXT) | instid1(VALU_DEP_1)
	v_mul_lo_u32 v14, v2, s3
	v_sub_nc_u32_e32 v14, v0, v14
	s_delay_alu instid0(VALU_DEP_1) | instskip(SKIP_1) | instid1(VALU_DEP_2)
	v_subrev_nc_u32_e32 v16, s3, v14
	v_cmp_le_u32_e32 vcc_lo, s3, v14
	v_dual_cndmask_b32 v14, v14, v16 :: v_dual_add_nc_u32 v15, 1, v2
	s_delay_alu instid0(VALU_DEP_1) | instskip(NEXT) | instid1(VALU_DEP_2)
	v_cndmask_b32_e32 v2, v2, v15, vcc_lo
	v_cmp_le_u32_e32 vcc_lo, s3, v14
	s_delay_alu instid0(VALU_DEP_2) | instskip(NEXT) | instid1(VALU_DEP_1)
	v_dual_mul_f32 v14, 0x3b124925, v1 :: v_dual_add_nc_u32 v15, 1, v2
	v_cndmask_b32_e32 v15, v2, v15, vcc_lo
	v_cmp_gt_u32_e32 vcc_lo, s5, v5
	s_delay_alu instid0(VALU_DEP_2) | instskip(NEXT) | instid1(VALU_DEP_1)
	v_mul_lo_u32 v2, v15, s3
	v_sub_nc_u32_e32 v2, v0, v2
	s_delay_alu instid0(VALU_DEP_1) | instskip(NEXT) | instid1(VALU_DEP_1)
	v_cmp_eq_u32_e64 s3, 0, v2
                                        ; implicit-def: $vgpr1_vgpr2
	s_and_b32 s12, s3, vcc_lo
	s_mov_b32 s3, 0
	s_and_saveexec_b32 s13, s12
	s_delay_alu instid0(SALU_CYCLE_1)
	s_xor_b32 s14, exec_lo, s13
	s_cbranch_execz .LBB73_37
; %bb.29:
	s_bitcmp0_b32 s10, 0
	s_mov_b32 s16, 0
	s_cbranch_scc0 .LBB73_34
; %bb.30:
	s_ashr_i32 s3, s5, 31
	s_mul_hi_u32 s10, s5, s20
	s_mul_i32 s3, s3, s20
	s_mul_i32 s12, s5, s20
	s_add_i32 s13, s10, s3
	s_mov_b32 s10, s7
	s_delay_alu instid0(SALU_CYCLE_1) | instskip(NEXT) | instid1(SALU_CYCLE_1)
	s_or_b64 s[18:19], s[12:13], s[10:11]
	s_mov_b32 s17, s19
	s_delay_alu instid0(SALU_CYCLE_1)
	s_cmp_lg_u64 s[16:17], 0
	s_cbranch_scc0 .LBB73_45
; %bb.31:
	s_add_u32 s18, s10, s11
	s_mov_b32 s16, s11
	s_mov_b32 s17, s11
	s_addc_u32 s19, s11, s11
	s_delay_alu instid0(SALU_CYCLE_1) | instskip(NEXT) | instid1(SALU_CYCLE_1)
	s_xor_b64 s[18:19], s[18:19], s[16:17]
	v_cvt_f32_u32_e32 v1, s18
	v_cvt_f32_u32_e32 v2, s19
	s_sub_u32 s11, 0, s18
	s_subb_u32 s22, 0, s19
	s_delay_alu instid0(VALU_DEP_1) | instskip(NEXT) | instid1(VALU_DEP_1)
	v_fmamk_f32 v1, v2, 0x4f800000, v1
	v_rcp_f32_e32 v1, v1
	s_waitcnt_depctr 0xfff
	v_mul_f32_e32 v1, 0x5f7ffffc, v1
	s_delay_alu instid0(VALU_DEP_1) | instskip(NEXT) | instid1(VALU_DEP_1)
	v_mul_f32_e32 v2, 0x2f800000, v1
	v_trunc_f32_e32 v2, v2
	s_delay_alu instid0(VALU_DEP_1) | instskip(SKIP_1) | instid1(VALU_DEP_2)
	v_fmamk_f32 v1, v2, 0xcf800000, v1
	v_cvt_u32_f32_e32 v2, v2
	v_cvt_u32_f32_e32 v1, v1
	s_delay_alu instid0(VALU_DEP_2) | instskip(NEXT) | instid1(VALU_DEP_2)
	v_readfirstlane_b32 s3, v2
	v_readfirstlane_b32 s7, v1
	s_delay_alu instid0(VALU_DEP_2) | instskip(NEXT) | instid1(VALU_DEP_1)
	s_mul_i32 s23, s11, s3
	s_mul_hi_u32 s25, s11, s7
	s_mul_i32 s24, s22, s7
	s_add_i32 s23, s25, s23
	s_mul_i32 s26, s11, s7
	s_add_i32 s23, s23, s24
	s_mul_hi_u32 s25, s7, s26
	s_mul_hi_u32 s27, s3, s26
	s_mul_i32 s24, s3, s26
	s_mul_hi_u32 s26, s7, s23
	s_mul_i32 s7, s7, s23
	s_mul_hi_u32 s28, s3, s23
	s_add_u32 s7, s25, s7
	s_addc_u32 s25, 0, s26
	s_add_u32 s7, s7, s24
	s_mul_i32 s23, s3, s23
	s_addc_u32 s7, s25, s27
	s_addc_u32 s24, s28, 0
	s_add_u32 s7, s7, s23
	s_addc_u32 s23, 0, s24
	v_add_co_u32 v1, s7, v1, s7
	s_delay_alu instid0(VALU_DEP_1) | instskip(SKIP_1) | instid1(VALU_DEP_1)
	s_cmp_lg_u32 s7, 0
	s_addc_u32 s3, s3, s23
	v_readfirstlane_b32 s7, v1
	s_mul_i32 s23, s11, s3
	s_delay_alu instid0(VALU_DEP_1)
	s_mul_hi_u32 s24, s11, s7
	s_mul_i32 s22, s22, s7
	s_add_i32 s23, s24, s23
	s_mul_i32 s11, s11, s7
	s_add_i32 s23, s23, s22
	s_mul_hi_u32 s24, s3, s11
	s_mul_i32 s25, s3, s11
	s_mul_hi_u32 s11, s7, s11
	s_mul_hi_u32 s26, s7, s23
	s_mul_i32 s7, s7, s23
	s_mul_hi_u32 s22, s3, s23
	s_add_u32 s7, s11, s7
	s_addc_u32 s11, 0, s26
	s_add_u32 s7, s7, s25
	s_mul_i32 s23, s3, s23
	s_addc_u32 s7, s11, s24
	s_addc_u32 s11, s22, 0
	s_add_u32 s7, s7, s23
	s_addc_u32 s11, 0, s11
	v_add_co_u32 v1, s7, v1, s7
	s_delay_alu instid0(VALU_DEP_1) | instskip(SKIP_2) | instid1(VALU_DEP_1)
	s_cmp_lg_u32 s7, 0
	s_addc_u32 s3, s3, s11
	s_ashr_i32 s22, s13, 31
	v_readfirstlane_b32 s7, v1
	s_add_u32 s24, s12, s22
	s_mov_b32 s23, s22
	s_addc_u32 s25, s13, s22
	s_delay_alu instid0(SALU_CYCLE_1) | instskip(NEXT) | instid1(SALU_CYCLE_1)
	s_xor_b64 s[24:25], s[24:25], s[22:23]
	s_mul_i32 s13, s24, s3
	s_mul_hi_u32 s26, s24, s7
	s_mul_hi_u32 s11, s24, s3
	;; [unrolled: 1-line block ×3, first 2 shown]
	s_mul_i32 s7, s25, s7
	s_add_u32 s13, s26, s13
	s_addc_u32 s11, 0, s11
	s_mul_hi_u32 s27, s25, s3
	s_add_u32 s7, s13, s7
	s_mul_i32 s3, s25, s3
	s_addc_u32 s7, s11, s28
	s_addc_u32 s11, s27, 0
	s_add_u32 s7, s7, s3
	s_addc_u32 s11, 0, s11
	s_mul_i32 s27, s18, s7
	s_mul_hi_u32 s3, s18, s7
	s_mul_i32 s26, s18, s11
	v_sub_co_u32 v1, s24, s24, s27
	s_mul_i32 s13, s19, s7
	s_add_i32 s3, s3, s26
	s_delay_alu instid0(SALU_CYCLE_1) | instskip(NEXT) | instid1(VALU_DEP_1)
	s_add_i32 s3, s3, s13
	v_sub_co_u32 v2, s26, v1, s18
	s_sub_i32 s13, s25, s3
	s_cmp_lg_u32 s24, 0
	s_subb_u32 s13, s13, s19
	s_cmp_lg_u32 s26, 0
	v_cmp_le_u32_e32 vcc_lo, s18, v2
	s_subb_u32 s13, s13, 0
	s_delay_alu instid0(SALU_CYCLE_1)
	s_cmp_ge_u32 s13, s19
	v_cndmask_b32_e64 v2, 0, -1, vcc_lo
	s_cselect_b32 s26, -1, 0
	s_cmp_eq_u32 s13, s19
	s_cselect_b32 vcc_lo, -1, 0
	s_add_u32 s13, s7, 1
	v_cndmask_b32_e32 v2, s26, v2, vcc_lo
	s_addc_u32 s26, s11, 0
	s_add_u32 s27, s7, 2
	s_addc_u32 s28, s11, 0
	s_cmp_lg_u32 s24, 0
	v_cmp_le_u32_e32 vcc_lo, s18, v1
	s_subb_u32 s3, s25, s3
	v_mov_b32_e32 v16, s27
	s_cmp_ge_u32 s3, s19
	v_cndmask_b32_e64 v1, 0, -1, vcc_lo
	s_cselect_b32 s18, -1, 0
	s_cmp_eq_u32 s3, s19
	v_cmp_ne_u32_e32 vcc_lo, 0, v2
	v_mov_b32_e32 v2, s28
	s_cselect_b32 s3, -1, 0
	s_xor_b64 s[16:17], s[22:23], s[16:17]
	v_cndmask_b32_e64 v1, s18, v1, s3
	v_cndmask_b32_e32 v16, s13, v16, vcc_lo
	v_cndmask_b32_e32 v2, s26, v2, vcc_lo
	s_delay_alu instid0(VALU_DEP_3) | instskip(NEXT) | instid1(VALU_DEP_2)
	v_cmp_ne_u32_e32 vcc_lo, 0, v1
	v_cndmask_b32_e32 v1, s11, v2, vcc_lo
	s_delay_alu instid0(VALU_DEP_4) | instskip(NEXT) | instid1(VALU_DEP_2)
	v_cndmask_b32_e32 v2, s7, v16, vcc_lo
	v_xor_b32_e32 v16, s17, v1
	s_delay_alu instid0(VALU_DEP_2) | instskip(NEXT) | instid1(VALU_DEP_1)
	v_xor_b32_e32 v2, s16, v2
	v_sub_co_u32 v1, vcc_lo, v2, s16
	s_delay_alu instid0(VALU_DEP_3)
	v_subrev_co_ci_u32_e32 v2, vcc_lo, s17, v16, vcc_lo
	s_cbranch_execnz .LBB73_33
.LBB73_32:
	v_cvt_f32_u32_e32 v1, s10
	s_sub_i32 s7, 0, s10
	s_delay_alu instid0(VALU_DEP_1) | instskip(SKIP_2) | instid1(VALU_DEP_1)
	v_rcp_iflag_f32_e32 v1, v1
	s_waitcnt_depctr 0xfff
	v_mul_f32_e32 v1, 0x4f7ffffe, v1
	v_cvt_u32_f32_e32 v1, v1
	s_delay_alu instid0(VALU_DEP_1) | instskip(NEXT) | instid1(VALU_DEP_1)
	v_readfirstlane_b32 s3, v1
	s_mul_i32 s7, s7, s3
	s_delay_alu instid0(SALU_CYCLE_1) | instskip(NEXT) | instid1(SALU_CYCLE_1)
	s_mul_hi_u32 s7, s3, s7
	s_add_i32 s3, s3, s7
	s_delay_alu instid0(SALU_CYCLE_1) | instskip(NEXT) | instid1(SALU_CYCLE_1)
	s_mul_hi_u32 s3, s12, s3
	s_mul_i32 s7, s3, s10
	s_add_i32 s11, s3, 1
	s_sub_i32 s7, s12, s7
	s_delay_alu instid0(SALU_CYCLE_1)
	s_sub_i32 s12, s7, s10
	s_cmp_ge_u32 s7, s10
	s_cselect_b32 s3, s11, s3
	s_cselect_b32 s7, s12, s7
	s_add_i32 s12, s3, 1
	s_cmp_ge_u32 s7, s10
	s_mov_b32 s11, 0
	s_cselect_b32 s10, s12, s3
	s_delay_alu instid0(SALU_CYCLE_1)
	v_dual_mov_b32 v1, s10 :: v_dual_mov_b32 v2, s11
.LBB73_33:
	s_delay_alu instid0(VALU_DEP_1) | instskip(NEXT) | instid1(VALU_DEP_2)
	v_add_co_u32 v1, vcc_lo, v1, v15
	v_add_co_ci_u32_e32 v2, vcc_lo, 0, v2, vcc_lo
	s_branch .LBB73_36
.LBB73_34:
                                        ; implicit-def: $vgpr1_vgpr2
	s_cbranch_execz .LBB73_36
; %bb.35:
	v_mul_lo_u32 v1, v15, s4
	s_delay_alu instid0(VALU_DEP_1) | instskip(SKIP_1) | instid1(VALU_DEP_2)
	v_ashrrev_i32_e32 v2, 31, v1
	v_add_co_u32 v1, vcc_lo, v1, s20
	v_add_co_ci_u32_e32 v2, vcc_lo, 0, v2, vcc_lo
.LBB73_36:
	s_mov_b32 s3, exec_lo
.LBB73_37:
	s_or_b32 exec_lo, exec_lo, s14
	s_delay_alu instid0(SALU_CYCLE_1)
	s_and_b32 vcc_lo, exec_lo, s15
	s_cbranch_vccz .LBB73_41
.LBB73_38:
	v_mov_b32_dpp v1, v13 quad_perm:[1,0,3,2] row_mask:0xf bank_mask:0xf
	s_delay_alu instid0(VALU_DEP_1) | instskip(SKIP_1) | instid1(VALU_DEP_1)
	v_cmp_gt_f32_e32 vcc_lo, v13, v1
	v_cndmask_b32_e32 v1, v1, v13, vcc_lo
	v_mov_b32_dpp v2, v1 quad_perm:[2,3,0,1] row_mask:0xf bank_mask:0xf
	s_delay_alu instid0(VALU_DEP_1) | instskip(SKIP_1) | instid1(VALU_DEP_1)
	v_cmp_gt_f32_e32 vcc_lo, v1, v2
	v_cndmask_b32_e32 v1, v2, v1, vcc_lo
	v_mov_b32_dpp v2, v1 row_xmask:7 row_mask:0xf bank_mask:0xf
	s_delay_alu instid0(VALU_DEP_1) | instskip(SKIP_1) | instid1(VALU_DEP_1)
	v_cmp_gt_f32_e32 vcc_lo, v1, v2
	v_cndmask_b32_e32 v1, v2, v1, vcc_lo
	v_mov_b32_dpp v2, v1 row_xmask:15 row_mask:0xf bank_mask:0xf
	s_delay_alu instid0(VALU_DEP_1)
	v_cmp_gt_f32_e32 vcc_lo, v1, v2
	s_and_saveexec_b32 s3, s2
	s_cbranch_execz .LBB73_40
; %bb.39:
	v_cndmask_b32_e32 v1, v2, v1, vcc_lo
	v_lshrrev_b32_e32 v2, 3, v0
	s_mov_b32 s2, 0x76543210
	s_delay_alu instid0(VALU_DEP_1) | instskip(NEXT) | instid1(VALU_DEP_3)
	v_and_b32_e32 v2, 0x7c, v2
	v_permlanex16_b32 v13, v1, s2, 0xfedcba98 op_sel:[1,1]
	s_delay_alu instid0(VALU_DEP_1)
	v_cmp_gt_f32_e32 vcc_lo, v1, v13
	v_cndmask_b32_e32 v1, v13, v1, vcc_lo
	ds_store_b32 v2, v1
.LBB73_40:
	s_or_b32 exec_lo, exec_lo, s3
	s_waitcnt lgkmcnt(0)
	s_barrier
	buffer_gl0_inv
	ds_load_b32 v1, v8
	v_cmp_eq_u32_e64 s3, 0, v0
	s_waitcnt lgkmcnt(0)
	v_mov_b32_dpp v2, v1 quad_perm:[1,0,3,2] row_mask:0xf bank_mask:0xf
	s_delay_alu instid0(VALU_DEP_1) | instskip(SKIP_1) | instid1(VALU_DEP_1)
	v_cmp_gt_f32_e32 vcc_lo, v1, v2
	v_cndmask_b32_e32 v1, v2, v1, vcc_lo
	v_mov_b32_dpp v2, v1 quad_perm:[2,3,0,1] row_mask:0xf bank_mask:0xf
	s_delay_alu instid0(VALU_DEP_1) | instskip(SKIP_1) | instid1(VALU_DEP_1)
	v_cmp_gt_f32_e32 vcc_lo, v1, v2
	v_cndmask_b32_e32 v1, v2, v1, vcc_lo
	v_mov_b32_dpp v2, v1 row_xmask:7 row_mask:0xf bank_mask:0xf
	s_delay_alu instid0(VALU_DEP_1) | instskip(SKIP_1) | instid1(VALU_DEP_1)
	v_cmp_gt_f32_e32 vcc_lo, v1, v2
	v_cndmask_b32_e32 v1, v2, v1, vcc_lo
	v_dual_mul_f32 v14, 0x3b124925, v1 :: v_dual_mov_b32 v1, s20
	v_mov_b32_e32 v2, s21
.LBB73_41:
	s_and_saveexec_b32 s2, s3
	s_cbranch_execz .LBB73_43
; %bb.42:
	s_delay_alu instid0(VALU_DEP_1) | instskip(NEXT) | instid1(VALU_DEP_1)
	v_lshlrev_b64 v[0:1], 2, v[1:2]
	v_add_co_u32 v0, vcc_lo, s8, v0
	s_delay_alu instid0(VALU_DEP_2)
	v_add_co_ci_u32_e32 v1, vcc_lo, s9, v1, vcc_lo
	global_store_b32 v[0:1], v14, off
.LBB73_43:
	s_or_b32 exec_lo, exec_lo, s2
	;;#ASMSTART
	v_rcp_f32 v0, v14
	;;#ASMEND
	v_dual_mul_f32 v1, v11, v0 :: v_dual_mov_b32 v8, 0xc3e00000
	v_dual_mul_f32 v2, v12, v0 :: v_dual_mov_b32 v11, 0x43e00000
	v_mul_f32_e32 v9, v9, v0
	v_mul_f32_e32 v10, v10, v0
	;;#ASMSTART
	v_med3_f32 v1, v1, v8, v11
v_med3_f32 v2, v2, v8, v11
v_cvt_pk_fp8_f32 v12, v1, v2
	;;#ASMEND
	;;#ASMSTART
	v_med3_f32 v9, v9, v8, v11
v_med3_f32 v10, v10, v8, v11
v_cvt_pk_fp8_f32 v1, v9, v10
	;;#ASMEND
	v_perm_b32 v2, v1, v12, 0x5040100
	v_and_b32_e32 v1, 0xffffff00, v1
	s_load_b64 s[0:1], s[0:1], 0x0
	v_mul_f32_e32 v6, v6, v0
	s_add_i32 s2, s5, 3
	v_lshrrev_b32_e32 v9, 16, v2
	v_mul_f32_e32 v7, v7, v0
	s_ashr_i32 s3, s2, 31
	v_mul_f32_e32 v3, v3, v0
	s_ashr_i32 s4, s6, 31
	v_and_b32_e32 v9, 0xff, v9
	s_lshr_b32 s3, s3, 30
	s_mul_hi_u32 s5, s6, s20
	s_add_i32 s2, s2, s3
	s_mul_i32 s4, s4, s20
	v_or_b32_e32 v1, v9, v1
	v_mul_f32_e32 v0, v4, v0
	;;#ASMSTART
	v_med3_f32 v7, v7, v8, v11
v_med3_f32 v6, v6, v8, v11
v_cvt_pk_fp8_f32 v4, v7, v6
	;;#ASMEND
	s_mul_i32 s3, s6, s20
	s_and_b32 s2, s2, -4
	v_lshlrev_b32_e32 v1, 16, v1
	;;#ASMSTART
	v_med3_f32 v3, v3, v8, v11
v_med3_f32 v0, v0, v8, v11
v_cvt_pk_fp8_f32 v6, v3, v0
	;;#ASMEND
	v_lshlrev_b32_e32 v3, 16, v6
	s_add_i32 s5, s5, s4
	s_waitcnt lgkmcnt(0)
	s_add_u32 s0, s0, s3
	v_and_or_b32 v0, 0xffff, v2, v1
	s_addc_u32 s1, s1, s5
	v_and_or_b32 v1, 0xffff, v4, v3
	s_and_b32 s1, s1, 0xffff
	s_mov_b32 s3, -1
	buffer_store_b64 v[0:1], v5, s[0:3], 0 offen
	;;#ASMSTART
	s_nop 0
	;;#ASMEND
.LBB73_44:
	s_nop 0
	s_sendmsg sendmsg(MSG_DEALLOC_VGPRS)
	s_endpgm
.LBB73_45:
                                        ; implicit-def: $vgpr1_vgpr2
	s_branch .LBB73_32
	.section	.rodata,"a",@progbits
	.p2align	6, 0x0
	.amdhsa_kernel _ZN5aiter24add_rmsnorm_quant_kernelIDF16_DB8_Li256ELi8ELb0ELb1ELb1ELi1EEEvPT0_PT_PfS5_S5_S5_diiiiiiib
		.amdhsa_group_segment_fixed_size 64
		.amdhsa_private_segment_fixed_size 0
		.amdhsa_kernarg_size 88
		.amdhsa_user_sgpr_count 15
		.amdhsa_user_sgpr_dispatch_ptr 0
		.amdhsa_user_sgpr_queue_ptr 0
		.amdhsa_user_sgpr_kernarg_segment_ptr 1
		.amdhsa_user_sgpr_dispatch_id 0
		.amdhsa_user_sgpr_private_segment_size 0
		.amdhsa_wavefront_size32 1
		.amdhsa_uses_dynamic_stack 0
		.amdhsa_enable_private_segment 0
		.amdhsa_system_sgpr_workgroup_id_x 1
		.amdhsa_system_sgpr_workgroup_id_y 0
		.amdhsa_system_sgpr_workgroup_id_z 0
		.amdhsa_system_sgpr_workgroup_info 0
		.amdhsa_system_vgpr_workitem_id 0
		.amdhsa_next_free_vgpr 23
		.amdhsa_next_free_sgpr 29
		.amdhsa_reserve_vcc 1
		.amdhsa_float_round_mode_32 0
		.amdhsa_float_round_mode_16_64 0
		.amdhsa_float_denorm_mode_32 3
		.amdhsa_float_denorm_mode_16_64 3
		.amdhsa_dx10_clamp 1
		.amdhsa_ieee_mode 1
		.amdhsa_fp16_overflow 0
		.amdhsa_workgroup_processor_mode 1
		.amdhsa_memory_ordered 1
		.amdhsa_forward_progress 0
		.amdhsa_shared_vgpr_count 0
		.amdhsa_exception_fp_ieee_invalid_op 0
		.amdhsa_exception_fp_denorm_src 0
		.amdhsa_exception_fp_ieee_div_zero 0
		.amdhsa_exception_fp_ieee_overflow 0
		.amdhsa_exception_fp_ieee_underflow 0
		.amdhsa_exception_fp_ieee_inexact 0
		.amdhsa_exception_int_div_zero 0
	.end_amdhsa_kernel
	.section	.text._ZN5aiter24add_rmsnorm_quant_kernelIDF16_DB8_Li256ELi8ELb0ELb1ELb1ELi1EEEvPT0_PT_PfS5_S5_S5_diiiiiiib,"axG",@progbits,_ZN5aiter24add_rmsnorm_quant_kernelIDF16_DB8_Li256ELi8ELb0ELb1ELb1ELi1EEEvPT0_PT_PfS5_S5_S5_diiiiiiib,comdat
.Lfunc_end73:
	.size	_ZN5aiter24add_rmsnorm_quant_kernelIDF16_DB8_Li256ELi8ELb0ELb1ELb1ELi1EEEvPT0_PT_PfS5_S5_S5_diiiiiiib, .Lfunc_end73-_ZN5aiter24add_rmsnorm_quant_kernelIDF16_DB8_Li256ELi8ELb0ELb1ELb1ELi1EEEvPT0_PT_PfS5_S5_S5_diiiiiiib
                                        ; -- End function
	.section	.AMDGPU.csdata,"",@progbits
; Kernel info:
; codeLenInByte = 3412
; NumSgprs: 31
; NumVgprs: 23
; ScratchSize: 0
; MemoryBound: 0
; FloatMode: 240
; IeeeMode: 1
; LDSByteSize: 64 bytes/workgroup (compile time only)
; SGPRBlocks: 3
; VGPRBlocks: 2
; NumSGPRsForWavesPerEU: 31
; NumVGPRsForWavesPerEU: 23
; Occupancy: 16
; WaveLimiterHint : 0
; COMPUTE_PGM_RSRC2:SCRATCH_EN: 0
; COMPUTE_PGM_RSRC2:USER_SGPR: 15
; COMPUTE_PGM_RSRC2:TRAP_HANDLER: 0
; COMPUTE_PGM_RSRC2:TGID_X_EN: 1
; COMPUTE_PGM_RSRC2:TGID_Y_EN: 0
; COMPUTE_PGM_RSRC2:TGID_Z_EN: 0
; COMPUTE_PGM_RSRC2:TIDIG_COMP_CNT: 0
	.section	.text._ZN5aiter24add_rmsnorm_quant_kernelItDB8_Li256ELi8ELb0ELb1ELb1ELi1EEEvPT0_PT_PfS5_S5_S5_diiiiiiib,"axG",@progbits,_ZN5aiter24add_rmsnorm_quant_kernelItDB8_Li256ELi8ELb0ELb1ELb1ELi1EEEvPT0_PT_PfS5_S5_S5_diiiiiiib,comdat
	.protected	_ZN5aiter24add_rmsnorm_quant_kernelItDB8_Li256ELi8ELb0ELb1ELb1ELi1EEEvPT0_PT_PfS5_S5_S5_diiiiiiib ; -- Begin function _ZN5aiter24add_rmsnorm_quant_kernelItDB8_Li256ELi8ELb0ELb1ELb1ELi1EEEvPT0_PT_PfS5_S5_S5_diiiiiiib
	.globl	_ZN5aiter24add_rmsnorm_quant_kernelItDB8_Li256ELi8ELb0ELb1ELb1ELi1EEEvPT0_PT_PfS5_S5_S5_diiiiiiib
	.p2align	8
	.type	_ZN5aiter24add_rmsnorm_quant_kernelItDB8_Li256ELi8ELb0ELb1ELb1ELi1EEEvPT0_PT_PfS5_S5_S5_diiiiiiib,@function
_ZN5aiter24add_rmsnorm_quant_kernelItDB8_Li256ELi8ELb0ELb1ELb1ELi1EEEvPT0_PT_PfS5_S5_S5_diiiiiiib: ; @_ZN5aiter24add_rmsnorm_quant_kernelItDB8_Li256ELi8ELb0ELb1ELb1ELi1EEEvPT0_PT_PfS5_S5_S5_diiiiiiib
; %bb.0:
	s_load_b128 s[4:7], s[0:1], 0x38
	s_mov_b32 s20, s15
	s_mov_b32 s21, 0
	s_waitcnt lgkmcnt(0)
	s_ashr_i32 s3, s4, 31
	s_mov_b32 s2, s4
	s_delay_alu instid0(SALU_CYCLE_1) | instskip(NEXT) | instid1(VALU_DEP_1)
	v_cmp_ge_i64_e64 s2, s[20:21], s[2:3]
	s_and_b32 vcc_lo, exec_lo, s2
	s_cbranch_vccnz .LBB74_44
; %bb.1:
	s_clause 0x1
	s_load_b128 s[8:11], s[0:1], 0x10
	s_load_b128 s[16:19], s[0:1], 0x28
	s_ashr_i32 s2, s6, 31
	s_mul_hi_u32 s3, s6, s20
	s_mul_i32 s7, s2, s20
	s_mul_i32 s2, s6, s20
	s_add_i32 s3, s3, s7
	v_lshlrev_b32_e32 v1, 4, v0
	s_lshl_b64 s[2:3], s[2:3], 1
	s_mov_b32 s15, -1
	v_and_b32_e32 v15, 31, v0
	s_mov_b32 s27, s15
	s_waitcnt lgkmcnt(0)
	s_add_u32 s12, s10, s2
	s_addc_u32 s2, s11, s3
	s_add_i32 s3, s5, 1
	s_and_b32 s13, s2, 0xffff
	s_lshr_b32 s6, s3, 31
	s_mov_b32 s24, s16
	s_add_i32 s3, s3, s6
	s_and_b32 s25, s17, 0xffff
	s_lshl_b32 s3, s3, 1
	v_cmp_eq_u32_e64 s2, 31, v15
	s_and_b32 s14, s3, -4
	buffer_load_b128 v[10:13], v1, s[12:15], 0 offen glc slc
	s_mov_b32 s26, s14
	s_waitcnt vmcnt(0)
	v_lshrrev_b32_e32 v5, 16, v10
	v_and_b32_e32 v6, 0xffff, v10
	v_lshrrev_b32_e32 v10, 16, v11
	v_lshrrev_b32_e32 v14, 16, v13
	s_delay_alu instid0(VALU_DEP_4) | instskip(NEXT) | instid1(VALU_DEP_4)
	v_cvt_f32_u32_e32 v7, v5
	v_cvt_f32_u32_e32 v8, v6
	s_delay_alu instid0(VALU_DEP_4) | instskip(NEXT) | instid1(VALU_DEP_4)
	v_cvt_f32_u32_e32 v10, v10
	v_cvt_f32_u32_e32 v14, v14
	s_delay_alu instid0(VALU_DEP_4) | instskip(SKIP_2) | instid1(VALU_DEP_1)
	v_mul_f32_e32 v6, v7, v7
	buffer_load_b128 v[1:4], v1, s[24:27], 0 offen
	v_dual_fmac_f32 v6, v8, v8 :: v_dual_and_b32 v5, 0xffff, v11
	v_cvt_f32_u32_e32 v9, v5
	v_and_b32_e32 v5, 0xffff, v12
	v_lshrrev_b32_e32 v12, 16, v12
	s_delay_alu instid0(VALU_DEP_3) | instskip(NEXT) | instid1(VALU_DEP_3)
	v_fmac_f32_e32 v6, v9, v9
	v_cvt_f32_u32_e32 v11, v5
	v_and_b32_e32 v5, 0xffff, v13
	s_delay_alu instid0(VALU_DEP_4) | instskip(NEXT) | instid1(VALU_DEP_4)
	v_cvt_f32_u32_e32 v12, v12
	v_fmac_f32_e32 v6, v10, v10
	s_delay_alu instid0(VALU_DEP_3) | instskip(NEXT) | instid1(VALU_DEP_2)
	v_cvt_f32_u32_e32 v13, v5
	v_fmac_f32_e32 v6, v11, v11
	s_delay_alu instid0(VALU_DEP_1) | instskip(NEXT) | instid1(VALU_DEP_1)
	v_fmac_f32_e32 v6, v12, v12
	v_fmac_f32_e32 v6, v13, v13
	s_delay_alu instid0(VALU_DEP_1) | instskip(NEXT) | instid1(VALU_DEP_1)
	v_fmac_f32_e32 v6, v14, v14
	v_mov_b32_dpp v5, v6 quad_perm:[1,0,3,2] row_mask:0xf bank_mask:0xf
	s_delay_alu instid0(VALU_DEP_1) | instskip(NEXT) | instid1(VALU_DEP_1)
	v_add_f32_e32 v5, v6, v5
	v_mov_b32_dpp v6, v5 quad_perm:[2,3,0,1] row_mask:0xf bank_mask:0xf
	s_delay_alu instid0(VALU_DEP_1) | instskip(NEXT) | instid1(VALU_DEP_1)
	v_add_f32_e32 v5, v5, v6
	v_mov_b32_dpp v6, v5 row_xmask:7 row_mask:0xf bank_mask:0xf
	s_delay_alu instid0(VALU_DEP_1) | instskip(NEXT) | instid1(VALU_DEP_1)
	v_add_f32_e32 v5, v5, v6
	v_mov_b32_dpp v6, v5 row_xmask:15 row_mask:0xf bank_mask:0xf
	s_and_saveexec_b32 s3, s2
	s_cbranch_execz .LBB74_3
; %bb.2:
	s_delay_alu instid0(VALU_DEP_1) | instskip(SKIP_2) | instid1(VALU_DEP_2)
	v_add_f32_e32 v5, v5, v6
	s_mov_b32 s6, 0x76543210
	v_lshrrev_b32_e32 v6, 3, v0
	v_permlanex16_b32 v15, v5, s6, 0xfedcba98 op_sel:[1,1]
	s_delay_alu instid0(VALU_DEP_1)
	v_dual_add_f32 v5, v5, v15 :: v_dual_and_b32 v6, 0x7c, v6
	ds_store_b32 v6, v5 offset:32
.LBB74_3:
	s_or_b32 exec_lo, exec_lo, s3
	v_and_b32_e32 v5, 7, v0
	s_waitcnt vmcnt(0) lgkmcnt(0)
	s_barrier
	buffer_gl0_inv
	v_cvt_f32_i32_e32 v16, s5
	v_lshlrev_b32_e32 v6, 2, v5
	ds_load_b32 v5, v6 offset:32
	s_clause 0x1
	s_load_b64 s[6:7], s[0:1], 0x4c
	s_load_b32 s10, s[0:1], 0x54
	s_waitcnt lgkmcnt(0)
	s_cmp_lg_u32 s7, 0
	v_mov_b32_dpp v15, v5 quad_perm:[1,0,3,2] row_mask:0xf bank_mask:0xf
	s_delay_alu instid0(VALU_DEP_1) | instskip(NEXT) | instid1(VALU_DEP_1)
	v_add_f32_e32 v5, v5, v15
	v_mov_b32_dpp v15, v5 quad_perm:[2,3,0,1] row_mask:0xf bank_mask:0xf
	s_delay_alu instid0(VALU_DEP_1) | instskip(NEXT) | instid1(VALU_DEP_1)
	v_add_f32_e32 v5, v5, v15
	v_mov_b32_dpp v15, v5 row_xmask:7 row_mask:0xf bank_mask:0xf
	s_delay_alu instid0(VALU_DEP_1) | instskip(NEXT) | instid1(VALU_DEP_1)
	v_add_f32_e32 v5, v5, v15
	v_div_scale_f32 v15, null, v16, v16, v5
	v_div_scale_f32 v19, vcc_lo, v5, v16, v5
	s_delay_alu instid0(VALU_DEP_2) | instskip(SKIP_2) | instid1(VALU_DEP_1)
	v_rcp_f32_e32 v17, v15
	s_waitcnt_depctr 0xfff
	v_fma_f32 v18, -v15, v17, 1.0
	v_fmac_f32_e32 v17, v18, v17
	s_delay_alu instid0(VALU_DEP_1) | instskip(NEXT) | instid1(VALU_DEP_1)
	v_mul_f32_e32 v18, v19, v17
	v_fma_f32 v20, -v15, v18, v19
	s_delay_alu instid0(VALU_DEP_1) | instskip(SKIP_1) | instid1(VALU_DEP_2)
	v_fmac_f32_e32 v18, v20, v17
	v_mov_b32_e32 v20, 0x2edbe6ff
	v_fma_f32 v15, -v15, v18, v19
	s_delay_alu instid0(VALU_DEP_1)
	v_div_fmas_f32 v15, v15, v17, v18
	v_and_b32_e32 v18, 0xffff, v3
	v_and_b32_e32 v17, 0xffff, v2
	v_lshrrev_b32_e32 v2, 16, v2
	v_lshrrev_b32_e32 v3, 16, v3
	v_div_fixup_f32 v5, v15, v16, v5
	v_cvt_f32_u32_e32 v18, v18
	s_delay_alu instid0(VALU_DEP_4) | instskip(NEXT) | instid1(VALU_DEP_4)
	v_cvt_f32_u32_e32 v2, v2
	v_cvt_f32_u32_e32 v3, v3
	s_delay_alu instid0(VALU_DEP_4) | instskip(NEXT) | instid1(VALU_DEP_1)
	v_cvt_f64_f32_e32 v[15:16], v5
	v_add_f64 v[15:16], v[15:16], s[18:19]
	s_delay_alu instid0(VALU_DEP_1) | instskip(SKIP_2) | instid1(VALU_DEP_2)
	v_cvt_f32_f64_e32 v5, v[15:16]
	v_and_b32_e32 v16, 0xffff, v1
	v_lshrrev_b32_e32 v1, 16, v1
	v_cvt_f32_u32_e32 v16, v16
	s_delay_alu instid0(VALU_DEP_2) | instskip(SKIP_2) | instid1(VALU_DEP_2)
	v_cvt_f32_u32_e32 v1, v1
	v_mul_f32_e32 v15, 0x4b800000, v5
	v_cmp_gt_f32_e32 vcc_lo, 0x800000, v5
	v_cndmask_b32_e32 v15, v5, v15, vcc_lo
	s_delay_alu instid0(VALU_DEP_1) | instskip(SKIP_2) | instid1(VALU_DEP_1)
	v_rsq_f32_e32 v15, v15
	s_waitcnt_depctr 0xfff
	v_mul_f32_e32 v21, 0x45800000, v15
	v_cndmask_b32_e32 v15, v15, v21, vcc_lo
	s_delay_alu instid0(VALU_DEP_1) | instskip(SKIP_2) | instid1(VALU_DEP_2)
	v_mul_f32_e32 v8, v15, v8
	v_mul_f32_e32 v21, v15, v11
	v_cvt_f32_u32_e32 v17, v17
	v_dual_mul_f32 v11, v8, v16 :: v_dual_mul_f32 v8, v21, v18
	v_dual_mul_f32 v14, v15, v14 :: v_dual_and_b32 v19, 0xffff, v4
	v_lshrrev_b32_e32 v4, 16, v4
	v_mul_f32_e32 v22, v15, v12
	v_dual_mul_f32 v10, v15, v10 :: v_dual_lshlrev_b32 v5, 3, v0
	s_delay_alu instid0(VALU_DEP_4) | instskip(NEXT) | instid1(VALU_DEP_4)
	v_cvt_f32_u32_e32 v19, v19
	v_cvt_f32_u32_e32 v4, v4
	s_delay_alu instid0(VALU_DEP_3) | instskip(NEXT) | instid1(VALU_DEP_2)
	v_dual_mul_f32 v7, v15, v7 :: v_dual_mul_f32 v10, v10, v2
	v_mul_f32_e32 v4, v14, v4
	s_delay_alu instid0(VALU_DEP_2) | instskip(SKIP_4) | instid1(VALU_DEP_4)
	v_mul_f32_e32 v12, v7, v1
	v_mul_f32_e32 v9, v15, v9
	;; [unrolled: 1-line block ×4, first 2 shown]
	v_and_b32_e32 v1, 0x7fffffff, v11
	v_dual_mul_f32 v9, v9, v17 :: v_dual_and_b32 v2, 0x7fffffff, v12
	v_and_b32_e32 v18, 0x7fffffff, v4
	v_and_b32_e32 v16, 0x7fffffff, v7
	v_mul_f32_e32 v3, v13, v19
	;;#ASMSTART
	v_max3_f32 v1, v20, v1, v2

	;;#ASMEND
	v_and_b32_e32 v13, 0x7fffffff, v9
	v_and_b32_e32 v14, 0x7fffffff, v10
	;;#ASMSTART
	v_max3_f32 v1, v1, v13, v14

	;;#ASMEND
	v_and_b32_e32 v15, 0x7fffffff, v8
	v_and_b32_e32 v17, 0x7fffffff, v3
	;;#ASMSTART
	v_max3_f32 v1, v1, v15, v16

	;;#ASMEND
	;;#ASMSTART
	v_max3_f32 v13, v1, v17, v18

	;;#ASMEND
	s_cbranch_scc0 .LBB74_10
; %bb.4:
	s_ashr_i32 s11, s7, 31
	s_delay_alu instid0(SALU_CYCLE_1) | instskip(NEXT) | instid1(SALU_CYCLE_1)
	s_lshr_b32 s3, s11, 29
	s_add_i32 s3, s7, s3
	s_delay_alu instid0(SALU_CYCLE_1) | instskip(NEXT) | instid1(SALU_CYCLE_1)
	s_ashr_i32 s3, s3, 3
	s_cmp_lt_i32 s3, 8
	s_cbranch_scc1 .LBB74_11
; %bb.5:
	s_cmp_lt_i32 s3, 16
	s_cbranch_scc1 .LBB74_12
; %bb.6:
	;; [unrolled: 3-line block ×3, first 2 shown]
	v_mov_b32_e32 v1, v13
	s_cmp_eq_u32 s3, 32
	s_cbranch_scc0 .LBB74_9
; %bb.8:
	s_delay_alu instid0(VALU_DEP_1) | instskip(SKIP_1) | instid1(VALU_DEP_1)
	v_mov_b32_dpp v1, v13 quad_perm:[1,0,3,2] row_mask:0xf bank_mask:0xf
	s_mov_b32 s12, 0x76543210
	v_cmp_gt_f32_e32 vcc_lo, v13, v1
	v_cndmask_b32_e32 v1, v1, v13, vcc_lo
	s_delay_alu instid0(VALU_DEP_1) | instskip(NEXT) | instid1(VALU_DEP_1)
	v_mov_b32_dpp v2, v1 quad_perm:[2,3,0,1] row_mask:0xf bank_mask:0xf
	v_cmp_gt_f32_e32 vcc_lo, v1, v2
	v_cndmask_b32_e32 v1, v2, v1, vcc_lo
	s_delay_alu instid0(VALU_DEP_1) | instskip(NEXT) | instid1(VALU_DEP_1)
	v_mov_b32_dpp v2, v1 row_xmask:7 row_mask:0xf bank_mask:0xf
	v_cmp_gt_f32_e32 vcc_lo, v1, v2
	v_cndmask_b32_e32 v1, v2, v1, vcc_lo
	s_delay_alu instid0(VALU_DEP_1) | instskip(NEXT) | instid1(VALU_DEP_1)
	v_mov_b32_dpp v2, v1 row_xmask:15 row_mask:0xf bank_mask:0xf
	v_cmp_gt_f32_e32 vcc_lo, v1, v2
	v_cndmask_b32_e32 v1, v2, v1, vcc_lo
	s_delay_alu instid0(VALU_DEP_1) | instskip(NEXT) | instid1(VALU_DEP_1)
	v_permlanex16_b32 v2, v1, s12, 0xfedcba98 op_sel:[1,1]
	v_cmp_gt_f32_e32 vcc_lo, v1, v2
	v_cndmask_b32_e32 v1, v2, v1, vcc_lo
.LBB74_9:
	s_mov_b32 s12, 0
	s_branch .LBB74_14
.LBB74_10:
	s_mov_b32 s3, 0
                                        ; implicit-def: $vgpr14
                                        ; implicit-def: $vgpr1_vgpr2
	s_and_b32 vcc_lo, exec_lo, s15
	s_cbranch_vccnz .LBB74_38
	s_branch .LBB74_41
.LBB74_11:
                                        ; implicit-def: $vgpr1
	s_branch .LBB74_21
.LBB74_12:
                                        ; implicit-def: $vgpr1
	s_branch .LBB74_18
.LBB74_13:
	s_mov_b32 s12, -1
                                        ; implicit-def: $vgpr1
.LBB74_14:
	s_delay_alu instid0(SALU_CYCLE_1)
	s_and_not1_b32 vcc_lo, exec_lo, s12
	s_cbranch_vccnz .LBB74_17
; %bb.15:
	v_mov_b32_e32 v1, v13
	s_cmp_eq_u32 s3, 16
	s_cbranch_scc0 .LBB74_17
; %bb.16:
	s_delay_alu instid0(VALU_DEP_1) | instskip(NEXT) | instid1(VALU_DEP_1)
	v_mov_b32_dpp v1, v13 quad_perm:[1,0,3,2] row_mask:0xf bank_mask:0xf
	v_cmp_gt_f32_e32 vcc_lo, v13, v1
	v_cndmask_b32_e32 v1, v1, v13, vcc_lo
	s_delay_alu instid0(VALU_DEP_1) | instskip(NEXT) | instid1(VALU_DEP_1)
	v_mov_b32_dpp v2, v1 quad_perm:[2,3,0,1] row_mask:0xf bank_mask:0xf
	v_cmp_gt_f32_e32 vcc_lo, v1, v2
	v_cndmask_b32_e32 v1, v2, v1, vcc_lo
	s_delay_alu instid0(VALU_DEP_1) | instskip(NEXT) | instid1(VALU_DEP_1)
	v_mov_b32_dpp v2, v1 row_half_mirror row_mask:0xf bank_mask:0xf
	v_cmp_gt_f32_e32 vcc_lo, v1, v2
	v_cndmask_b32_e32 v1, v2, v1, vcc_lo
	s_delay_alu instid0(VALU_DEP_1) | instskip(NEXT) | instid1(VALU_DEP_1)
	v_mov_b32_dpp v2, v1 row_mirror row_mask:0xf bank_mask:0xf
	v_cmp_gt_f32_e32 vcc_lo, v1, v2
	v_cndmask_b32_e32 v1, v2, v1, vcc_lo
.LBB74_17:
	s_cbranch_execnz .LBB74_20
.LBB74_18:
	v_mov_b32_e32 v1, v13
	s_cmp_eq_u32 s3, 8
	s_cbranch_scc0 .LBB74_20
; %bb.19:
	s_delay_alu instid0(VALU_DEP_1) | instskip(NEXT) | instid1(VALU_DEP_1)
	v_mov_b32_dpp v1, v13 quad_perm:[1,0,3,2] row_mask:0xf bank_mask:0xf
	v_cmp_gt_f32_e32 vcc_lo, v13, v1
	v_cndmask_b32_e32 v1, v1, v13, vcc_lo
	s_delay_alu instid0(VALU_DEP_1) | instskip(NEXT) | instid1(VALU_DEP_1)
	v_mov_b32_dpp v2, v1 quad_perm:[2,3,0,1] row_mask:0xf bank_mask:0xf
	v_cmp_gt_f32_e32 vcc_lo, v1, v2
	v_cndmask_b32_e32 v1, v2, v1, vcc_lo
	s_delay_alu instid0(VALU_DEP_1) | instskip(NEXT) | instid1(VALU_DEP_1)
	v_mov_b32_dpp v2, v1 row_half_mirror row_mask:0xf bank_mask:0xf
	v_cmp_gt_f32_e32 vcc_lo, v1, v2
	v_cndmask_b32_e32 v1, v2, v1, vcc_lo
.LBB74_20:
	s_cbranch_execnz .LBB74_28
.LBB74_21:
	s_cmp_lt_i32 s3, 4
	s_cbranch_scc1 .LBB74_24
; %bb.22:
	v_mov_b32_e32 v1, v13
	s_cmp_eq_u32 s3, 4
	s_cbranch_scc0 .LBB74_25
; %bb.23:
	s_delay_alu instid0(VALU_DEP_1) | instskip(NEXT) | instid1(VALU_DEP_1)
	v_mov_b32_dpp v1, v13 quad_perm:[1,0,3,2] row_mask:0xf bank_mask:0xf
	v_cmp_gt_f32_e32 vcc_lo, v13, v1
	v_cndmask_b32_e32 v1, v1, v13, vcc_lo
	s_delay_alu instid0(VALU_DEP_1) | instskip(NEXT) | instid1(VALU_DEP_1)
	v_mov_b32_dpp v2, v1 quad_perm:[2,3,0,1] row_mask:0xf bank_mask:0xf
	v_cmp_gt_f32_e32 vcc_lo, v1, v2
	v_cndmask_b32_e32 v1, v2, v1, vcc_lo
	s_cbranch_execz .LBB74_26
	s_branch .LBB74_28
.LBB74_24:
                                        ; implicit-def: $vgpr1
	s_branch .LBB74_26
.LBB74_25:
	s_cbranch_execnz .LBB74_28
.LBB74_26:
	v_mov_b32_e32 v1, v13
	s_cmp_lg_u32 s3, 2
	s_cbranch_scc1 .LBB74_28
; %bb.27:
	s_delay_alu instid0(VALU_DEP_1) | instskip(NEXT) | instid1(VALU_DEP_1)
	v_mov_b32_dpp v1, v13 quad_perm:[1,0,3,2] row_mask:0xf bank_mask:0xf
	v_cmp_gt_f32_e32 vcc_lo, v13, v1
	v_cndmask_b32_e32 v1, v1, v13, vcc_lo
.LBB74_28:
	v_cvt_f32_u32_e32 v2, s3
	s_sub_i32 s12, 0, s3
	s_mov_b32 s15, 0
	s_delay_alu instid0(VALU_DEP_1) | instskip(SKIP_2) | instid1(VALU_DEP_1)
	v_rcp_iflag_f32_e32 v2, v2
	s_waitcnt_depctr 0xfff
	v_mul_f32_e32 v2, 0x4f7ffffe, v2
	v_cvt_u32_f32_e32 v2, v2
	s_delay_alu instid0(VALU_DEP_1) | instskip(NEXT) | instid1(VALU_DEP_1)
	v_mul_lo_u32 v14, s12, v2
	v_mul_hi_u32 v14, v2, v14
	s_delay_alu instid0(VALU_DEP_1) | instskip(NEXT) | instid1(VALU_DEP_1)
	v_add_nc_u32_e32 v2, v2, v14
	v_mul_hi_u32 v2, v0, v2
	s_delay_alu instid0(VALU_DEP_1) | instskip(NEXT) | instid1(VALU_DEP_1)
	v_mul_lo_u32 v14, v2, s3
	v_sub_nc_u32_e32 v14, v0, v14
	s_delay_alu instid0(VALU_DEP_1) | instskip(SKIP_1) | instid1(VALU_DEP_2)
	v_subrev_nc_u32_e32 v16, s3, v14
	v_cmp_le_u32_e32 vcc_lo, s3, v14
	v_dual_cndmask_b32 v14, v14, v16 :: v_dual_add_nc_u32 v15, 1, v2
	s_delay_alu instid0(VALU_DEP_1) | instskip(NEXT) | instid1(VALU_DEP_2)
	v_cndmask_b32_e32 v2, v2, v15, vcc_lo
	v_cmp_le_u32_e32 vcc_lo, s3, v14
	s_delay_alu instid0(VALU_DEP_2) | instskip(NEXT) | instid1(VALU_DEP_1)
	v_dual_mul_f32 v14, 0x3b124925, v1 :: v_dual_add_nc_u32 v15, 1, v2
	v_cndmask_b32_e32 v15, v2, v15, vcc_lo
	v_cmp_gt_u32_e32 vcc_lo, s5, v5
	s_delay_alu instid0(VALU_DEP_2) | instskip(NEXT) | instid1(VALU_DEP_1)
	v_mul_lo_u32 v2, v15, s3
	v_sub_nc_u32_e32 v2, v0, v2
	s_delay_alu instid0(VALU_DEP_1) | instskip(NEXT) | instid1(VALU_DEP_1)
	v_cmp_eq_u32_e64 s3, 0, v2
                                        ; implicit-def: $vgpr1_vgpr2
	s_and_b32 s12, s3, vcc_lo
	s_mov_b32 s3, 0
	s_and_saveexec_b32 s13, s12
	s_delay_alu instid0(SALU_CYCLE_1)
	s_xor_b32 s14, exec_lo, s13
	s_cbranch_execz .LBB74_37
; %bb.29:
	s_bitcmp0_b32 s10, 0
	s_mov_b32 s16, 0
	s_cbranch_scc0 .LBB74_34
; %bb.30:
	s_ashr_i32 s3, s5, 31
	s_mul_hi_u32 s10, s5, s20
	s_mul_i32 s3, s3, s20
	s_mul_i32 s12, s5, s20
	s_add_i32 s13, s10, s3
	s_mov_b32 s10, s7
	s_delay_alu instid0(SALU_CYCLE_1) | instskip(NEXT) | instid1(SALU_CYCLE_1)
	s_or_b64 s[18:19], s[12:13], s[10:11]
	s_mov_b32 s17, s19
	s_delay_alu instid0(SALU_CYCLE_1)
	s_cmp_lg_u64 s[16:17], 0
	s_cbranch_scc0 .LBB74_45
; %bb.31:
	s_add_u32 s18, s10, s11
	s_mov_b32 s16, s11
	s_mov_b32 s17, s11
	s_addc_u32 s19, s11, s11
	s_delay_alu instid0(SALU_CYCLE_1) | instskip(NEXT) | instid1(SALU_CYCLE_1)
	s_xor_b64 s[18:19], s[18:19], s[16:17]
	v_cvt_f32_u32_e32 v1, s18
	v_cvt_f32_u32_e32 v2, s19
	s_sub_u32 s11, 0, s18
	s_subb_u32 s22, 0, s19
	s_delay_alu instid0(VALU_DEP_1) | instskip(NEXT) | instid1(VALU_DEP_1)
	v_fmamk_f32 v1, v2, 0x4f800000, v1
	v_rcp_f32_e32 v1, v1
	s_waitcnt_depctr 0xfff
	v_mul_f32_e32 v1, 0x5f7ffffc, v1
	s_delay_alu instid0(VALU_DEP_1) | instskip(NEXT) | instid1(VALU_DEP_1)
	v_mul_f32_e32 v2, 0x2f800000, v1
	v_trunc_f32_e32 v2, v2
	s_delay_alu instid0(VALU_DEP_1) | instskip(SKIP_1) | instid1(VALU_DEP_2)
	v_fmamk_f32 v1, v2, 0xcf800000, v1
	v_cvt_u32_f32_e32 v2, v2
	v_cvt_u32_f32_e32 v1, v1
	s_delay_alu instid0(VALU_DEP_2) | instskip(NEXT) | instid1(VALU_DEP_2)
	v_readfirstlane_b32 s3, v2
	v_readfirstlane_b32 s7, v1
	s_delay_alu instid0(VALU_DEP_2) | instskip(NEXT) | instid1(VALU_DEP_1)
	s_mul_i32 s23, s11, s3
	s_mul_hi_u32 s25, s11, s7
	s_mul_i32 s24, s22, s7
	s_add_i32 s23, s25, s23
	s_mul_i32 s26, s11, s7
	s_add_i32 s23, s23, s24
	s_mul_hi_u32 s25, s7, s26
	s_mul_hi_u32 s27, s3, s26
	s_mul_i32 s24, s3, s26
	s_mul_hi_u32 s26, s7, s23
	s_mul_i32 s7, s7, s23
	s_mul_hi_u32 s28, s3, s23
	s_add_u32 s7, s25, s7
	s_addc_u32 s25, 0, s26
	s_add_u32 s7, s7, s24
	s_mul_i32 s23, s3, s23
	s_addc_u32 s7, s25, s27
	s_addc_u32 s24, s28, 0
	s_add_u32 s7, s7, s23
	s_addc_u32 s23, 0, s24
	v_add_co_u32 v1, s7, v1, s7
	s_delay_alu instid0(VALU_DEP_1) | instskip(SKIP_1) | instid1(VALU_DEP_1)
	s_cmp_lg_u32 s7, 0
	s_addc_u32 s3, s3, s23
	v_readfirstlane_b32 s7, v1
	s_mul_i32 s23, s11, s3
	s_delay_alu instid0(VALU_DEP_1)
	s_mul_hi_u32 s24, s11, s7
	s_mul_i32 s22, s22, s7
	s_add_i32 s23, s24, s23
	s_mul_i32 s11, s11, s7
	s_add_i32 s23, s23, s22
	s_mul_hi_u32 s24, s3, s11
	s_mul_i32 s25, s3, s11
	s_mul_hi_u32 s11, s7, s11
	s_mul_hi_u32 s26, s7, s23
	s_mul_i32 s7, s7, s23
	s_mul_hi_u32 s22, s3, s23
	s_add_u32 s7, s11, s7
	s_addc_u32 s11, 0, s26
	s_add_u32 s7, s7, s25
	s_mul_i32 s23, s3, s23
	s_addc_u32 s7, s11, s24
	s_addc_u32 s11, s22, 0
	s_add_u32 s7, s7, s23
	s_addc_u32 s11, 0, s11
	v_add_co_u32 v1, s7, v1, s7
	s_delay_alu instid0(VALU_DEP_1) | instskip(SKIP_2) | instid1(VALU_DEP_1)
	s_cmp_lg_u32 s7, 0
	s_addc_u32 s3, s3, s11
	s_ashr_i32 s22, s13, 31
	v_readfirstlane_b32 s7, v1
	s_add_u32 s24, s12, s22
	s_mov_b32 s23, s22
	s_addc_u32 s25, s13, s22
	s_delay_alu instid0(SALU_CYCLE_1) | instskip(NEXT) | instid1(SALU_CYCLE_1)
	s_xor_b64 s[24:25], s[24:25], s[22:23]
	s_mul_i32 s13, s24, s3
	s_mul_hi_u32 s26, s24, s7
	s_mul_hi_u32 s11, s24, s3
	;; [unrolled: 1-line block ×3, first 2 shown]
	s_mul_i32 s7, s25, s7
	s_add_u32 s13, s26, s13
	s_addc_u32 s11, 0, s11
	s_mul_hi_u32 s27, s25, s3
	s_add_u32 s7, s13, s7
	s_mul_i32 s3, s25, s3
	s_addc_u32 s7, s11, s28
	s_addc_u32 s11, s27, 0
	s_add_u32 s7, s7, s3
	s_addc_u32 s11, 0, s11
	s_mul_i32 s27, s18, s7
	s_mul_hi_u32 s3, s18, s7
	s_mul_i32 s26, s18, s11
	v_sub_co_u32 v1, s24, s24, s27
	s_mul_i32 s13, s19, s7
	s_add_i32 s3, s3, s26
	s_delay_alu instid0(SALU_CYCLE_1) | instskip(NEXT) | instid1(VALU_DEP_1)
	s_add_i32 s3, s3, s13
	v_sub_co_u32 v2, s26, v1, s18
	s_sub_i32 s13, s25, s3
	s_cmp_lg_u32 s24, 0
	s_subb_u32 s13, s13, s19
	s_cmp_lg_u32 s26, 0
	v_cmp_le_u32_e32 vcc_lo, s18, v2
	s_subb_u32 s13, s13, 0
	s_delay_alu instid0(SALU_CYCLE_1)
	s_cmp_ge_u32 s13, s19
	v_cndmask_b32_e64 v2, 0, -1, vcc_lo
	s_cselect_b32 s26, -1, 0
	s_cmp_eq_u32 s13, s19
	s_cselect_b32 vcc_lo, -1, 0
	s_add_u32 s13, s7, 1
	v_cndmask_b32_e32 v2, s26, v2, vcc_lo
	s_addc_u32 s26, s11, 0
	s_add_u32 s27, s7, 2
	s_addc_u32 s28, s11, 0
	s_cmp_lg_u32 s24, 0
	v_cmp_le_u32_e32 vcc_lo, s18, v1
	s_subb_u32 s3, s25, s3
	v_mov_b32_e32 v16, s27
	s_cmp_ge_u32 s3, s19
	v_cndmask_b32_e64 v1, 0, -1, vcc_lo
	s_cselect_b32 s18, -1, 0
	s_cmp_eq_u32 s3, s19
	v_cmp_ne_u32_e32 vcc_lo, 0, v2
	v_mov_b32_e32 v2, s28
	s_cselect_b32 s3, -1, 0
	s_xor_b64 s[16:17], s[22:23], s[16:17]
	v_cndmask_b32_e64 v1, s18, v1, s3
	v_cndmask_b32_e32 v16, s13, v16, vcc_lo
	v_cndmask_b32_e32 v2, s26, v2, vcc_lo
	s_delay_alu instid0(VALU_DEP_3) | instskip(NEXT) | instid1(VALU_DEP_2)
	v_cmp_ne_u32_e32 vcc_lo, 0, v1
	v_cndmask_b32_e32 v1, s11, v2, vcc_lo
	s_delay_alu instid0(VALU_DEP_4) | instskip(NEXT) | instid1(VALU_DEP_2)
	v_cndmask_b32_e32 v2, s7, v16, vcc_lo
	v_xor_b32_e32 v16, s17, v1
	s_delay_alu instid0(VALU_DEP_2) | instskip(NEXT) | instid1(VALU_DEP_1)
	v_xor_b32_e32 v2, s16, v2
	v_sub_co_u32 v1, vcc_lo, v2, s16
	s_delay_alu instid0(VALU_DEP_3)
	v_subrev_co_ci_u32_e32 v2, vcc_lo, s17, v16, vcc_lo
	s_cbranch_execnz .LBB74_33
.LBB74_32:
	v_cvt_f32_u32_e32 v1, s10
	s_sub_i32 s7, 0, s10
	s_delay_alu instid0(VALU_DEP_1) | instskip(SKIP_2) | instid1(VALU_DEP_1)
	v_rcp_iflag_f32_e32 v1, v1
	s_waitcnt_depctr 0xfff
	v_mul_f32_e32 v1, 0x4f7ffffe, v1
	v_cvt_u32_f32_e32 v1, v1
	s_delay_alu instid0(VALU_DEP_1) | instskip(NEXT) | instid1(VALU_DEP_1)
	v_readfirstlane_b32 s3, v1
	s_mul_i32 s7, s7, s3
	s_delay_alu instid0(SALU_CYCLE_1) | instskip(NEXT) | instid1(SALU_CYCLE_1)
	s_mul_hi_u32 s7, s3, s7
	s_add_i32 s3, s3, s7
	s_delay_alu instid0(SALU_CYCLE_1) | instskip(NEXT) | instid1(SALU_CYCLE_1)
	s_mul_hi_u32 s3, s12, s3
	s_mul_i32 s7, s3, s10
	s_add_i32 s11, s3, 1
	s_sub_i32 s7, s12, s7
	s_delay_alu instid0(SALU_CYCLE_1)
	s_sub_i32 s12, s7, s10
	s_cmp_ge_u32 s7, s10
	s_cselect_b32 s3, s11, s3
	s_cselect_b32 s7, s12, s7
	s_add_i32 s12, s3, 1
	s_cmp_ge_u32 s7, s10
	s_mov_b32 s11, 0
	s_cselect_b32 s10, s12, s3
	s_delay_alu instid0(SALU_CYCLE_1)
	v_dual_mov_b32 v1, s10 :: v_dual_mov_b32 v2, s11
.LBB74_33:
	s_delay_alu instid0(VALU_DEP_1) | instskip(NEXT) | instid1(VALU_DEP_2)
	v_add_co_u32 v1, vcc_lo, v1, v15
	v_add_co_ci_u32_e32 v2, vcc_lo, 0, v2, vcc_lo
	s_branch .LBB74_36
.LBB74_34:
                                        ; implicit-def: $vgpr1_vgpr2
	s_cbranch_execz .LBB74_36
; %bb.35:
	v_mul_lo_u32 v1, v15, s4
	s_delay_alu instid0(VALU_DEP_1) | instskip(SKIP_1) | instid1(VALU_DEP_2)
	v_ashrrev_i32_e32 v2, 31, v1
	v_add_co_u32 v1, vcc_lo, v1, s20
	v_add_co_ci_u32_e32 v2, vcc_lo, 0, v2, vcc_lo
.LBB74_36:
	s_mov_b32 s3, exec_lo
.LBB74_37:
	s_or_b32 exec_lo, exec_lo, s14
	s_delay_alu instid0(SALU_CYCLE_1)
	s_and_b32 vcc_lo, exec_lo, s15
	s_cbranch_vccz .LBB74_41
.LBB74_38:
	v_mov_b32_dpp v1, v13 quad_perm:[1,0,3,2] row_mask:0xf bank_mask:0xf
	s_delay_alu instid0(VALU_DEP_1) | instskip(SKIP_1) | instid1(VALU_DEP_1)
	v_cmp_gt_f32_e32 vcc_lo, v13, v1
	v_cndmask_b32_e32 v1, v1, v13, vcc_lo
	v_mov_b32_dpp v2, v1 quad_perm:[2,3,0,1] row_mask:0xf bank_mask:0xf
	s_delay_alu instid0(VALU_DEP_1) | instskip(SKIP_1) | instid1(VALU_DEP_1)
	v_cmp_gt_f32_e32 vcc_lo, v1, v2
	v_cndmask_b32_e32 v1, v2, v1, vcc_lo
	v_mov_b32_dpp v2, v1 row_xmask:7 row_mask:0xf bank_mask:0xf
	s_delay_alu instid0(VALU_DEP_1) | instskip(SKIP_1) | instid1(VALU_DEP_1)
	v_cmp_gt_f32_e32 vcc_lo, v1, v2
	v_cndmask_b32_e32 v1, v2, v1, vcc_lo
	v_mov_b32_dpp v2, v1 row_xmask:15 row_mask:0xf bank_mask:0xf
	s_delay_alu instid0(VALU_DEP_1)
	v_cmp_gt_f32_e32 vcc_lo, v1, v2
	s_and_saveexec_b32 s3, s2
	s_cbranch_execz .LBB74_40
; %bb.39:
	v_cndmask_b32_e32 v1, v2, v1, vcc_lo
	v_lshrrev_b32_e32 v2, 3, v0
	s_mov_b32 s2, 0x76543210
	s_delay_alu instid0(VALU_DEP_1) | instskip(NEXT) | instid1(VALU_DEP_3)
	v_and_b32_e32 v2, 0x7c, v2
	v_permlanex16_b32 v13, v1, s2, 0xfedcba98 op_sel:[1,1]
	s_delay_alu instid0(VALU_DEP_1)
	v_cmp_gt_f32_e32 vcc_lo, v1, v13
	v_cndmask_b32_e32 v1, v13, v1, vcc_lo
	ds_store_b32 v2, v1
.LBB74_40:
	s_or_b32 exec_lo, exec_lo, s3
	s_waitcnt lgkmcnt(0)
	s_barrier
	buffer_gl0_inv
	ds_load_b32 v1, v6
	v_cmp_eq_u32_e64 s3, 0, v0
	s_waitcnt lgkmcnt(0)
	v_mov_b32_dpp v2, v1 quad_perm:[1,0,3,2] row_mask:0xf bank_mask:0xf
	s_delay_alu instid0(VALU_DEP_1) | instskip(SKIP_1) | instid1(VALU_DEP_1)
	v_cmp_gt_f32_e32 vcc_lo, v1, v2
	v_cndmask_b32_e32 v1, v2, v1, vcc_lo
	v_mov_b32_dpp v2, v1 quad_perm:[2,3,0,1] row_mask:0xf bank_mask:0xf
	s_delay_alu instid0(VALU_DEP_1) | instskip(SKIP_1) | instid1(VALU_DEP_1)
	v_cmp_gt_f32_e32 vcc_lo, v1, v2
	v_cndmask_b32_e32 v1, v2, v1, vcc_lo
	v_mov_b32_dpp v2, v1 row_xmask:7 row_mask:0xf bank_mask:0xf
	s_delay_alu instid0(VALU_DEP_1) | instskip(SKIP_1) | instid1(VALU_DEP_1)
	v_cmp_gt_f32_e32 vcc_lo, v1, v2
	v_cndmask_b32_e32 v1, v2, v1, vcc_lo
	v_dual_mul_f32 v14, 0x3b124925, v1 :: v_dual_mov_b32 v1, s20
	v_mov_b32_e32 v2, s21
.LBB74_41:
	s_and_saveexec_b32 s2, s3
	s_cbranch_execz .LBB74_43
; %bb.42:
	s_delay_alu instid0(VALU_DEP_1) | instskip(NEXT) | instid1(VALU_DEP_1)
	v_lshlrev_b64 v[0:1], 2, v[1:2]
	v_add_co_u32 v0, vcc_lo, s8, v0
	s_delay_alu instid0(VALU_DEP_2)
	v_add_co_ci_u32_e32 v1, vcc_lo, s9, v1, vcc_lo
	global_store_b32 v[0:1], v14, off
.LBB74_43:
	s_or_b32 exec_lo, exec_lo, s2
	;;#ASMSTART
	v_rcp_f32 v0, v14
	;;#ASMEND
	v_dual_mul_f32 v1, v11, v0 :: v_dual_mov_b32 v6, 0xc3e00000
	v_dual_mul_f32 v2, v12, v0 :: v_dual_mov_b32 v11, 0x43e00000
	v_mul_f32_e32 v9, v9, v0
	v_mul_f32_e32 v10, v10, v0
	;;#ASMSTART
	v_med3_f32 v1, v1, v6, v11
v_med3_f32 v2, v2, v6, v11
v_cvt_pk_fp8_f32 v12, v1, v2
	;;#ASMEND
	;;#ASMSTART
	v_med3_f32 v9, v9, v6, v11
v_med3_f32 v10, v10, v6, v11
v_cvt_pk_fp8_f32 v1, v9, v10
	;;#ASMEND
	v_perm_b32 v2, v1, v12, 0x5040100
	v_and_b32_e32 v1, 0xffffff00, v1
	s_load_b64 s[0:1], s[0:1], 0x0
	v_mul_f32_e32 v8, v8, v0
	s_add_i32 s2, s5, 3
	v_lshrrev_b32_e32 v9, 16, v2
	s_ashr_i32 s3, s2, 31
	v_mul_f32_e32 v7, v7, v0
	v_mul_f32_e32 v3, v3, v0
	s_ashr_i32 s4, s6, 31
	v_and_b32_e32 v9, 0xff, v9
	s_lshr_b32 s3, s3, 30
	s_mul_hi_u32 s5, s6, s20
	s_add_i32 s2, s2, s3
	s_mul_i32 s4, s4, s20
	v_or_b32_e32 v1, v9, v1
	v_mul_f32_e32 v0, v4, v0
	;;#ASMSTART
	v_med3_f32 v8, v8, v6, v11
v_med3_f32 v7, v7, v6, v11
v_cvt_pk_fp8_f32 v4, v8, v7
	;;#ASMEND
	s_mul_i32 s3, s6, s20
	s_and_b32 s2, s2, -4
	v_lshlrev_b32_e32 v1, 16, v1
	;;#ASMSTART
	v_med3_f32 v3, v3, v6, v11
v_med3_f32 v0, v0, v6, v11
v_cvt_pk_fp8_f32 v6, v3, v0
	;;#ASMEND
	v_lshlrev_b32_e32 v3, 16, v6
	s_add_i32 s5, s5, s4
	s_waitcnt lgkmcnt(0)
	s_add_u32 s0, s0, s3
	v_and_or_b32 v0, 0xffff, v2, v1
	s_addc_u32 s1, s1, s5
	v_and_or_b32 v1, 0xffff, v4, v3
	s_and_b32 s1, s1, 0xffff
	s_mov_b32 s3, -1
	buffer_store_b64 v[0:1], v5, s[0:3], 0 offen
	;;#ASMSTART
	s_nop 0
	;;#ASMEND
.LBB74_44:
	s_nop 0
	s_sendmsg sendmsg(MSG_DEALLOC_VGPRS)
	s_endpgm
.LBB74_45:
                                        ; implicit-def: $vgpr1_vgpr2
	s_branch .LBB74_32
	.section	.rodata,"a",@progbits
	.p2align	6, 0x0
	.amdhsa_kernel _ZN5aiter24add_rmsnorm_quant_kernelItDB8_Li256ELi8ELb0ELb1ELb1ELi1EEEvPT0_PT_PfS5_S5_S5_diiiiiiib
		.amdhsa_group_segment_fixed_size 64
		.amdhsa_private_segment_fixed_size 0
		.amdhsa_kernarg_size 88
		.amdhsa_user_sgpr_count 15
		.amdhsa_user_sgpr_dispatch_ptr 0
		.amdhsa_user_sgpr_queue_ptr 0
		.amdhsa_user_sgpr_kernarg_segment_ptr 1
		.amdhsa_user_sgpr_dispatch_id 0
		.amdhsa_user_sgpr_private_segment_size 0
		.amdhsa_wavefront_size32 1
		.amdhsa_uses_dynamic_stack 0
		.amdhsa_enable_private_segment 0
		.amdhsa_system_sgpr_workgroup_id_x 1
		.amdhsa_system_sgpr_workgroup_id_y 0
		.amdhsa_system_sgpr_workgroup_id_z 0
		.amdhsa_system_sgpr_workgroup_info 0
		.amdhsa_system_vgpr_workitem_id 0
		.amdhsa_next_free_vgpr 23
		.amdhsa_next_free_sgpr 29
		.amdhsa_reserve_vcc 1
		.amdhsa_float_round_mode_32 0
		.amdhsa_float_round_mode_16_64 0
		.amdhsa_float_denorm_mode_32 3
		.amdhsa_float_denorm_mode_16_64 3
		.amdhsa_dx10_clamp 1
		.amdhsa_ieee_mode 1
		.amdhsa_fp16_overflow 0
		.amdhsa_workgroup_processor_mode 1
		.amdhsa_memory_ordered 1
		.amdhsa_forward_progress 0
		.amdhsa_shared_vgpr_count 0
		.amdhsa_exception_fp_ieee_invalid_op 0
		.amdhsa_exception_fp_denorm_src 0
		.amdhsa_exception_fp_ieee_div_zero 0
		.amdhsa_exception_fp_ieee_overflow 0
		.amdhsa_exception_fp_ieee_underflow 0
		.amdhsa_exception_fp_ieee_inexact 0
		.amdhsa_exception_int_div_zero 0
	.end_amdhsa_kernel
	.section	.text._ZN5aiter24add_rmsnorm_quant_kernelItDB8_Li256ELi8ELb0ELb1ELb1ELi1EEEvPT0_PT_PfS5_S5_S5_diiiiiiib,"axG",@progbits,_ZN5aiter24add_rmsnorm_quant_kernelItDB8_Li256ELi8ELb0ELb1ELb1ELi1EEEvPT0_PT_PfS5_S5_S5_diiiiiiib,comdat
.Lfunc_end74:
	.size	_ZN5aiter24add_rmsnorm_quant_kernelItDB8_Li256ELi8ELb0ELb1ELb1ELi1EEEvPT0_PT_PfS5_S5_S5_diiiiiiib, .Lfunc_end74-_ZN5aiter24add_rmsnorm_quant_kernelItDB8_Li256ELi8ELb0ELb1ELb1ELi1EEEvPT0_PT_PfS5_S5_S5_diiiiiiib
                                        ; -- End function
	.section	.AMDGPU.csdata,"",@progbits
; Kernel info:
; codeLenInByte = 3460
; NumSgprs: 31
; NumVgprs: 23
; ScratchSize: 0
; MemoryBound: 0
; FloatMode: 240
; IeeeMode: 1
; LDSByteSize: 64 bytes/workgroup (compile time only)
; SGPRBlocks: 3
; VGPRBlocks: 2
; NumSGPRsForWavesPerEU: 31
; NumVGPRsForWavesPerEU: 23
; Occupancy: 16
; WaveLimiterHint : 0
; COMPUTE_PGM_RSRC2:SCRATCH_EN: 0
; COMPUTE_PGM_RSRC2:USER_SGPR: 15
; COMPUTE_PGM_RSRC2:TRAP_HANDLER: 0
; COMPUTE_PGM_RSRC2:TGID_X_EN: 1
; COMPUTE_PGM_RSRC2:TGID_Y_EN: 0
; COMPUTE_PGM_RSRC2:TGID_Z_EN: 0
; COMPUTE_PGM_RSRC2:TIDIG_COMP_CNT: 0
	.section	.text._ZN5aiter24add_rmsnorm_quant_kernelIDF16_DB8_Li256ELi8ELb0ELb1ELb0ELi1EEEvPT0_PT_PfS5_S5_S5_diiiiiiib,"axG",@progbits,_ZN5aiter24add_rmsnorm_quant_kernelIDF16_DB8_Li256ELi8ELb0ELb1ELb0ELi1EEEvPT0_PT_PfS5_S5_S5_diiiiiiib,comdat
	.protected	_ZN5aiter24add_rmsnorm_quant_kernelIDF16_DB8_Li256ELi8ELb0ELb1ELb0ELi1EEEvPT0_PT_PfS5_S5_S5_diiiiiiib ; -- Begin function _ZN5aiter24add_rmsnorm_quant_kernelIDF16_DB8_Li256ELi8ELb0ELb1ELb0ELi1EEEvPT0_PT_PfS5_S5_S5_diiiiiiib
	.globl	_ZN5aiter24add_rmsnorm_quant_kernelIDF16_DB8_Li256ELi8ELb0ELb1ELb0ELi1EEEvPT0_PT_PfS5_S5_S5_diiiiiiib
	.p2align	8
	.type	_ZN5aiter24add_rmsnorm_quant_kernelIDF16_DB8_Li256ELi8ELb0ELb1ELb0ELi1EEEvPT0_PT_PfS5_S5_S5_diiiiiiib,@function
_ZN5aiter24add_rmsnorm_quant_kernelIDF16_DB8_Li256ELi8ELb0ELb1ELb0ELi1EEEvPT0_PT_PfS5_S5_S5_diiiiiiib: ; @_ZN5aiter24add_rmsnorm_quant_kernelIDF16_DB8_Li256ELi8ELb0ELb1ELb0ELi1EEEvPT0_PT_PfS5_S5_S5_diiiiiiib
; %bb.0:
	s_load_b128 s[4:7], s[0:1], 0x38
	s_mov_b32 s20, s15
	s_mov_b32 s21, 0
	s_waitcnt lgkmcnt(0)
	s_ashr_i32 s3, s4, 31
	s_mov_b32 s2, s4
	s_delay_alu instid0(SALU_CYCLE_1) | instskip(NEXT) | instid1(VALU_DEP_1)
	v_cmp_ge_i64_e64 s2, s[20:21], s[2:3]
	s_and_b32 vcc_lo, exec_lo, s2
	s_cbranch_vccnz .LBB75_44
; %bb.1:
	s_clause 0x1
	s_load_b128 s[8:11], s[0:1], 0x10
	s_load_b128 s[16:19], s[0:1], 0x28
	s_ashr_i32 s2, s6, 31
	s_mul_hi_u32 s3, s6, s20
	s_mul_i32 s7, s2, s20
	s_mul_i32 s2, s6, s20
	s_add_i32 s3, s3, s7
	v_lshlrev_b32_e32 v1, 4, v0
	s_lshl_b64 s[2:3], s[2:3], 1
	s_mov_b32 s15, -1
	v_and_b32_e32 v15, 31, v0
	s_mov_b32 s27, s15
	s_waitcnt lgkmcnt(0)
	s_add_u32 s12, s10, s2
	s_addc_u32 s2, s11, s3
	s_add_i32 s3, s5, 1
	s_and_b32 s13, s2, 0xffff
	s_lshr_b32 s6, s3, 31
	s_mov_b32 s24, s16
	s_add_i32 s3, s3, s6
	s_and_b32 s25, s17, 0xffff
	s_lshl_b32 s3, s3, 1
	v_cmp_eq_u32_e64 s2, 31, v15
	s_and_b32 s14, s3, -4
	buffer_load_b128 v[9:12], v1, s[12:15], 0 offen glc slc
	s_mov_b32 s26, s14
	buffer_load_b128 v[1:4], v1, s[24:27], 0 offen
	s_waitcnt vmcnt(1)
	v_lshrrev_b32_e32 v5, 16, v9
	v_lshrrev_b32_e32 v13, 16, v10
	;; [unrolled: 1-line block ×4, first 2 shown]
	s_delay_alu instid0(VALU_DEP_4) | instskip(NEXT) | instid1(VALU_DEP_4)
	v_cvt_f32_f16_e32 v6, v5
	v_cvt_f32_f16_e32 v14, v13
	s_delay_alu instid0(VALU_DEP_4) | instskip(NEXT) | instid1(VALU_DEP_3)
	v_cvt_f32_f16_e32 v13, v16
	v_mul_f32_e32 v5, v6, v6
	s_delay_alu instid0(VALU_DEP_1) | instskip(SKIP_1) | instid1(VALU_DEP_2)
	v_fma_mix_f32 v5, v9, v9, v5 op_sel_hi:[1,1,0]
	v_cvt_f32_f16_e32 v9, v9
	v_fma_mix_f32 v5, v10, v10, v5 op_sel_hi:[1,1,0]
	s_delay_alu instid0(VALU_DEP_1) | instskip(NEXT) | instid1(VALU_DEP_1)
	v_fma_mix_f32 v5, v10, v10, v5 op_sel:[1,1,0] op_sel_hi:[1,1,0]
	v_fma_mix_f32 v5, v11, v11, v5 op_sel_hi:[1,1,0]
	s_delay_alu instid0(VALU_DEP_1) | instskip(NEXT) | instid1(VALU_DEP_1)
	v_fma_mix_f32 v5, v11, v11, v5 op_sel:[1,1,0] op_sel_hi:[1,1,0]
	v_fma_mix_f32 v5, v12, v12, v5 op_sel_hi:[1,1,0]
	s_delay_alu instid0(VALU_DEP_1) | instskip(NEXT) | instid1(VALU_DEP_1)
	v_fma_mix_f32 v5, v12, v12, v5 op_sel:[1,1,0] op_sel_hi:[1,1,0]
	v_mov_b32_dpp v7, v5 quad_perm:[1,0,3,2] row_mask:0xf bank_mask:0xf
	s_delay_alu instid0(VALU_DEP_1) | instskip(NEXT) | instid1(VALU_DEP_1)
	v_add_f32_e32 v5, v5, v7
	v_mov_b32_dpp v7, v5 quad_perm:[2,3,0,1] row_mask:0xf bank_mask:0xf
	s_delay_alu instid0(VALU_DEP_1)
	v_add_f32_e32 v5, v5, v7
	v_cvt_f32_f16_e32 v7, v10
	v_cvt_f32_f16_e32 v10, v11
	;; [unrolled: 1-line block ×4, first 2 shown]
	v_mov_b32_dpp v8, v5 row_xmask:7 row_mask:0xf bank_mask:0xf
	s_delay_alu instid0(VALU_DEP_1) | instskip(NEXT) | instid1(VALU_DEP_1)
	v_add_f32_e32 v5, v5, v8
	v_mov_b32_dpp v8, v5 row_xmask:15 row_mask:0xf bank_mask:0xf
	s_and_saveexec_b32 s3, s2
	s_cbranch_execz .LBB75_3
; %bb.2:
	s_delay_alu instid0(VALU_DEP_1) | instskip(SKIP_2) | instid1(VALU_DEP_2)
	v_add_f32_e32 v5, v5, v8
	s_mov_b32 s6, 0x76543210
	v_lshrrev_b32_e32 v8, 3, v0
	v_permlanex16_b32 v15, v5, s6, 0xfedcba98 op_sel:[1,1]
	s_delay_alu instid0(VALU_DEP_1)
	v_dual_add_f32 v5, v5, v15 :: v_dual_and_b32 v8, 0x7c, v8
	ds_store_b32 v8, v5 offset:32
.LBB75_3:
	s_or_b32 exec_lo, exec_lo, s3
	v_and_b32_e32 v5, 7, v0
	s_waitcnt vmcnt(0) lgkmcnt(0)
	s_barrier
	buffer_gl0_inv
	v_cvt_f32_i32_e32 v16, s5
	v_lshlrev_b32_e32 v8, 2, v5
	ds_load_b32 v5, v8 offset:32
	s_clause 0x1
	s_load_b64 s[6:7], s[0:1], 0x4c
	s_load_b32 s10, s[0:1], 0x54
	s_waitcnt lgkmcnt(0)
	s_cmp_lg_u32 s7, 0
	v_mov_b32_dpp v15, v5 quad_perm:[1,0,3,2] row_mask:0xf bank_mask:0xf
	s_delay_alu instid0(VALU_DEP_1) | instskip(NEXT) | instid1(VALU_DEP_1)
	v_add_f32_e32 v5, v5, v15
	v_mov_b32_dpp v15, v5 quad_perm:[2,3,0,1] row_mask:0xf bank_mask:0xf
	s_delay_alu instid0(VALU_DEP_1) | instskip(NEXT) | instid1(VALU_DEP_1)
	v_add_f32_e32 v5, v5, v15
	v_mov_b32_dpp v15, v5 row_xmask:7 row_mask:0xf bank_mask:0xf
	s_delay_alu instid0(VALU_DEP_1) | instskip(NEXT) | instid1(VALU_DEP_1)
	v_add_f32_e32 v5, v5, v15
	v_div_scale_f32 v15, null, v16, v16, v5
	v_div_scale_f32 v19, vcc_lo, v5, v16, v5
	s_delay_alu instid0(VALU_DEP_2) | instskip(SKIP_2) | instid1(VALU_DEP_1)
	v_rcp_f32_e32 v17, v15
	s_waitcnt_depctr 0xfff
	v_fma_f32 v18, -v15, v17, 1.0
	v_fmac_f32_e32 v17, v18, v17
	s_delay_alu instid0(VALU_DEP_1) | instskip(NEXT) | instid1(VALU_DEP_1)
	v_mul_f32_e32 v18, v19, v17
	v_fma_f32 v20, -v15, v18, v19
	s_delay_alu instid0(VALU_DEP_1) | instskip(SKIP_2) | instid1(VALU_DEP_3)
	v_fmac_f32_e32 v18, v20, v17
	v_cvt_f32_f16_e32 v20, v4
	v_lshrrev_b32_e32 v4, 16, v4
	v_fma_f32 v15, -v15, v18, v19
	s_delay_alu instid0(VALU_DEP_2) | instskip(NEXT) | instid1(VALU_DEP_2)
	v_cvt_f32_f16_e32 v4, v4
	v_div_fmas_f32 v15, v15, v17, v18
	v_cvt_f32_f16_e32 v17, v2
	v_lshrrev_b32_e32 v2, 16, v2
	v_cvt_f32_f16_e32 v18, v3
	v_lshrrev_b32_e32 v3, 16, v3
	v_div_fixup_f32 v5, v15, v16, v5
	s_delay_alu instid0(VALU_DEP_4) | instskip(NEXT) | instid1(VALU_DEP_3)
	v_cvt_f32_f16_e32 v2, v2
	v_cvt_f32_f16_e32 v3, v3
	s_delay_alu instid0(VALU_DEP_3) | instskip(NEXT) | instid1(VALU_DEP_1)
	v_cvt_f64_f32_e32 v[15:16], v5
	v_add_f64 v[15:16], v[15:16], s[18:19]
	s_delay_alu instid0(VALU_DEP_1) | instskip(SKIP_2) | instid1(VALU_DEP_1)
	v_cvt_f32_f64_e32 v5, v[15:16]
	v_cvt_f32_f16_e32 v16, v1
	v_lshrrev_b32_e32 v1, 16, v1
	v_cvt_f32_f16_e32 v1, v1
	s_delay_alu instid0(VALU_DEP_4) | instskip(SKIP_1) | instid1(VALU_DEP_2)
	v_mul_f32_e32 v15, 0x4b800000, v5
	v_cmp_gt_f32_e32 vcc_lo, 0x800000, v5
	v_cndmask_b32_e32 v5, v5, v15, vcc_lo
	s_delay_alu instid0(VALU_DEP_1) | instskip(SKIP_2) | instid1(VALU_DEP_1)
	v_rsq_f32_e32 v15, v5
	s_waitcnt_depctr 0xfff
	v_mul_f32_e32 v19, 0x45800000, v15
	v_cndmask_b32_e32 v15, v15, v19, vcc_lo
	s_delay_alu instid0(VALU_DEP_1) | instskip(SKIP_4) | instid1(VALU_DEP_4)
	v_dual_mul_f32 v22, v15, v11 :: v_dual_lshlrev_b32 v5, 3, v0
	v_mul_f32_e32 v14, v15, v14
	v_mul_f32_e32 v6, v15, v6
	;; [unrolled: 1-line block ×4, first 2 shown]
	v_dual_mov_b32 v21, 0x2edbe6ff :: v_dual_mul_f32 v10, v14, v2
	v_mul_f32_e32 v9, v15, v9
	v_mul_f32_e32 v7, v15, v7
	v_dual_mul_f32 v15, v15, v12 :: v_dual_mul_f32 v12, v6, v1
	v_mul_f32_e32 v6, v13, v3
	s_delay_alu instid0(VALU_DEP_4) | instskip(SKIP_1) | instid1(VALU_DEP_4)
	v_dual_mul_f32 v11, v9, v16 :: v_dual_and_b32 v14, 0x7fffffff, v10
	v_mul_f32_e32 v3, v22, v20
	v_mul_f32_e32 v4, v15, v4
	s_delay_alu instid0(VALU_DEP_4)
	v_dual_mul_f32 v9, v7, v17 :: v_dual_and_b32 v16, 0x7fffffff, v6
	v_mul_f32_e32 v7, v19, v18
	v_and_b32_e32 v1, 0x7fffffff, v11
	v_and_b32_e32 v2, 0x7fffffff, v12
	;;#ASMSTART
	v_max3_f32 v1, v21, v1, v2

	;;#ASMEND
	v_and_b32_e32 v13, 0x7fffffff, v9
	;;#ASMSTART
	v_max3_f32 v1, v1, v13, v14

	;;#ASMEND
	v_and_b32_e32 v15, 0x7fffffff, v7
	v_and_b32_e32 v17, 0x7fffffff, v3
	;; [unrolled: 1-line block ×3, first 2 shown]
	;;#ASMSTART
	v_max3_f32 v1, v1, v15, v16

	;;#ASMEND
	;;#ASMSTART
	v_max3_f32 v13, v1, v17, v18

	;;#ASMEND
	s_cbranch_scc0 .LBB75_10
; %bb.4:
	s_ashr_i32 s11, s7, 31
	s_delay_alu instid0(SALU_CYCLE_1) | instskip(NEXT) | instid1(SALU_CYCLE_1)
	s_lshr_b32 s3, s11, 29
	s_add_i32 s3, s7, s3
	s_delay_alu instid0(SALU_CYCLE_1) | instskip(NEXT) | instid1(SALU_CYCLE_1)
	s_ashr_i32 s3, s3, 3
	s_cmp_lt_i32 s3, 8
	s_cbranch_scc1 .LBB75_11
; %bb.5:
	s_cmp_lt_i32 s3, 16
	s_cbranch_scc1 .LBB75_12
; %bb.6:
	;; [unrolled: 3-line block ×3, first 2 shown]
	v_mov_b32_e32 v1, v13
	s_cmp_eq_u32 s3, 32
	s_cbranch_scc0 .LBB75_9
; %bb.8:
	s_delay_alu instid0(VALU_DEP_1) | instskip(SKIP_1) | instid1(VALU_DEP_1)
	v_mov_b32_dpp v1, v13 quad_perm:[1,0,3,2] row_mask:0xf bank_mask:0xf
	s_mov_b32 s12, 0x76543210
	v_cmp_gt_f32_e32 vcc_lo, v13, v1
	v_cndmask_b32_e32 v1, v1, v13, vcc_lo
	s_delay_alu instid0(VALU_DEP_1) | instskip(NEXT) | instid1(VALU_DEP_1)
	v_mov_b32_dpp v2, v1 quad_perm:[2,3,0,1] row_mask:0xf bank_mask:0xf
	v_cmp_gt_f32_e32 vcc_lo, v1, v2
	v_cndmask_b32_e32 v1, v2, v1, vcc_lo
	s_delay_alu instid0(VALU_DEP_1) | instskip(NEXT) | instid1(VALU_DEP_1)
	v_mov_b32_dpp v2, v1 row_xmask:7 row_mask:0xf bank_mask:0xf
	v_cmp_gt_f32_e32 vcc_lo, v1, v2
	v_cndmask_b32_e32 v1, v2, v1, vcc_lo
	s_delay_alu instid0(VALU_DEP_1) | instskip(NEXT) | instid1(VALU_DEP_1)
	v_mov_b32_dpp v2, v1 row_xmask:15 row_mask:0xf bank_mask:0xf
	v_cmp_gt_f32_e32 vcc_lo, v1, v2
	v_cndmask_b32_e32 v1, v2, v1, vcc_lo
	s_delay_alu instid0(VALU_DEP_1) | instskip(NEXT) | instid1(VALU_DEP_1)
	v_permlanex16_b32 v2, v1, s12, 0xfedcba98 op_sel:[1,1]
	v_cmp_gt_f32_e32 vcc_lo, v1, v2
	v_cndmask_b32_e32 v1, v2, v1, vcc_lo
.LBB75_9:
	s_mov_b32 s12, 0
	s_branch .LBB75_14
.LBB75_10:
	s_mov_b32 s3, 0
                                        ; implicit-def: $vgpr14
                                        ; implicit-def: $vgpr1_vgpr2
	s_and_b32 vcc_lo, exec_lo, s15
	s_cbranch_vccnz .LBB75_38
	s_branch .LBB75_41
.LBB75_11:
                                        ; implicit-def: $vgpr1
	s_branch .LBB75_21
.LBB75_12:
                                        ; implicit-def: $vgpr1
	s_branch .LBB75_18
.LBB75_13:
	s_mov_b32 s12, -1
                                        ; implicit-def: $vgpr1
.LBB75_14:
	s_delay_alu instid0(SALU_CYCLE_1)
	s_and_not1_b32 vcc_lo, exec_lo, s12
	s_cbranch_vccnz .LBB75_17
; %bb.15:
	v_mov_b32_e32 v1, v13
	s_cmp_eq_u32 s3, 16
	s_cbranch_scc0 .LBB75_17
; %bb.16:
	s_delay_alu instid0(VALU_DEP_1) | instskip(NEXT) | instid1(VALU_DEP_1)
	v_mov_b32_dpp v1, v13 quad_perm:[1,0,3,2] row_mask:0xf bank_mask:0xf
	v_cmp_gt_f32_e32 vcc_lo, v13, v1
	v_cndmask_b32_e32 v1, v1, v13, vcc_lo
	s_delay_alu instid0(VALU_DEP_1) | instskip(NEXT) | instid1(VALU_DEP_1)
	v_mov_b32_dpp v2, v1 quad_perm:[2,3,0,1] row_mask:0xf bank_mask:0xf
	v_cmp_gt_f32_e32 vcc_lo, v1, v2
	v_cndmask_b32_e32 v1, v2, v1, vcc_lo
	s_delay_alu instid0(VALU_DEP_1) | instskip(NEXT) | instid1(VALU_DEP_1)
	v_mov_b32_dpp v2, v1 row_half_mirror row_mask:0xf bank_mask:0xf
	v_cmp_gt_f32_e32 vcc_lo, v1, v2
	v_cndmask_b32_e32 v1, v2, v1, vcc_lo
	s_delay_alu instid0(VALU_DEP_1) | instskip(NEXT) | instid1(VALU_DEP_1)
	v_mov_b32_dpp v2, v1 row_mirror row_mask:0xf bank_mask:0xf
	v_cmp_gt_f32_e32 vcc_lo, v1, v2
	v_cndmask_b32_e32 v1, v2, v1, vcc_lo
.LBB75_17:
	s_cbranch_execnz .LBB75_20
.LBB75_18:
	v_mov_b32_e32 v1, v13
	s_cmp_eq_u32 s3, 8
	s_cbranch_scc0 .LBB75_20
; %bb.19:
	s_delay_alu instid0(VALU_DEP_1) | instskip(NEXT) | instid1(VALU_DEP_1)
	v_mov_b32_dpp v1, v13 quad_perm:[1,0,3,2] row_mask:0xf bank_mask:0xf
	v_cmp_gt_f32_e32 vcc_lo, v13, v1
	v_cndmask_b32_e32 v1, v1, v13, vcc_lo
	s_delay_alu instid0(VALU_DEP_1) | instskip(NEXT) | instid1(VALU_DEP_1)
	v_mov_b32_dpp v2, v1 quad_perm:[2,3,0,1] row_mask:0xf bank_mask:0xf
	v_cmp_gt_f32_e32 vcc_lo, v1, v2
	v_cndmask_b32_e32 v1, v2, v1, vcc_lo
	s_delay_alu instid0(VALU_DEP_1) | instskip(NEXT) | instid1(VALU_DEP_1)
	v_mov_b32_dpp v2, v1 row_half_mirror row_mask:0xf bank_mask:0xf
	v_cmp_gt_f32_e32 vcc_lo, v1, v2
	v_cndmask_b32_e32 v1, v2, v1, vcc_lo
.LBB75_20:
	s_cbranch_execnz .LBB75_28
.LBB75_21:
	s_cmp_lt_i32 s3, 4
	s_cbranch_scc1 .LBB75_24
; %bb.22:
	v_mov_b32_e32 v1, v13
	s_cmp_eq_u32 s3, 4
	s_cbranch_scc0 .LBB75_25
; %bb.23:
	s_delay_alu instid0(VALU_DEP_1) | instskip(NEXT) | instid1(VALU_DEP_1)
	v_mov_b32_dpp v1, v13 quad_perm:[1,0,3,2] row_mask:0xf bank_mask:0xf
	v_cmp_gt_f32_e32 vcc_lo, v13, v1
	v_cndmask_b32_e32 v1, v1, v13, vcc_lo
	s_delay_alu instid0(VALU_DEP_1) | instskip(NEXT) | instid1(VALU_DEP_1)
	v_mov_b32_dpp v2, v1 quad_perm:[2,3,0,1] row_mask:0xf bank_mask:0xf
	v_cmp_gt_f32_e32 vcc_lo, v1, v2
	v_cndmask_b32_e32 v1, v2, v1, vcc_lo
	s_cbranch_execz .LBB75_26
	s_branch .LBB75_28
.LBB75_24:
                                        ; implicit-def: $vgpr1
	s_branch .LBB75_26
.LBB75_25:
	s_cbranch_execnz .LBB75_28
.LBB75_26:
	v_mov_b32_e32 v1, v13
	s_cmp_lg_u32 s3, 2
	s_cbranch_scc1 .LBB75_28
; %bb.27:
	s_delay_alu instid0(VALU_DEP_1) | instskip(NEXT) | instid1(VALU_DEP_1)
	v_mov_b32_dpp v1, v13 quad_perm:[1,0,3,2] row_mask:0xf bank_mask:0xf
	v_cmp_gt_f32_e32 vcc_lo, v13, v1
	v_cndmask_b32_e32 v1, v1, v13, vcc_lo
.LBB75_28:
	v_cvt_f32_u32_e32 v2, s3
	s_sub_i32 s12, 0, s3
	s_mov_b32 s15, 0
	s_delay_alu instid0(VALU_DEP_1) | instskip(SKIP_2) | instid1(VALU_DEP_1)
	v_rcp_iflag_f32_e32 v2, v2
	s_waitcnt_depctr 0xfff
	v_mul_f32_e32 v2, 0x4f7ffffe, v2
	v_cvt_u32_f32_e32 v2, v2
	s_delay_alu instid0(VALU_DEP_1) | instskip(NEXT) | instid1(VALU_DEP_1)
	v_mul_lo_u32 v14, s12, v2
	v_mul_hi_u32 v14, v2, v14
	s_delay_alu instid0(VALU_DEP_1) | instskip(NEXT) | instid1(VALU_DEP_1)
	v_add_nc_u32_e32 v2, v2, v14
	v_mul_hi_u32 v2, v0, v2
	s_delay_alu instid0(VALU_DEP_1) | instskip(NEXT) | instid1(VALU_DEP_1)
	v_mul_lo_u32 v14, v2, s3
	v_sub_nc_u32_e32 v14, v0, v14
	s_delay_alu instid0(VALU_DEP_1) | instskip(SKIP_1) | instid1(VALU_DEP_2)
	v_subrev_nc_u32_e32 v16, s3, v14
	v_cmp_le_u32_e32 vcc_lo, s3, v14
	v_dual_cndmask_b32 v14, v14, v16 :: v_dual_add_nc_u32 v15, 1, v2
	s_delay_alu instid0(VALU_DEP_1) | instskip(NEXT) | instid1(VALU_DEP_2)
	v_cndmask_b32_e32 v2, v2, v15, vcc_lo
	v_cmp_le_u32_e32 vcc_lo, s3, v14
	s_delay_alu instid0(VALU_DEP_2) | instskip(NEXT) | instid1(VALU_DEP_1)
	v_dual_mul_f32 v14, 0x3b124925, v1 :: v_dual_add_nc_u32 v15, 1, v2
	v_cndmask_b32_e32 v15, v2, v15, vcc_lo
	v_cmp_gt_u32_e32 vcc_lo, s5, v5
	s_delay_alu instid0(VALU_DEP_2) | instskip(NEXT) | instid1(VALU_DEP_1)
	v_mul_lo_u32 v2, v15, s3
	v_sub_nc_u32_e32 v2, v0, v2
	s_delay_alu instid0(VALU_DEP_1) | instskip(NEXT) | instid1(VALU_DEP_1)
	v_cmp_eq_u32_e64 s3, 0, v2
                                        ; implicit-def: $vgpr1_vgpr2
	s_and_b32 s12, s3, vcc_lo
	s_mov_b32 s3, 0
	s_and_saveexec_b32 s13, s12
	s_delay_alu instid0(SALU_CYCLE_1)
	s_xor_b32 s14, exec_lo, s13
	s_cbranch_execz .LBB75_37
; %bb.29:
	s_bitcmp0_b32 s10, 0
	s_mov_b32 s16, 0
	s_cbranch_scc0 .LBB75_34
; %bb.30:
	s_ashr_i32 s3, s5, 31
	s_mul_hi_u32 s10, s5, s20
	s_mul_i32 s3, s3, s20
	s_mul_i32 s12, s5, s20
	s_add_i32 s13, s10, s3
	s_mov_b32 s10, s7
	s_delay_alu instid0(SALU_CYCLE_1) | instskip(NEXT) | instid1(SALU_CYCLE_1)
	s_or_b64 s[18:19], s[12:13], s[10:11]
	s_mov_b32 s17, s19
	s_delay_alu instid0(SALU_CYCLE_1)
	s_cmp_lg_u64 s[16:17], 0
	s_cbranch_scc0 .LBB75_45
; %bb.31:
	s_add_u32 s18, s10, s11
	s_mov_b32 s16, s11
	s_mov_b32 s17, s11
	s_addc_u32 s19, s11, s11
	s_delay_alu instid0(SALU_CYCLE_1) | instskip(NEXT) | instid1(SALU_CYCLE_1)
	s_xor_b64 s[18:19], s[18:19], s[16:17]
	v_cvt_f32_u32_e32 v1, s18
	v_cvt_f32_u32_e32 v2, s19
	s_sub_u32 s11, 0, s18
	s_subb_u32 s22, 0, s19
	s_delay_alu instid0(VALU_DEP_1) | instskip(NEXT) | instid1(VALU_DEP_1)
	v_fmamk_f32 v1, v2, 0x4f800000, v1
	v_rcp_f32_e32 v1, v1
	s_waitcnt_depctr 0xfff
	v_mul_f32_e32 v1, 0x5f7ffffc, v1
	s_delay_alu instid0(VALU_DEP_1) | instskip(NEXT) | instid1(VALU_DEP_1)
	v_mul_f32_e32 v2, 0x2f800000, v1
	v_trunc_f32_e32 v2, v2
	s_delay_alu instid0(VALU_DEP_1) | instskip(SKIP_1) | instid1(VALU_DEP_2)
	v_fmamk_f32 v1, v2, 0xcf800000, v1
	v_cvt_u32_f32_e32 v2, v2
	v_cvt_u32_f32_e32 v1, v1
	s_delay_alu instid0(VALU_DEP_2) | instskip(NEXT) | instid1(VALU_DEP_2)
	v_readfirstlane_b32 s3, v2
	v_readfirstlane_b32 s7, v1
	s_delay_alu instid0(VALU_DEP_2) | instskip(NEXT) | instid1(VALU_DEP_1)
	s_mul_i32 s23, s11, s3
	s_mul_hi_u32 s25, s11, s7
	s_mul_i32 s24, s22, s7
	s_add_i32 s23, s25, s23
	s_mul_i32 s26, s11, s7
	s_add_i32 s23, s23, s24
	s_mul_hi_u32 s25, s7, s26
	s_mul_hi_u32 s27, s3, s26
	s_mul_i32 s24, s3, s26
	s_mul_hi_u32 s26, s7, s23
	s_mul_i32 s7, s7, s23
	s_mul_hi_u32 s28, s3, s23
	s_add_u32 s7, s25, s7
	s_addc_u32 s25, 0, s26
	s_add_u32 s7, s7, s24
	s_mul_i32 s23, s3, s23
	s_addc_u32 s7, s25, s27
	s_addc_u32 s24, s28, 0
	s_add_u32 s7, s7, s23
	s_addc_u32 s23, 0, s24
	v_add_co_u32 v1, s7, v1, s7
	s_delay_alu instid0(VALU_DEP_1) | instskip(SKIP_1) | instid1(VALU_DEP_1)
	s_cmp_lg_u32 s7, 0
	s_addc_u32 s3, s3, s23
	v_readfirstlane_b32 s7, v1
	s_mul_i32 s23, s11, s3
	s_delay_alu instid0(VALU_DEP_1)
	s_mul_hi_u32 s24, s11, s7
	s_mul_i32 s22, s22, s7
	s_add_i32 s23, s24, s23
	s_mul_i32 s11, s11, s7
	s_add_i32 s23, s23, s22
	s_mul_hi_u32 s24, s3, s11
	s_mul_i32 s25, s3, s11
	s_mul_hi_u32 s11, s7, s11
	s_mul_hi_u32 s26, s7, s23
	s_mul_i32 s7, s7, s23
	s_mul_hi_u32 s22, s3, s23
	s_add_u32 s7, s11, s7
	s_addc_u32 s11, 0, s26
	s_add_u32 s7, s7, s25
	s_mul_i32 s23, s3, s23
	s_addc_u32 s7, s11, s24
	s_addc_u32 s11, s22, 0
	s_add_u32 s7, s7, s23
	s_addc_u32 s11, 0, s11
	v_add_co_u32 v1, s7, v1, s7
	s_delay_alu instid0(VALU_DEP_1) | instskip(SKIP_2) | instid1(VALU_DEP_1)
	s_cmp_lg_u32 s7, 0
	s_addc_u32 s3, s3, s11
	s_ashr_i32 s22, s13, 31
	v_readfirstlane_b32 s7, v1
	s_add_u32 s24, s12, s22
	s_mov_b32 s23, s22
	s_addc_u32 s25, s13, s22
	s_delay_alu instid0(SALU_CYCLE_1) | instskip(NEXT) | instid1(SALU_CYCLE_1)
	s_xor_b64 s[24:25], s[24:25], s[22:23]
	s_mul_i32 s13, s24, s3
	s_mul_hi_u32 s26, s24, s7
	s_mul_hi_u32 s11, s24, s3
	;; [unrolled: 1-line block ×3, first 2 shown]
	s_mul_i32 s7, s25, s7
	s_add_u32 s13, s26, s13
	s_addc_u32 s11, 0, s11
	s_mul_hi_u32 s27, s25, s3
	s_add_u32 s7, s13, s7
	s_mul_i32 s3, s25, s3
	s_addc_u32 s7, s11, s28
	s_addc_u32 s11, s27, 0
	s_add_u32 s7, s7, s3
	s_addc_u32 s11, 0, s11
	s_mul_i32 s27, s18, s7
	s_mul_hi_u32 s3, s18, s7
	s_mul_i32 s26, s18, s11
	v_sub_co_u32 v1, s24, s24, s27
	s_mul_i32 s13, s19, s7
	s_add_i32 s3, s3, s26
	s_delay_alu instid0(SALU_CYCLE_1) | instskip(NEXT) | instid1(VALU_DEP_1)
	s_add_i32 s3, s3, s13
	v_sub_co_u32 v2, s26, v1, s18
	s_sub_i32 s13, s25, s3
	s_cmp_lg_u32 s24, 0
	s_subb_u32 s13, s13, s19
	s_cmp_lg_u32 s26, 0
	v_cmp_le_u32_e32 vcc_lo, s18, v2
	s_subb_u32 s13, s13, 0
	s_delay_alu instid0(SALU_CYCLE_1)
	s_cmp_ge_u32 s13, s19
	v_cndmask_b32_e64 v2, 0, -1, vcc_lo
	s_cselect_b32 s26, -1, 0
	s_cmp_eq_u32 s13, s19
	s_cselect_b32 vcc_lo, -1, 0
	s_add_u32 s13, s7, 1
	v_cndmask_b32_e32 v2, s26, v2, vcc_lo
	s_addc_u32 s26, s11, 0
	s_add_u32 s27, s7, 2
	s_addc_u32 s28, s11, 0
	s_cmp_lg_u32 s24, 0
	v_cmp_le_u32_e32 vcc_lo, s18, v1
	s_subb_u32 s3, s25, s3
	v_mov_b32_e32 v16, s27
	s_cmp_ge_u32 s3, s19
	v_cndmask_b32_e64 v1, 0, -1, vcc_lo
	s_cselect_b32 s18, -1, 0
	s_cmp_eq_u32 s3, s19
	v_cmp_ne_u32_e32 vcc_lo, 0, v2
	v_mov_b32_e32 v2, s28
	s_cselect_b32 s3, -1, 0
	s_xor_b64 s[16:17], s[22:23], s[16:17]
	v_cndmask_b32_e64 v1, s18, v1, s3
	v_cndmask_b32_e32 v16, s13, v16, vcc_lo
	v_cndmask_b32_e32 v2, s26, v2, vcc_lo
	s_delay_alu instid0(VALU_DEP_3) | instskip(NEXT) | instid1(VALU_DEP_2)
	v_cmp_ne_u32_e32 vcc_lo, 0, v1
	v_cndmask_b32_e32 v1, s11, v2, vcc_lo
	s_delay_alu instid0(VALU_DEP_4) | instskip(NEXT) | instid1(VALU_DEP_2)
	v_cndmask_b32_e32 v2, s7, v16, vcc_lo
	v_xor_b32_e32 v16, s17, v1
	s_delay_alu instid0(VALU_DEP_2) | instskip(NEXT) | instid1(VALU_DEP_1)
	v_xor_b32_e32 v2, s16, v2
	v_sub_co_u32 v1, vcc_lo, v2, s16
	s_delay_alu instid0(VALU_DEP_3)
	v_subrev_co_ci_u32_e32 v2, vcc_lo, s17, v16, vcc_lo
	s_cbranch_execnz .LBB75_33
.LBB75_32:
	v_cvt_f32_u32_e32 v1, s10
	s_sub_i32 s7, 0, s10
	s_delay_alu instid0(VALU_DEP_1) | instskip(SKIP_2) | instid1(VALU_DEP_1)
	v_rcp_iflag_f32_e32 v1, v1
	s_waitcnt_depctr 0xfff
	v_mul_f32_e32 v1, 0x4f7ffffe, v1
	v_cvt_u32_f32_e32 v1, v1
	s_delay_alu instid0(VALU_DEP_1) | instskip(NEXT) | instid1(VALU_DEP_1)
	v_readfirstlane_b32 s3, v1
	s_mul_i32 s7, s7, s3
	s_delay_alu instid0(SALU_CYCLE_1) | instskip(NEXT) | instid1(SALU_CYCLE_1)
	s_mul_hi_u32 s7, s3, s7
	s_add_i32 s3, s3, s7
	s_delay_alu instid0(SALU_CYCLE_1) | instskip(NEXT) | instid1(SALU_CYCLE_1)
	s_mul_hi_u32 s3, s12, s3
	s_mul_i32 s7, s3, s10
	s_add_i32 s11, s3, 1
	s_sub_i32 s7, s12, s7
	s_delay_alu instid0(SALU_CYCLE_1)
	s_sub_i32 s12, s7, s10
	s_cmp_ge_u32 s7, s10
	s_cselect_b32 s3, s11, s3
	s_cselect_b32 s7, s12, s7
	s_add_i32 s12, s3, 1
	s_cmp_ge_u32 s7, s10
	s_mov_b32 s11, 0
	s_cselect_b32 s10, s12, s3
	s_delay_alu instid0(SALU_CYCLE_1)
	v_dual_mov_b32 v1, s10 :: v_dual_mov_b32 v2, s11
.LBB75_33:
	s_delay_alu instid0(VALU_DEP_1) | instskip(NEXT) | instid1(VALU_DEP_2)
	v_add_co_u32 v1, vcc_lo, v1, v15
	v_add_co_ci_u32_e32 v2, vcc_lo, 0, v2, vcc_lo
	s_branch .LBB75_36
.LBB75_34:
                                        ; implicit-def: $vgpr1_vgpr2
	s_cbranch_execz .LBB75_36
; %bb.35:
	v_mul_lo_u32 v1, v15, s4
	s_delay_alu instid0(VALU_DEP_1) | instskip(SKIP_1) | instid1(VALU_DEP_2)
	v_ashrrev_i32_e32 v2, 31, v1
	v_add_co_u32 v1, vcc_lo, v1, s20
	v_add_co_ci_u32_e32 v2, vcc_lo, 0, v2, vcc_lo
.LBB75_36:
	s_mov_b32 s3, exec_lo
.LBB75_37:
	s_or_b32 exec_lo, exec_lo, s14
	s_delay_alu instid0(SALU_CYCLE_1)
	s_and_b32 vcc_lo, exec_lo, s15
	s_cbranch_vccz .LBB75_41
.LBB75_38:
	v_mov_b32_dpp v1, v13 quad_perm:[1,0,3,2] row_mask:0xf bank_mask:0xf
	s_delay_alu instid0(VALU_DEP_1) | instskip(SKIP_1) | instid1(VALU_DEP_1)
	v_cmp_gt_f32_e32 vcc_lo, v13, v1
	v_cndmask_b32_e32 v1, v1, v13, vcc_lo
	v_mov_b32_dpp v2, v1 quad_perm:[2,3,0,1] row_mask:0xf bank_mask:0xf
	s_delay_alu instid0(VALU_DEP_1) | instskip(SKIP_1) | instid1(VALU_DEP_1)
	v_cmp_gt_f32_e32 vcc_lo, v1, v2
	v_cndmask_b32_e32 v1, v2, v1, vcc_lo
	v_mov_b32_dpp v2, v1 row_xmask:7 row_mask:0xf bank_mask:0xf
	s_delay_alu instid0(VALU_DEP_1) | instskip(SKIP_1) | instid1(VALU_DEP_1)
	v_cmp_gt_f32_e32 vcc_lo, v1, v2
	v_cndmask_b32_e32 v1, v2, v1, vcc_lo
	v_mov_b32_dpp v2, v1 row_xmask:15 row_mask:0xf bank_mask:0xf
	s_delay_alu instid0(VALU_DEP_1)
	v_cmp_gt_f32_e32 vcc_lo, v1, v2
	s_and_saveexec_b32 s3, s2
	s_cbranch_execz .LBB75_40
; %bb.39:
	v_cndmask_b32_e32 v1, v2, v1, vcc_lo
	v_lshrrev_b32_e32 v2, 3, v0
	s_mov_b32 s2, 0x76543210
	s_delay_alu instid0(VALU_DEP_1) | instskip(NEXT) | instid1(VALU_DEP_3)
	v_and_b32_e32 v2, 0x7c, v2
	v_permlanex16_b32 v13, v1, s2, 0xfedcba98 op_sel:[1,1]
	s_delay_alu instid0(VALU_DEP_1)
	v_cmp_gt_f32_e32 vcc_lo, v1, v13
	v_cndmask_b32_e32 v1, v13, v1, vcc_lo
	ds_store_b32 v2, v1
.LBB75_40:
	s_or_b32 exec_lo, exec_lo, s3
	s_waitcnt lgkmcnt(0)
	s_barrier
	buffer_gl0_inv
	ds_load_b32 v1, v8
	v_cmp_eq_u32_e64 s3, 0, v0
	s_waitcnt lgkmcnt(0)
	v_mov_b32_dpp v2, v1 quad_perm:[1,0,3,2] row_mask:0xf bank_mask:0xf
	s_delay_alu instid0(VALU_DEP_1) | instskip(SKIP_1) | instid1(VALU_DEP_1)
	v_cmp_gt_f32_e32 vcc_lo, v1, v2
	v_cndmask_b32_e32 v1, v2, v1, vcc_lo
	v_mov_b32_dpp v2, v1 quad_perm:[2,3,0,1] row_mask:0xf bank_mask:0xf
	s_delay_alu instid0(VALU_DEP_1) | instskip(SKIP_1) | instid1(VALU_DEP_1)
	v_cmp_gt_f32_e32 vcc_lo, v1, v2
	v_cndmask_b32_e32 v1, v2, v1, vcc_lo
	v_mov_b32_dpp v2, v1 row_xmask:7 row_mask:0xf bank_mask:0xf
	s_delay_alu instid0(VALU_DEP_1) | instskip(SKIP_1) | instid1(VALU_DEP_1)
	v_cmp_gt_f32_e32 vcc_lo, v1, v2
	v_cndmask_b32_e32 v1, v2, v1, vcc_lo
	v_dual_mul_f32 v14, 0x3b124925, v1 :: v_dual_mov_b32 v1, s20
	v_mov_b32_e32 v2, s21
.LBB75_41:
	s_and_saveexec_b32 s2, s3
	s_cbranch_execz .LBB75_43
; %bb.42:
	s_delay_alu instid0(VALU_DEP_1) | instskip(NEXT) | instid1(VALU_DEP_1)
	v_lshlrev_b64 v[0:1], 2, v[1:2]
	v_add_co_u32 v0, vcc_lo, s8, v0
	s_delay_alu instid0(VALU_DEP_2)
	v_add_co_ci_u32_e32 v1, vcc_lo, s9, v1, vcc_lo
	global_store_b32 v[0:1], v14, off
.LBB75_43:
	s_or_b32 exec_lo, exec_lo, s2
	;;#ASMSTART
	v_rcp_f32 v0, v14
	;;#ASMEND
	v_dual_mul_f32 v1, v11, v0 :: v_dual_mov_b32 v8, 0xc3e00000
	v_dual_mul_f32 v2, v12, v0 :: v_dual_mov_b32 v11, 0x43e00000
	v_mul_f32_e32 v9, v9, v0
	v_mul_f32_e32 v10, v10, v0
	;;#ASMSTART
	v_med3_f32 v1, v1, v8, v11
v_med3_f32 v2, v2, v8, v11
v_cvt_pk_fp8_f32 v12, v1, v2
	;;#ASMEND
	;;#ASMSTART
	v_med3_f32 v9, v9, v8, v11
v_med3_f32 v10, v10, v8, v11
v_cvt_pk_fp8_f32 v1, v9, v10
	;;#ASMEND
	v_perm_b32 v2, v1, v12, 0x5040100
	v_and_b32_e32 v1, 0xffffff00, v1
	s_load_b64 s[0:1], s[0:1], 0x0
	v_mul_f32_e32 v6, v6, v0
	s_add_i32 s2, s5, 3
	v_lshrrev_b32_e32 v9, 16, v2
	v_mul_f32_e32 v7, v7, v0
	s_ashr_i32 s3, s2, 31
	v_mul_f32_e32 v3, v3, v0
	s_ashr_i32 s4, s6, 31
	v_and_b32_e32 v9, 0xff, v9
	s_lshr_b32 s3, s3, 30
	s_mul_hi_u32 s5, s6, s20
	s_add_i32 s2, s2, s3
	s_mul_i32 s4, s4, s20
	v_or_b32_e32 v1, v9, v1
	v_mul_f32_e32 v0, v4, v0
	;;#ASMSTART
	v_med3_f32 v7, v7, v8, v11
v_med3_f32 v6, v6, v8, v11
v_cvt_pk_fp8_f32 v4, v7, v6
	;;#ASMEND
	s_mul_i32 s3, s6, s20
	s_and_b32 s2, s2, -4
	v_lshlrev_b32_e32 v1, 16, v1
	;;#ASMSTART
	v_med3_f32 v3, v3, v8, v11
v_med3_f32 v0, v0, v8, v11
v_cvt_pk_fp8_f32 v6, v3, v0
	;;#ASMEND
	v_lshlrev_b32_e32 v3, 16, v6
	s_add_i32 s5, s5, s4
	s_waitcnt lgkmcnt(0)
	s_add_u32 s0, s0, s3
	v_and_or_b32 v0, 0xffff, v2, v1
	s_addc_u32 s1, s1, s5
	v_and_or_b32 v1, 0xffff, v4, v3
	s_and_b32 s1, s1, 0xffff
	s_mov_b32 s3, -1
	buffer_store_b64 v[0:1], v5, s[0:3], 0 offen
	;;#ASMSTART
	s_nop 0
	;;#ASMEND
.LBB75_44:
	s_nop 0
	s_sendmsg sendmsg(MSG_DEALLOC_VGPRS)
	s_endpgm
.LBB75_45:
                                        ; implicit-def: $vgpr1_vgpr2
	s_branch .LBB75_32
	.section	.rodata,"a",@progbits
	.p2align	6, 0x0
	.amdhsa_kernel _ZN5aiter24add_rmsnorm_quant_kernelIDF16_DB8_Li256ELi8ELb0ELb1ELb0ELi1EEEvPT0_PT_PfS5_S5_S5_diiiiiiib
		.amdhsa_group_segment_fixed_size 64
		.amdhsa_private_segment_fixed_size 0
		.amdhsa_kernarg_size 88
		.amdhsa_user_sgpr_count 15
		.amdhsa_user_sgpr_dispatch_ptr 0
		.amdhsa_user_sgpr_queue_ptr 0
		.amdhsa_user_sgpr_kernarg_segment_ptr 1
		.amdhsa_user_sgpr_dispatch_id 0
		.amdhsa_user_sgpr_private_segment_size 0
		.amdhsa_wavefront_size32 1
		.amdhsa_uses_dynamic_stack 0
		.amdhsa_enable_private_segment 0
		.amdhsa_system_sgpr_workgroup_id_x 1
		.amdhsa_system_sgpr_workgroup_id_y 0
		.amdhsa_system_sgpr_workgroup_id_z 0
		.amdhsa_system_sgpr_workgroup_info 0
		.amdhsa_system_vgpr_workitem_id 0
		.amdhsa_next_free_vgpr 23
		.amdhsa_next_free_sgpr 29
		.amdhsa_reserve_vcc 1
		.amdhsa_float_round_mode_32 0
		.amdhsa_float_round_mode_16_64 0
		.amdhsa_float_denorm_mode_32 3
		.amdhsa_float_denorm_mode_16_64 3
		.amdhsa_dx10_clamp 1
		.amdhsa_ieee_mode 1
		.amdhsa_fp16_overflow 0
		.amdhsa_workgroup_processor_mode 1
		.amdhsa_memory_ordered 1
		.amdhsa_forward_progress 0
		.amdhsa_shared_vgpr_count 0
		.amdhsa_exception_fp_ieee_invalid_op 0
		.amdhsa_exception_fp_denorm_src 0
		.amdhsa_exception_fp_ieee_div_zero 0
		.amdhsa_exception_fp_ieee_overflow 0
		.amdhsa_exception_fp_ieee_underflow 0
		.amdhsa_exception_fp_ieee_inexact 0
		.amdhsa_exception_int_div_zero 0
	.end_amdhsa_kernel
	.section	.text._ZN5aiter24add_rmsnorm_quant_kernelIDF16_DB8_Li256ELi8ELb0ELb1ELb0ELi1EEEvPT0_PT_PfS5_S5_S5_diiiiiiib,"axG",@progbits,_ZN5aiter24add_rmsnorm_quant_kernelIDF16_DB8_Li256ELi8ELb0ELb1ELb0ELi1EEEvPT0_PT_PfS5_S5_S5_diiiiiiib,comdat
.Lfunc_end75:
	.size	_ZN5aiter24add_rmsnorm_quant_kernelIDF16_DB8_Li256ELi8ELb0ELb1ELb0ELi1EEEvPT0_PT_PfS5_S5_S5_diiiiiiib, .Lfunc_end75-_ZN5aiter24add_rmsnorm_quant_kernelIDF16_DB8_Li256ELi8ELb0ELb1ELb0ELi1EEEvPT0_PT_PfS5_S5_S5_diiiiiiib
                                        ; -- End function
	.section	.AMDGPU.csdata,"",@progbits
; Kernel info:
; codeLenInByte = 3412
; NumSgprs: 31
; NumVgprs: 23
; ScratchSize: 0
; MemoryBound: 0
; FloatMode: 240
; IeeeMode: 1
; LDSByteSize: 64 bytes/workgroup (compile time only)
; SGPRBlocks: 3
; VGPRBlocks: 2
; NumSGPRsForWavesPerEU: 31
; NumVGPRsForWavesPerEU: 23
; Occupancy: 16
; WaveLimiterHint : 0
; COMPUTE_PGM_RSRC2:SCRATCH_EN: 0
; COMPUTE_PGM_RSRC2:USER_SGPR: 15
; COMPUTE_PGM_RSRC2:TRAP_HANDLER: 0
; COMPUTE_PGM_RSRC2:TGID_X_EN: 1
; COMPUTE_PGM_RSRC2:TGID_Y_EN: 0
; COMPUTE_PGM_RSRC2:TGID_Z_EN: 0
; COMPUTE_PGM_RSRC2:TIDIG_COMP_CNT: 0
	.section	.text._ZN5aiter24add_rmsnorm_quant_kernelItDB8_Li256ELi8ELb0ELb1ELb0ELi1EEEvPT0_PT_PfS5_S5_S5_diiiiiiib,"axG",@progbits,_ZN5aiter24add_rmsnorm_quant_kernelItDB8_Li256ELi8ELb0ELb1ELb0ELi1EEEvPT0_PT_PfS5_S5_S5_diiiiiiib,comdat
	.protected	_ZN5aiter24add_rmsnorm_quant_kernelItDB8_Li256ELi8ELb0ELb1ELb0ELi1EEEvPT0_PT_PfS5_S5_S5_diiiiiiib ; -- Begin function _ZN5aiter24add_rmsnorm_quant_kernelItDB8_Li256ELi8ELb0ELb1ELb0ELi1EEEvPT0_PT_PfS5_S5_S5_diiiiiiib
	.globl	_ZN5aiter24add_rmsnorm_quant_kernelItDB8_Li256ELi8ELb0ELb1ELb0ELi1EEEvPT0_PT_PfS5_S5_S5_diiiiiiib
	.p2align	8
	.type	_ZN5aiter24add_rmsnorm_quant_kernelItDB8_Li256ELi8ELb0ELb1ELb0ELi1EEEvPT0_PT_PfS5_S5_S5_diiiiiiib,@function
_ZN5aiter24add_rmsnorm_quant_kernelItDB8_Li256ELi8ELb0ELb1ELb0ELi1EEEvPT0_PT_PfS5_S5_S5_diiiiiiib: ; @_ZN5aiter24add_rmsnorm_quant_kernelItDB8_Li256ELi8ELb0ELb1ELb0ELi1EEEvPT0_PT_PfS5_S5_S5_diiiiiiib
; %bb.0:
	s_load_b128 s[4:7], s[0:1], 0x38
	s_mov_b32 s20, s15
	s_mov_b32 s21, 0
	s_waitcnt lgkmcnt(0)
	s_ashr_i32 s3, s4, 31
	s_mov_b32 s2, s4
	s_delay_alu instid0(SALU_CYCLE_1) | instskip(NEXT) | instid1(VALU_DEP_1)
	v_cmp_ge_i64_e64 s2, s[20:21], s[2:3]
	s_and_b32 vcc_lo, exec_lo, s2
	s_cbranch_vccnz .LBB76_44
; %bb.1:
	s_clause 0x1
	s_load_b128 s[8:11], s[0:1], 0x10
	s_load_b128 s[16:19], s[0:1], 0x28
	s_ashr_i32 s2, s6, 31
	s_mul_hi_u32 s3, s6, s20
	s_mul_i32 s7, s2, s20
	s_mul_i32 s2, s6, s20
	s_add_i32 s3, s3, s7
	v_lshlrev_b32_e32 v1, 4, v0
	s_lshl_b64 s[2:3], s[2:3], 1
	s_mov_b32 s15, -1
	v_and_b32_e32 v15, 31, v0
	s_mov_b32 s27, s15
	s_waitcnt lgkmcnt(0)
	s_add_u32 s12, s10, s2
	s_addc_u32 s2, s11, s3
	s_add_i32 s3, s5, 1
	s_and_b32 s13, s2, 0xffff
	s_lshr_b32 s6, s3, 31
	s_mov_b32 s24, s16
	s_add_i32 s3, s3, s6
	s_and_b32 s25, s17, 0xffff
	s_lshl_b32 s3, s3, 1
	v_cmp_eq_u32_e64 s2, 31, v15
	s_and_b32 s14, s3, -4
	buffer_load_b128 v[10:13], v1, s[12:15], 0 offen glc slc
	s_mov_b32 s26, s14
	s_waitcnt vmcnt(0)
	v_lshrrev_b32_e32 v5, 16, v10
	v_and_b32_e32 v6, 0xffff, v10
	v_lshrrev_b32_e32 v10, 16, v11
	v_lshrrev_b32_e32 v14, 16, v13
	s_delay_alu instid0(VALU_DEP_4) | instskip(NEXT) | instid1(VALU_DEP_4)
	v_cvt_f32_u32_e32 v7, v5
	v_cvt_f32_u32_e32 v8, v6
	s_delay_alu instid0(VALU_DEP_4) | instskip(NEXT) | instid1(VALU_DEP_4)
	v_cvt_f32_u32_e32 v10, v10
	v_cvt_f32_u32_e32 v14, v14
	s_delay_alu instid0(VALU_DEP_4) | instskip(SKIP_2) | instid1(VALU_DEP_1)
	v_mul_f32_e32 v6, v7, v7
	buffer_load_b128 v[1:4], v1, s[24:27], 0 offen
	v_dual_fmac_f32 v6, v8, v8 :: v_dual_and_b32 v5, 0xffff, v11
	v_cvt_f32_u32_e32 v9, v5
	v_and_b32_e32 v5, 0xffff, v12
	v_lshrrev_b32_e32 v12, 16, v12
	s_delay_alu instid0(VALU_DEP_3) | instskip(NEXT) | instid1(VALU_DEP_3)
	v_fmac_f32_e32 v6, v9, v9
	v_cvt_f32_u32_e32 v11, v5
	v_and_b32_e32 v5, 0xffff, v13
	s_delay_alu instid0(VALU_DEP_4) | instskip(NEXT) | instid1(VALU_DEP_4)
	v_cvt_f32_u32_e32 v12, v12
	v_fmac_f32_e32 v6, v10, v10
	s_delay_alu instid0(VALU_DEP_3) | instskip(NEXT) | instid1(VALU_DEP_2)
	v_cvt_f32_u32_e32 v13, v5
	v_fmac_f32_e32 v6, v11, v11
	s_delay_alu instid0(VALU_DEP_1) | instskip(NEXT) | instid1(VALU_DEP_1)
	v_fmac_f32_e32 v6, v12, v12
	v_fmac_f32_e32 v6, v13, v13
	s_delay_alu instid0(VALU_DEP_1) | instskip(NEXT) | instid1(VALU_DEP_1)
	v_fmac_f32_e32 v6, v14, v14
	v_mov_b32_dpp v5, v6 quad_perm:[1,0,3,2] row_mask:0xf bank_mask:0xf
	s_delay_alu instid0(VALU_DEP_1) | instskip(NEXT) | instid1(VALU_DEP_1)
	v_add_f32_e32 v5, v6, v5
	v_mov_b32_dpp v6, v5 quad_perm:[2,3,0,1] row_mask:0xf bank_mask:0xf
	s_delay_alu instid0(VALU_DEP_1) | instskip(NEXT) | instid1(VALU_DEP_1)
	v_add_f32_e32 v5, v5, v6
	v_mov_b32_dpp v6, v5 row_xmask:7 row_mask:0xf bank_mask:0xf
	s_delay_alu instid0(VALU_DEP_1) | instskip(NEXT) | instid1(VALU_DEP_1)
	v_add_f32_e32 v5, v5, v6
	v_mov_b32_dpp v6, v5 row_xmask:15 row_mask:0xf bank_mask:0xf
	s_and_saveexec_b32 s3, s2
	s_cbranch_execz .LBB76_3
; %bb.2:
	s_delay_alu instid0(VALU_DEP_1) | instskip(SKIP_2) | instid1(VALU_DEP_2)
	v_add_f32_e32 v5, v5, v6
	s_mov_b32 s6, 0x76543210
	v_lshrrev_b32_e32 v6, 3, v0
	v_permlanex16_b32 v15, v5, s6, 0xfedcba98 op_sel:[1,1]
	s_delay_alu instid0(VALU_DEP_1)
	v_dual_add_f32 v5, v5, v15 :: v_dual_and_b32 v6, 0x7c, v6
	ds_store_b32 v6, v5 offset:32
.LBB76_3:
	s_or_b32 exec_lo, exec_lo, s3
	v_and_b32_e32 v5, 7, v0
	s_waitcnt vmcnt(0) lgkmcnt(0)
	s_barrier
	buffer_gl0_inv
	v_cvt_f32_i32_e32 v16, s5
	v_lshlrev_b32_e32 v6, 2, v5
	ds_load_b32 v5, v6 offset:32
	s_clause 0x1
	s_load_b64 s[6:7], s[0:1], 0x4c
	s_load_b32 s10, s[0:1], 0x54
	s_waitcnt lgkmcnt(0)
	s_cmp_lg_u32 s7, 0
	v_mov_b32_dpp v15, v5 quad_perm:[1,0,3,2] row_mask:0xf bank_mask:0xf
	s_delay_alu instid0(VALU_DEP_1) | instskip(NEXT) | instid1(VALU_DEP_1)
	v_add_f32_e32 v5, v5, v15
	v_mov_b32_dpp v15, v5 quad_perm:[2,3,0,1] row_mask:0xf bank_mask:0xf
	s_delay_alu instid0(VALU_DEP_1) | instskip(NEXT) | instid1(VALU_DEP_1)
	v_add_f32_e32 v5, v5, v15
	v_mov_b32_dpp v15, v5 row_xmask:7 row_mask:0xf bank_mask:0xf
	s_delay_alu instid0(VALU_DEP_1) | instskip(NEXT) | instid1(VALU_DEP_1)
	v_add_f32_e32 v5, v5, v15
	v_div_scale_f32 v15, null, v16, v16, v5
	v_div_scale_f32 v19, vcc_lo, v5, v16, v5
	s_delay_alu instid0(VALU_DEP_2) | instskip(SKIP_2) | instid1(VALU_DEP_1)
	v_rcp_f32_e32 v17, v15
	s_waitcnt_depctr 0xfff
	v_fma_f32 v18, -v15, v17, 1.0
	v_fmac_f32_e32 v17, v18, v17
	s_delay_alu instid0(VALU_DEP_1) | instskip(NEXT) | instid1(VALU_DEP_1)
	v_mul_f32_e32 v18, v19, v17
	v_fma_f32 v20, -v15, v18, v19
	s_delay_alu instid0(VALU_DEP_1) | instskip(SKIP_1) | instid1(VALU_DEP_2)
	v_fmac_f32_e32 v18, v20, v17
	v_mov_b32_e32 v20, 0x2edbe6ff
	v_fma_f32 v15, -v15, v18, v19
	s_delay_alu instid0(VALU_DEP_1)
	v_div_fmas_f32 v15, v15, v17, v18
	v_and_b32_e32 v18, 0xffff, v3
	v_and_b32_e32 v17, 0xffff, v2
	v_lshrrev_b32_e32 v2, 16, v2
	v_lshrrev_b32_e32 v3, 16, v3
	v_div_fixup_f32 v5, v15, v16, v5
	v_cvt_f32_u32_e32 v18, v18
	s_delay_alu instid0(VALU_DEP_4) | instskip(NEXT) | instid1(VALU_DEP_4)
	v_cvt_f32_u32_e32 v2, v2
	v_cvt_f32_u32_e32 v3, v3
	s_delay_alu instid0(VALU_DEP_4) | instskip(NEXT) | instid1(VALU_DEP_1)
	v_cvt_f64_f32_e32 v[15:16], v5
	v_add_f64 v[15:16], v[15:16], s[18:19]
	s_delay_alu instid0(VALU_DEP_1) | instskip(SKIP_2) | instid1(VALU_DEP_2)
	v_cvt_f32_f64_e32 v5, v[15:16]
	v_and_b32_e32 v16, 0xffff, v1
	v_lshrrev_b32_e32 v1, 16, v1
	v_cvt_f32_u32_e32 v16, v16
	s_delay_alu instid0(VALU_DEP_2) | instskip(SKIP_2) | instid1(VALU_DEP_2)
	v_cvt_f32_u32_e32 v1, v1
	v_mul_f32_e32 v15, 0x4b800000, v5
	v_cmp_gt_f32_e32 vcc_lo, 0x800000, v5
	v_cndmask_b32_e32 v15, v5, v15, vcc_lo
	s_delay_alu instid0(VALU_DEP_1) | instskip(SKIP_2) | instid1(VALU_DEP_1)
	v_rsq_f32_e32 v15, v15
	s_waitcnt_depctr 0xfff
	v_mul_f32_e32 v21, 0x45800000, v15
	v_cndmask_b32_e32 v15, v15, v21, vcc_lo
	s_delay_alu instid0(VALU_DEP_1) | instskip(SKIP_2) | instid1(VALU_DEP_2)
	v_mul_f32_e32 v8, v15, v8
	v_mul_f32_e32 v21, v15, v11
	v_cvt_f32_u32_e32 v17, v17
	v_dual_mul_f32 v11, v8, v16 :: v_dual_mul_f32 v8, v21, v18
	v_dual_mul_f32 v14, v15, v14 :: v_dual_and_b32 v19, 0xffff, v4
	v_lshrrev_b32_e32 v4, 16, v4
	v_mul_f32_e32 v22, v15, v12
	v_dual_mul_f32 v10, v15, v10 :: v_dual_lshlrev_b32 v5, 3, v0
	s_delay_alu instid0(VALU_DEP_4) | instskip(NEXT) | instid1(VALU_DEP_4)
	v_cvt_f32_u32_e32 v19, v19
	v_cvt_f32_u32_e32 v4, v4
	s_delay_alu instid0(VALU_DEP_3) | instskip(NEXT) | instid1(VALU_DEP_2)
	v_dual_mul_f32 v7, v15, v7 :: v_dual_mul_f32 v10, v10, v2
	v_mul_f32_e32 v4, v14, v4
	s_delay_alu instid0(VALU_DEP_2) | instskip(SKIP_4) | instid1(VALU_DEP_4)
	v_mul_f32_e32 v12, v7, v1
	v_mul_f32_e32 v9, v15, v9
	;; [unrolled: 1-line block ×4, first 2 shown]
	v_and_b32_e32 v1, 0x7fffffff, v11
	v_dual_mul_f32 v9, v9, v17 :: v_dual_and_b32 v2, 0x7fffffff, v12
	v_and_b32_e32 v18, 0x7fffffff, v4
	v_and_b32_e32 v16, 0x7fffffff, v7
	v_mul_f32_e32 v3, v13, v19
	;;#ASMSTART
	v_max3_f32 v1, v20, v1, v2

	;;#ASMEND
	v_and_b32_e32 v13, 0x7fffffff, v9
	v_and_b32_e32 v14, 0x7fffffff, v10
	;;#ASMSTART
	v_max3_f32 v1, v1, v13, v14

	;;#ASMEND
	v_and_b32_e32 v15, 0x7fffffff, v8
	v_and_b32_e32 v17, 0x7fffffff, v3
	;;#ASMSTART
	v_max3_f32 v1, v1, v15, v16

	;;#ASMEND
	;;#ASMSTART
	v_max3_f32 v13, v1, v17, v18

	;;#ASMEND
	s_cbranch_scc0 .LBB76_10
; %bb.4:
	s_ashr_i32 s11, s7, 31
	s_delay_alu instid0(SALU_CYCLE_1) | instskip(NEXT) | instid1(SALU_CYCLE_1)
	s_lshr_b32 s3, s11, 29
	s_add_i32 s3, s7, s3
	s_delay_alu instid0(SALU_CYCLE_1) | instskip(NEXT) | instid1(SALU_CYCLE_1)
	s_ashr_i32 s3, s3, 3
	s_cmp_lt_i32 s3, 8
	s_cbranch_scc1 .LBB76_11
; %bb.5:
	s_cmp_lt_i32 s3, 16
	s_cbranch_scc1 .LBB76_12
; %bb.6:
	;; [unrolled: 3-line block ×3, first 2 shown]
	v_mov_b32_e32 v1, v13
	s_cmp_eq_u32 s3, 32
	s_cbranch_scc0 .LBB76_9
; %bb.8:
	s_delay_alu instid0(VALU_DEP_1) | instskip(SKIP_1) | instid1(VALU_DEP_1)
	v_mov_b32_dpp v1, v13 quad_perm:[1,0,3,2] row_mask:0xf bank_mask:0xf
	s_mov_b32 s12, 0x76543210
	v_cmp_gt_f32_e32 vcc_lo, v13, v1
	v_cndmask_b32_e32 v1, v1, v13, vcc_lo
	s_delay_alu instid0(VALU_DEP_1) | instskip(NEXT) | instid1(VALU_DEP_1)
	v_mov_b32_dpp v2, v1 quad_perm:[2,3,0,1] row_mask:0xf bank_mask:0xf
	v_cmp_gt_f32_e32 vcc_lo, v1, v2
	v_cndmask_b32_e32 v1, v2, v1, vcc_lo
	s_delay_alu instid0(VALU_DEP_1) | instskip(NEXT) | instid1(VALU_DEP_1)
	v_mov_b32_dpp v2, v1 row_xmask:7 row_mask:0xf bank_mask:0xf
	v_cmp_gt_f32_e32 vcc_lo, v1, v2
	v_cndmask_b32_e32 v1, v2, v1, vcc_lo
	s_delay_alu instid0(VALU_DEP_1) | instskip(NEXT) | instid1(VALU_DEP_1)
	v_mov_b32_dpp v2, v1 row_xmask:15 row_mask:0xf bank_mask:0xf
	v_cmp_gt_f32_e32 vcc_lo, v1, v2
	v_cndmask_b32_e32 v1, v2, v1, vcc_lo
	s_delay_alu instid0(VALU_DEP_1) | instskip(NEXT) | instid1(VALU_DEP_1)
	v_permlanex16_b32 v2, v1, s12, 0xfedcba98 op_sel:[1,1]
	v_cmp_gt_f32_e32 vcc_lo, v1, v2
	v_cndmask_b32_e32 v1, v2, v1, vcc_lo
.LBB76_9:
	s_mov_b32 s12, 0
	s_branch .LBB76_14
.LBB76_10:
	s_mov_b32 s3, 0
                                        ; implicit-def: $vgpr14
                                        ; implicit-def: $vgpr1_vgpr2
	s_and_b32 vcc_lo, exec_lo, s15
	s_cbranch_vccnz .LBB76_38
	s_branch .LBB76_41
.LBB76_11:
                                        ; implicit-def: $vgpr1
	s_branch .LBB76_21
.LBB76_12:
                                        ; implicit-def: $vgpr1
	s_branch .LBB76_18
.LBB76_13:
	s_mov_b32 s12, -1
                                        ; implicit-def: $vgpr1
.LBB76_14:
	s_delay_alu instid0(SALU_CYCLE_1)
	s_and_not1_b32 vcc_lo, exec_lo, s12
	s_cbranch_vccnz .LBB76_17
; %bb.15:
	v_mov_b32_e32 v1, v13
	s_cmp_eq_u32 s3, 16
	s_cbranch_scc0 .LBB76_17
; %bb.16:
	s_delay_alu instid0(VALU_DEP_1) | instskip(NEXT) | instid1(VALU_DEP_1)
	v_mov_b32_dpp v1, v13 quad_perm:[1,0,3,2] row_mask:0xf bank_mask:0xf
	v_cmp_gt_f32_e32 vcc_lo, v13, v1
	v_cndmask_b32_e32 v1, v1, v13, vcc_lo
	s_delay_alu instid0(VALU_DEP_1) | instskip(NEXT) | instid1(VALU_DEP_1)
	v_mov_b32_dpp v2, v1 quad_perm:[2,3,0,1] row_mask:0xf bank_mask:0xf
	v_cmp_gt_f32_e32 vcc_lo, v1, v2
	v_cndmask_b32_e32 v1, v2, v1, vcc_lo
	s_delay_alu instid0(VALU_DEP_1) | instskip(NEXT) | instid1(VALU_DEP_1)
	v_mov_b32_dpp v2, v1 row_half_mirror row_mask:0xf bank_mask:0xf
	v_cmp_gt_f32_e32 vcc_lo, v1, v2
	v_cndmask_b32_e32 v1, v2, v1, vcc_lo
	s_delay_alu instid0(VALU_DEP_1) | instskip(NEXT) | instid1(VALU_DEP_1)
	v_mov_b32_dpp v2, v1 row_mirror row_mask:0xf bank_mask:0xf
	v_cmp_gt_f32_e32 vcc_lo, v1, v2
	v_cndmask_b32_e32 v1, v2, v1, vcc_lo
.LBB76_17:
	s_cbranch_execnz .LBB76_20
.LBB76_18:
	v_mov_b32_e32 v1, v13
	s_cmp_eq_u32 s3, 8
	s_cbranch_scc0 .LBB76_20
; %bb.19:
	s_delay_alu instid0(VALU_DEP_1) | instskip(NEXT) | instid1(VALU_DEP_1)
	v_mov_b32_dpp v1, v13 quad_perm:[1,0,3,2] row_mask:0xf bank_mask:0xf
	v_cmp_gt_f32_e32 vcc_lo, v13, v1
	v_cndmask_b32_e32 v1, v1, v13, vcc_lo
	s_delay_alu instid0(VALU_DEP_1) | instskip(NEXT) | instid1(VALU_DEP_1)
	v_mov_b32_dpp v2, v1 quad_perm:[2,3,0,1] row_mask:0xf bank_mask:0xf
	v_cmp_gt_f32_e32 vcc_lo, v1, v2
	v_cndmask_b32_e32 v1, v2, v1, vcc_lo
	s_delay_alu instid0(VALU_DEP_1) | instskip(NEXT) | instid1(VALU_DEP_1)
	v_mov_b32_dpp v2, v1 row_half_mirror row_mask:0xf bank_mask:0xf
	v_cmp_gt_f32_e32 vcc_lo, v1, v2
	v_cndmask_b32_e32 v1, v2, v1, vcc_lo
.LBB76_20:
	s_cbranch_execnz .LBB76_28
.LBB76_21:
	s_cmp_lt_i32 s3, 4
	s_cbranch_scc1 .LBB76_24
; %bb.22:
	v_mov_b32_e32 v1, v13
	s_cmp_eq_u32 s3, 4
	s_cbranch_scc0 .LBB76_25
; %bb.23:
	s_delay_alu instid0(VALU_DEP_1) | instskip(NEXT) | instid1(VALU_DEP_1)
	v_mov_b32_dpp v1, v13 quad_perm:[1,0,3,2] row_mask:0xf bank_mask:0xf
	v_cmp_gt_f32_e32 vcc_lo, v13, v1
	v_cndmask_b32_e32 v1, v1, v13, vcc_lo
	s_delay_alu instid0(VALU_DEP_1) | instskip(NEXT) | instid1(VALU_DEP_1)
	v_mov_b32_dpp v2, v1 quad_perm:[2,3,0,1] row_mask:0xf bank_mask:0xf
	v_cmp_gt_f32_e32 vcc_lo, v1, v2
	v_cndmask_b32_e32 v1, v2, v1, vcc_lo
	s_cbranch_execz .LBB76_26
	s_branch .LBB76_28
.LBB76_24:
                                        ; implicit-def: $vgpr1
	s_branch .LBB76_26
.LBB76_25:
	s_cbranch_execnz .LBB76_28
.LBB76_26:
	v_mov_b32_e32 v1, v13
	s_cmp_lg_u32 s3, 2
	s_cbranch_scc1 .LBB76_28
; %bb.27:
	s_delay_alu instid0(VALU_DEP_1) | instskip(NEXT) | instid1(VALU_DEP_1)
	v_mov_b32_dpp v1, v13 quad_perm:[1,0,3,2] row_mask:0xf bank_mask:0xf
	v_cmp_gt_f32_e32 vcc_lo, v13, v1
	v_cndmask_b32_e32 v1, v1, v13, vcc_lo
.LBB76_28:
	v_cvt_f32_u32_e32 v2, s3
	s_sub_i32 s12, 0, s3
	s_mov_b32 s15, 0
	s_delay_alu instid0(VALU_DEP_1) | instskip(SKIP_2) | instid1(VALU_DEP_1)
	v_rcp_iflag_f32_e32 v2, v2
	s_waitcnt_depctr 0xfff
	v_mul_f32_e32 v2, 0x4f7ffffe, v2
	v_cvt_u32_f32_e32 v2, v2
	s_delay_alu instid0(VALU_DEP_1) | instskip(NEXT) | instid1(VALU_DEP_1)
	v_mul_lo_u32 v14, s12, v2
	v_mul_hi_u32 v14, v2, v14
	s_delay_alu instid0(VALU_DEP_1) | instskip(NEXT) | instid1(VALU_DEP_1)
	v_add_nc_u32_e32 v2, v2, v14
	v_mul_hi_u32 v2, v0, v2
	s_delay_alu instid0(VALU_DEP_1) | instskip(NEXT) | instid1(VALU_DEP_1)
	v_mul_lo_u32 v14, v2, s3
	v_sub_nc_u32_e32 v14, v0, v14
	s_delay_alu instid0(VALU_DEP_1) | instskip(SKIP_1) | instid1(VALU_DEP_2)
	v_subrev_nc_u32_e32 v16, s3, v14
	v_cmp_le_u32_e32 vcc_lo, s3, v14
	v_dual_cndmask_b32 v14, v14, v16 :: v_dual_add_nc_u32 v15, 1, v2
	s_delay_alu instid0(VALU_DEP_1) | instskip(NEXT) | instid1(VALU_DEP_2)
	v_cndmask_b32_e32 v2, v2, v15, vcc_lo
	v_cmp_le_u32_e32 vcc_lo, s3, v14
	s_delay_alu instid0(VALU_DEP_2) | instskip(NEXT) | instid1(VALU_DEP_1)
	v_dual_mul_f32 v14, 0x3b124925, v1 :: v_dual_add_nc_u32 v15, 1, v2
	v_cndmask_b32_e32 v15, v2, v15, vcc_lo
	v_cmp_gt_u32_e32 vcc_lo, s5, v5
	s_delay_alu instid0(VALU_DEP_2) | instskip(NEXT) | instid1(VALU_DEP_1)
	v_mul_lo_u32 v2, v15, s3
	v_sub_nc_u32_e32 v2, v0, v2
	s_delay_alu instid0(VALU_DEP_1) | instskip(NEXT) | instid1(VALU_DEP_1)
	v_cmp_eq_u32_e64 s3, 0, v2
                                        ; implicit-def: $vgpr1_vgpr2
	s_and_b32 s12, s3, vcc_lo
	s_mov_b32 s3, 0
	s_and_saveexec_b32 s13, s12
	s_delay_alu instid0(SALU_CYCLE_1)
	s_xor_b32 s14, exec_lo, s13
	s_cbranch_execz .LBB76_37
; %bb.29:
	s_bitcmp0_b32 s10, 0
	s_mov_b32 s16, 0
	s_cbranch_scc0 .LBB76_34
; %bb.30:
	s_ashr_i32 s3, s5, 31
	s_mul_hi_u32 s10, s5, s20
	s_mul_i32 s3, s3, s20
	s_mul_i32 s12, s5, s20
	s_add_i32 s13, s10, s3
	s_mov_b32 s10, s7
	s_delay_alu instid0(SALU_CYCLE_1) | instskip(NEXT) | instid1(SALU_CYCLE_1)
	s_or_b64 s[18:19], s[12:13], s[10:11]
	s_mov_b32 s17, s19
	s_delay_alu instid0(SALU_CYCLE_1)
	s_cmp_lg_u64 s[16:17], 0
	s_cbranch_scc0 .LBB76_45
; %bb.31:
	s_add_u32 s18, s10, s11
	s_mov_b32 s16, s11
	s_mov_b32 s17, s11
	s_addc_u32 s19, s11, s11
	s_delay_alu instid0(SALU_CYCLE_1) | instskip(NEXT) | instid1(SALU_CYCLE_1)
	s_xor_b64 s[18:19], s[18:19], s[16:17]
	v_cvt_f32_u32_e32 v1, s18
	v_cvt_f32_u32_e32 v2, s19
	s_sub_u32 s11, 0, s18
	s_subb_u32 s22, 0, s19
	s_delay_alu instid0(VALU_DEP_1) | instskip(NEXT) | instid1(VALU_DEP_1)
	v_fmamk_f32 v1, v2, 0x4f800000, v1
	v_rcp_f32_e32 v1, v1
	s_waitcnt_depctr 0xfff
	v_mul_f32_e32 v1, 0x5f7ffffc, v1
	s_delay_alu instid0(VALU_DEP_1) | instskip(NEXT) | instid1(VALU_DEP_1)
	v_mul_f32_e32 v2, 0x2f800000, v1
	v_trunc_f32_e32 v2, v2
	s_delay_alu instid0(VALU_DEP_1) | instskip(SKIP_1) | instid1(VALU_DEP_2)
	v_fmamk_f32 v1, v2, 0xcf800000, v1
	v_cvt_u32_f32_e32 v2, v2
	v_cvt_u32_f32_e32 v1, v1
	s_delay_alu instid0(VALU_DEP_2) | instskip(NEXT) | instid1(VALU_DEP_2)
	v_readfirstlane_b32 s3, v2
	v_readfirstlane_b32 s7, v1
	s_delay_alu instid0(VALU_DEP_2) | instskip(NEXT) | instid1(VALU_DEP_1)
	s_mul_i32 s23, s11, s3
	s_mul_hi_u32 s25, s11, s7
	s_mul_i32 s24, s22, s7
	s_add_i32 s23, s25, s23
	s_mul_i32 s26, s11, s7
	s_add_i32 s23, s23, s24
	s_mul_hi_u32 s25, s7, s26
	s_mul_hi_u32 s27, s3, s26
	s_mul_i32 s24, s3, s26
	s_mul_hi_u32 s26, s7, s23
	s_mul_i32 s7, s7, s23
	s_mul_hi_u32 s28, s3, s23
	s_add_u32 s7, s25, s7
	s_addc_u32 s25, 0, s26
	s_add_u32 s7, s7, s24
	s_mul_i32 s23, s3, s23
	s_addc_u32 s7, s25, s27
	s_addc_u32 s24, s28, 0
	s_add_u32 s7, s7, s23
	s_addc_u32 s23, 0, s24
	v_add_co_u32 v1, s7, v1, s7
	s_delay_alu instid0(VALU_DEP_1) | instskip(SKIP_1) | instid1(VALU_DEP_1)
	s_cmp_lg_u32 s7, 0
	s_addc_u32 s3, s3, s23
	v_readfirstlane_b32 s7, v1
	s_mul_i32 s23, s11, s3
	s_delay_alu instid0(VALU_DEP_1)
	s_mul_hi_u32 s24, s11, s7
	s_mul_i32 s22, s22, s7
	s_add_i32 s23, s24, s23
	s_mul_i32 s11, s11, s7
	s_add_i32 s23, s23, s22
	s_mul_hi_u32 s24, s3, s11
	s_mul_i32 s25, s3, s11
	s_mul_hi_u32 s11, s7, s11
	s_mul_hi_u32 s26, s7, s23
	s_mul_i32 s7, s7, s23
	s_mul_hi_u32 s22, s3, s23
	s_add_u32 s7, s11, s7
	s_addc_u32 s11, 0, s26
	s_add_u32 s7, s7, s25
	s_mul_i32 s23, s3, s23
	s_addc_u32 s7, s11, s24
	s_addc_u32 s11, s22, 0
	s_add_u32 s7, s7, s23
	s_addc_u32 s11, 0, s11
	v_add_co_u32 v1, s7, v1, s7
	s_delay_alu instid0(VALU_DEP_1) | instskip(SKIP_2) | instid1(VALU_DEP_1)
	s_cmp_lg_u32 s7, 0
	s_addc_u32 s3, s3, s11
	s_ashr_i32 s22, s13, 31
	v_readfirstlane_b32 s7, v1
	s_add_u32 s24, s12, s22
	s_mov_b32 s23, s22
	s_addc_u32 s25, s13, s22
	s_delay_alu instid0(SALU_CYCLE_1) | instskip(NEXT) | instid1(SALU_CYCLE_1)
	s_xor_b64 s[24:25], s[24:25], s[22:23]
	s_mul_i32 s13, s24, s3
	s_mul_hi_u32 s26, s24, s7
	s_mul_hi_u32 s11, s24, s3
	;; [unrolled: 1-line block ×3, first 2 shown]
	s_mul_i32 s7, s25, s7
	s_add_u32 s13, s26, s13
	s_addc_u32 s11, 0, s11
	s_mul_hi_u32 s27, s25, s3
	s_add_u32 s7, s13, s7
	s_mul_i32 s3, s25, s3
	s_addc_u32 s7, s11, s28
	s_addc_u32 s11, s27, 0
	s_add_u32 s7, s7, s3
	s_addc_u32 s11, 0, s11
	s_mul_i32 s27, s18, s7
	s_mul_hi_u32 s3, s18, s7
	s_mul_i32 s26, s18, s11
	v_sub_co_u32 v1, s24, s24, s27
	s_mul_i32 s13, s19, s7
	s_add_i32 s3, s3, s26
	s_delay_alu instid0(SALU_CYCLE_1) | instskip(NEXT) | instid1(VALU_DEP_1)
	s_add_i32 s3, s3, s13
	v_sub_co_u32 v2, s26, v1, s18
	s_sub_i32 s13, s25, s3
	s_cmp_lg_u32 s24, 0
	s_subb_u32 s13, s13, s19
	s_cmp_lg_u32 s26, 0
	v_cmp_le_u32_e32 vcc_lo, s18, v2
	s_subb_u32 s13, s13, 0
	s_delay_alu instid0(SALU_CYCLE_1)
	s_cmp_ge_u32 s13, s19
	v_cndmask_b32_e64 v2, 0, -1, vcc_lo
	s_cselect_b32 s26, -1, 0
	s_cmp_eq_u32 s13, s19
	s_cselect_b32 vcc_lo, -1, 0
	s_add_u32 s13, s7, 1
	v_cndmask_b32_e32 v2, s26, v2, vcc_lo
	s_addc_u32 s26, s11, 0
	s_add_u32 s27, s7, 2
	s_addc_u32 s28, s11, 0
	s_cmp_lg_u32 s24, 0
	v_cmp_le_u32_e32 vcc_lo, s18, v1
	s_subb_u32 s3, s25, s3
	v_mov_b32_e32 v16, s27
	s_cmp_ge_u32 s3, s19
	v_cndmask_b32_e64 v1, 0, -1, vcc_lo
	s_cselect_b32 s18, -1, 0
	s_cmp_eq_u32 s3, s19
	v_cmp_ne_u32_e32 vcc_lo, 0, v2
	v_mov_b32_e32 v2, s28
	s_cselect_b32 s3, -1, 0
	s_xor_b64 s[16:17], s[22:23], s[16:17]
	v_cndmask_b32_e64 v1, s18, v1, s3
	v_cndmask_b32_e32 v16, s13, v16, vcc_lo
	v_cndmask_b32_e32 v2, s26, v2, vcc_lo
	s_delay_alu instid0(VALU_DEP_3) | instskip(NEXT) | instid1(VALU_DEP_2)
	v_cmp_ne_u32_e32 vcc_lo, 0, v1
	v_cndmask_b32_e32 v1, s11, v2, vcc_lo
	s_delay_alu instid0(VALU_DEP_4) | instskip(NEXT) | instid1(VALU_DEP_2)
	v_cndmask_b32_e32 v2, s7, v16, vcc_lo
	v_xor_b32_e32 v16, s17, v1
	s_delay_alu instid0(VALU_DEP_2) | instskip(NEXT) | instid1(VALU_DEP_1)
	v_xor_b32_e32 v2, s16, v2
	v_sub_co_u32 v1, vcc_lo, v2, s16
	s_delay_alu instid0(VALU_DEP_3)
	v_subrev_co_ci_u32_e32 v2, vcc_lo, s17, v16, vcc_lo
	s_cbranch_execnz .LBB76_33
.LBB76_32:
	v_cvt_f32_u32_e32 v1, s10
	s_sub_i32 s7, 0, s10
	s_delay_alu instid0(VALU_DEP_1) | instskip(SKIP_2) | instid1(VALU_DEP_1)
	v_rcp_iflag_f32_e32 v1, v1
	s_waitcnt_depctr 0xfff
	v_mul_f32_e32 v1, 0x4f7ffffe, v1
	v_cvt_u32_f32_e32 v1, v1
	s_delay_alu instid0(VALU_DEP_1) | instskip(NEXT) | instid1(VALU_DEP_1)
	v_readfirstlane_b32 s3, v1
	s_mul_i32 s7, s7, s3
	s_delay_alu instid0(SALU_CYCLE_1) | instskip(NEXT) | instid1(SALU_CYCLE_1)
	s_mul_hi_u32 s7, s3, s7
	s_add_i32 s3, s3, s7
	s_delay_alu instid0(SALU_CYCLE_1) | instskip(NEXT) | instid1(SALU_CYCLE_1)
	s_mul_hi_u32 s3, s12, s3
	s_mul_i32 s7, s3, s10
	s_add_i32 s11, s3, 1
	s_sub_i32 s7, s12, s7
	s_delay_alu instid0(SALU_CYCLE_1)
	s_sub_i32 s12, s7, s10
	s_cmp_ge_u32 s7, s10
	s_cselect_b32 s3, s11, s3
	s_cselect_b32 s7, s12, s7
	s_add_i32 s12, s3, 1
	s_cmp_ge_u32 s7, s10
	s_mov_b32 s11, 0
	s_cselect_b32 s10, s12, s3
	s_delay_alu instid0(SALU_CYCLE_1)
	v_dual_mov_b32 v1, s10 :: v_dual_mov_b32 v2, s11
.LBB76_33:
	s_delay_alu instid0(VALU_DEP_1) | instskip(NEXT) | instid1(VALU_DEP_2)
	v_add_co_u32 v1, vcc_lo, v1, v15
	v_add_co_ci_u32_e32 v2, vcc_lo, 0, v2, vcc_lo
	s_branch .LBB76_36
.LBB76_34:
                                        ; implicit-def: $vgpr1_vgpr2
	s_cbranch_execz .LBB76_36
; %bb.35:
	v_mul_lo_u32 v1, v15, s4
	s_delay_alu instid0(VALU_DEP_1) | instskip(SKIP_1) | instid1(VALU_DEP_2)
	v_ashrrev_i32_e32 v2, 31, v1
	v_add_co_u32 v1, vcc_lo, v1, s20
	v_add_co_ci_u32_e32 v2, vcc_lo, 0, v2, vcc_lo
.LBB76_36:
	s_mov_b32 s3, exec_lo
.LBB76_37:
	s_or_b32 exec_lo, exec_lo, s14
	s_delay_alu instid0(SALU_CYCLE_1)
	s_and_b32 vcc_lo, exec_lo, s15
	s_cbranch_vccz .LBB76_41
.LBB76_38:
	v_mov_b32_dpp v1, v13 quad_perm:[1,0,3,2] row_mask:0xf bank_mask:0xf
	s_delay_alu instid0(VALU_DEP_1) | instskip(SKIP_1) | instid1(VALU_DEP_1)
	v_cmp_gt_f32_e32 vcc_lo, v13, v1
	v_cndmask_b32_e32 v1, v1, v13, vcc_lo
	v_mov_b32_dpp v2, v1 quad_perm:[2,3,0,1] row_mask:0xf bank_mask:0xf
	s_delay_alu instid0(VALU_DEP_1) | instskip(SKIP_1) | instid1(VALU_DEP_1)
	v_cmp_gt_f32_e32 vcc_lo, v1, v2
	v_cndmask_b32_e32 v1, v2, v1, vcc_lo
	v_mov_b32_dpp v2, v1 row_xmask:7 row_mask:0xf bank_mask:0xf
	s_delay_alu instid0(VALU_DEP_1) | instskip(SKIP_1) | instid1(VALU_DEP_1)
	v_cmp_gt_f32_e32 vcc_lo, v1, v2
	v_cndmask_b32_e32 v1, v2, v1, vcc_lo
	v_mov_b32_dpp v2, v1 row_xmask:15 row_mask:0xf bank_mask:0xf
	s_delay_alu instid0(VALU_DEP_1)
	v_cmp_gt_f32_e32 vcc_lo, v1, v2
	s_and_saveexec_b32 s3, s2
	s_cbranch_execz .LBB76_40
; %bb.39:
	v_cndmask_b32_e32 v1, v2, v1, vcc_lo
	v_lshrrev_b32_e32 v2, 3, v0
	s_mov_b32 s2, 0x76543210
	s_delay_alu instid0(VALU_DEP_1) | instskip(NEXT) | instid1(VALU_DEP_3)
	v_and_b32_e32 v2, 0x7c, v2
	v_permlanex16_b32 v13, v1, s2, 0xfedcba98 op_sel:[1,1]
	s_delay_alu instid0(VALU_DEP_1)
	v_cmp_gt_f32_e32 vcc_lo, v1, v13
	v_cndmask_b32_e32 v1, v13, v1, vcc_lo
	ds_store_b32 v2, v1
.LBB76_40:
	s_or_b32 exec_lo, exec_lo, s3
	s_waitcnt lgkmcnt(0)
	s_barrier
	buffer_gl0_inv
	ds_load_b32 v1, v6
	v_cmp_eq_u32_e64 s3, 0, v0
	s_waitcnt lgkmcnt(0)
	v_mov_b32_dpp v2, v1 quad_perm:[1,0,3,2] row_mask:0xf bank_mask:0xf
	s_delay_alu instid0(VALU_DEP_1) | instskip(SKIP_1) | instid1(VALU_DEP_1)
	v_cmp_gt_f32_e32 vcc_lo, v1, v2
	v_cndmask_b32_e32 v1, v2, v1, vcc_lo
	v_mov_b32_dpp v2, v1 quad_perm:[2,3,0,1] row_mask:0xf bank_mask:0xf
	s_delay_alu instid0(VALU_DEP_1) | instskip(SKIP_1) | instid1(VALU_DEP_1)
	v_cmp_gt_f32_e32 vcc_lo, v1, v2
	v_cndmask_b32_e32 v1, v2, v1, vcc_lo
	v_mov_b32_dpp v2, v1 row_xmask:7 row_mask:0xf bank_mask:0xf
	s_delay_alu instid0(VALU_DEP_1) | instskip(SKIP_1) | instid1(VALU_DEP_1)
	v_cmp_gt_f32_e32 vcc_lo, v1, v2
	v_cndmask_b32_e32 v1, v2, v1, vcc_lo
	v_dual_mul_f32 v14, 0x3b124925, v1 :: v_dual_mov_b32 v1, s20
	v_mov_b32_e32 v2, s21
.LBB76_41:
	s_and_saveexec_b32 s2, s3
	s_cbranch_execz .LBB76_43
; %bb.42:
	s_delay_alu instid0(VALU_DEP_1) | instskip(NEXT) | instid1(VALU_DEP_1)
	v_lshlrev_b64 v[0:1], 2, v[1:2]
	v_add_co_u32 v0, vcc_lo, s8, v0
	s_delay_alu instid0(VALU_DEP_2)
	v_add_co_ci_u32_e32 v1, vcc_lo, s9, v1, vcc_lo
	global_store_b32 v[0:1], v14, off
.LBB76_43:
	s_or_b32 exec_lo, exec_lo, s2
	;;#ASMSTART
	v_rcp_f32 v0, v14
	;;#ASMEND
	v_dual_mul_f32 v1, v11, v0 :: v_dual_mov_b32 v6, 0xc3e00000
	v_dual_mul_f32 v2, v12, v0 :: v_dual_mov_b32 v11, 0x43e00000
	v_mul_f32_e32 v9, v9, v0
	v_mul_f32_e32 v10, v10, v0
	;;#ASMSTART
	v_med3_f32 v1, v1, v6, v11
v_med3_f32 v2, v2, v6, v11
v_cvt_pk_fp8_f32 v12, v1, v2
	;;#ASMEND
	;;#ASMSTART
	v_med3_f32 v9, v9, v6, v11
v_med3_f32 v10, v10, v6, v11
v_cvt_pk_fp8_f32 v1, v9, v10
	;;#ASMEND
	v_perm_b32 v2, v1, v12, 0x5040100
	v_and_b32_e32 v1, 0xffffff00, v1
	s_load_b64 s[0:1], s[0:1], 0x0
	v_mul_f32_e32 v8, v8, v0
	s_add_i32 s2, s5, 3
	v_lshrrev_b32_e32 v9, 16, v2
	s_ashr_i32 s3, s2, 31
	v_mul_f32_e32 v7, v7, v0
	v_mul_f32_e32 v3, v3, v0
	s_ashr_i32 s4, s6, 31
	v_and_b32_e32 v9, 0xff, v9
	s_lshr_b32 s3, s3, 30
	s_mul_hi_u32 s5, s6, s20
	s_add_i32 s2, s2, s3
	s_mul_i32 s4, s4, s20
	v_or_b32_e32 v1, v9, v1
	v_mul_f32_e32 v0, v4, v0
	;;#ASMSTART
	v_med3_f32 v8, v8, v6, v11
v_med3_f32 v7, v7, v6, v11
v_cvt_pk_fp8_f32 v4, v8, v7
	;;#ASMEND
	s_mul_i32 s3, s6, s20
	s_and_b32 s2, s2, -4
	v_lshlrev_b32_e32 v1, 16, v1
	;;#ASMSTART
	v_med3_f32 v3, v3, v6, v11
v_med3_f32 v0, v0, v6, v11
v_cvt_pk_fp8_f32 v6, v3, v0
	;;#ASMEND
	v_lshlrev_b32_e32 v3, 16, v6
	s_add_i32 s5, s5, s4
	s_waitcnt lgkmcnt(0)
	s_add_u32 s0, s0, s3
	v_and_or_b32 v0, 0xffff, v2, v1
	s_addc_u32 s1, s1, s5
	v_and_or_b32 v1, 0xffff, v4, v3
	s_and_b32 s1, s1, 0xffff
	s_mov_b32 s3, -1
	buffer_store_b64 v[0:1], v5, s[0:3], 0 offen
	;;#ASMSTART
	s_nop 0
	;;#ASMEND
.LBB76_44:
	s_nop 0
	s_sendmsg sendmsg(MSG_DEALLOC_VGPRS)
	s_endpgm
.LBB76_45:
                                        ; implicit-def: $vgpr1_vgpr2
	s_branch .LBB76_32
	.section	.rodata,"a",@progbits
	.p2align	6, 0x0
	.amdhsa_kernel _ZN5aiter24add_rmsnorm_quant_kernelItDB8_Li256ELi8ELb0ELb1ELb0ELi1EEEvPT0_PT_PfS5_S5_S5_diiiiiiib
		.amdhsa_group_segment_fixed_size 64
		.amdhsa_private_segment_fixed_size 0
		.amdhsa_kernarg_size 88
		.amdhsa_user_sgpr_count 15
		.amdhsa_user_sgpr_dispatch_ptr 0
		.amdhsa_user_sgpr_queue_ptr 0
		.amdhsa_user_sgpr_kernarg_segment_ptr 1
		.amdhsa_user_sgpr_dispatch_id 0
		.amdhsa_user_sgpr_private_segment_size 0
		.amdhsa_wavefront_size32 1
		.amdhsa_uses_dynamic_stack 0
		.amdhsa_enable_private_segment 0
		.amdhsa_system_sgpr_workgroup_id_x 1
		.amdhsa_system_sgpr_workgroup_id_y 0
		.amdhsa_system_sgpr_workgroup_id_z 0
		.amdhsa_system_sgpr_workgroup_info 0
		.amdhsa_system_vgpr_workitem_id 0
		.amdhsa_next_free_vgpr 23
		.amdhsa_next_free_sgpr 29
		.amdhsa_reserve_vcc 1
		.amdhsa_float_round_mode_32 0
		.amdhsa_float_round_mode_16_64 0
		.amdhsa_float_denorm_mode_32 3
		.amdhsa_float_denorm_mode_16_64 3
		.amdhsa_dx10_clamp 1
		.amdhsa_ieee_mode 1
		.amdhsa_fp16_overflow 0
		.amdhsa_workgroup_processor_mode 1
		.amdhsa_memory_ordered 1
		.amdhsa_forward_progress 0
		.amdhsa_shared_vgpr_count 0
		.amdhsa_exception_fp_ieee_invalid_op 0
		.amdhsa_exception_fp_denorm_src 0
		.amdhsa_exception_fp_ieee_div_zero 0
		.amdhsa_exception_fp_ieee_overflow 0
		.amdhsa_exception_fp_ieee_underflow 0
		.amdhsa_exception_fp_ieee_inexact 0
		.amdhsa_exception_int_div_zero 0
	.end_amdhsa_kernel
	.section	.text._ZN5aiter24add_rmsnorm_quant_kernelItDB8_Li256ELi8ELb0ELb1ELb0ELi1EEEvPT0_PT_PfS5_S5_S5_diiiiiiib,"axG",@progbits,_ZN5aiter24add_rmsnorm_quant_kernelItDB8_Li256ELi8ELb0ELb1ELb0ELi1EEEvPT0_PT_PfS5_S5_S5_diiiiiiib,comdat
.Lfunc_end76:
	.size	_ZN5aiter24add_rmsnorm_quant_kernelItDB8_Li256ELi8ELb0ELb1ELb0ELi1EEEvPT0_PT_PfS5_S5_S5_diiiiiiib, .Lfunc_end76-_ZN5aiter24add_rmsnorm_quant_kernelItDB8_Li256ELi8ELb0ELb1ELb0ELi1EEEvPT0_PT_PfS5_S5_S5_diiiiiiib
                                        ; -- End function
	.section	.AMDGPU.csdata,"",@progbits
; Kernel info:
; codeLenInByte = 3460
; NumSgprs: 31
; NumVgprs: 23
; ScratchSize: 0
; MemoryBound: 0
; FloatMode: 240
; IeeeMode: 1
; LDSByteSize: 64 bytes/workgroup (compile time only)
; SGPRBlocks: 3
; VGPRBlocks: 2
; NumSGPRsForWavesPerEU: 31
; NumVGPRsForWavesPerEU: 23
; Occupancy: 16
; WaveLimiterHint : 0
; COMPUTE_PGM_RSRC2:SCRATCH_EN: 0
; COMPUTE_PGM_RSRC2:USER_SGPR: 15
; COMPUTE_PGM_RSRC2:TRAP_HANDLER: 0
; COMPUTE_PGM_RSRC2:TGID_X_EN: 1
; COMPUTE_PGM_RSRC2:TGID_Y_EN: 0
; COMPUTE_PGM_RSRC2:TGID_Z_EN: 0
; COMPUTE_PGM_RSRC2:TIDIG_COMP_CNT: 0
	.section	.text._ZN5aiter24add_rmsnorm_quant_kernelIDF16_DB8_Li256ELi16ELb0ELb1ELb1ELi1EEEvPT0_PT_PfS5_S5_S5_diiiiiiib,"axG",@progbits,_ZN5aiter24add_rmsnorm_quant_kernelIDF16_DB8_Li256ELi16ELb0ELb1ELb1ELi1EEEvPT0_PT_PfS5_S5_S5_diiiiiiib,comdat
	.protected	_ZN5aiter24add_rmsnorm_quant_kernelIDF16_DB8_Li256ELi16ELb0ELb1ELb1ELi1EEEvPT0_PT_PfS5_S5_S5_diiiiiiib ; -- Begin function _ZN5aiter24add_rmsnorm_quant_kernelIDF16_DB8_Li256ELi16ELb0ELb1ELb1ELi1EEEvPT0_PT_PfS5_S5_S5_diiiiiiib
	.globl	_ZN5aiter24add_rmsnorm_quant_kernelIDF16_DB8_Li256ELi16ELb0ELb1ELb1ELi1EEEvPT0_PT_PfS5_S5_S5_diiiiiiib
	.p2align	8
	.type	_ZN5aiter24add_rmsnorm_quant_kernelIDF16_DB8_Li256ELi16ELb0ELb1ELb1ELi1EEEvPT0_PT_PfS5_S5_S5_diiiiiiib,@function
_ZN5aiter24add_rmsnorm_quant_kernelIDF16_DB8_Li256ELi16ELb0ELb1ELb1ELi1EEEvPT0_PT_PfS5_S5_S5_diiiiiiib: ; @_ZN5aiter24add_rmsnorm_quant_kernelIDF16_DB8_Li256ELi16ELb0ELb1ELb1ELi1EEEvPT0_PT_PfS5_S5_S5_diiiiiiib
; %bb.0:
	s_load_b128 s[4:7], s[0:1], 0x38
	s_mov_b32 s20, s15
	s_mov_b32 s21, 0
	s_waitcnt lgkmcnt(0)
	s_ashr_i32 s3, s4, 31
	s_mov_b32 s2, s4
	s_delay_alu instid0(SALU_CYCLE_1) | instskip(NEXT) | instid1(VALU_DEP_1)
	v_cmp_ge_i64_e64 s2, s[20:21], s[2:3]
	s_and_b32 vcc_lo, exec_lo, s2
	s_cbranch_vccnz .LBB77_44
; %bb.1:
	s_clause 0x1
	s_load_b128 s[8:11], s[0:1], 0x10
	s_load_b128 s[16:19], s[0:1], 0x28
	v_lshlrev_b32_e32 v22, 4, v0
	s_ashr_i32 s2, s6, 31
	s_mul_hi_u32 s3, s6, s20
	s_mul_i32 s7, s2, s20
	v_lshlrev_b32_e32 v1, 3, v0
	v_and_b32_e32 v2, 0x3e00, v22
	s_mul_i32 s2, s6, s20
	s_add_i32 s3, s3, s7
	s_mov_b32 s15, -1
	s_lshl_b64 s[2:3], s[2:3], 1
	v_and_or_b32 v9, 0xf8, v1, v2
	s_mov_b32 s27, s15
	s_delay_alu instid0(VALU_DEP_1)
	v_lshlrev_b32_e32 v1, 1, v9
	s_waitcnt lgkmcnt(0)
	s_add_u32 s12, s10, s2
	s_addc_u32 s2, s11, s3
	s_add_i32 s3, s5, 1
	s_and_b32 s13, s2, 0xffff
	s_lshr_b32 s6, s3, 31
	s_movk_i32 s2, 0x200
	s_add_i32 s3, s3, s6
	s_mov_b32 s24, s16
	s_lshl_b32 s3, s3, 1
	s_and_b32 s25, s17, 0xffff
	s_and_b32 s14, s3, -4
	s_clause 0x1
	buffer_load_b128 v[13:16], v1, s[12:15], 0 offen glc slc
	buffer_load_b128 v[17:20], v1, s[12:15], s2 offen glc slc
	s_mov_b32 s26, s14
	s_waitcnt vmcnt(1)
	v_lshrrev_b32_e32 v10, 16, v13
	v_cvt_f32_f16_e32 v12, v14
	v_lshrrev_b32_e32 v23, 16, v15
	v_lshrrev_b32_e32 v25, 16, v16
	s_waitcnt vmcnt(0)
	v_lshrrev_b32_e32 v28, 16, v17
	v_cvt_f32_f16_e32 v11, v10
	v_lshrrev_b32_e32 v30, 16, v18
	v_lshrrev_b32_e32 v31, 16, v19
	v_cvt_f32_f16_e32 v26, v23
	s_delay_alu instid0(VALU_DEP_4) | instskip(NEXT) | instid1(VALU_DEP_4)
	v_mul_f32_e32 v10, v11, v11
	v_cvt_f32_f16_e32 v23, v30
	s_delay_alu instid0(VALU_DEP_2) | instskip(SKIP_1) | instid1(VALU_DEP_2)
	v_fma_mix_f32 v10, v13, v13, v10 op_sel_hi:[1,1,0]
	v_cvt_f32_f16_e32 v13, v13
	v_fma_mix_f32 v10, v14, v14, v10 op_sel_hi:[1,1,0]
	s_delay_alu instid0(VALU_DEP_1) | instskip(NEXT) | instid1(VALU_DEP_1)
	v_fma_mix_f32 v10, v14, v14, v10 op_sel:[1,1,0] op_sel_hi:[1,1,0]
	v_fma_mix_f32 v10, v15, v15, v10 op_sel_hi:[1,1,0]
	s_delay_alu instid0(VALU_DEP_1) | instskip(NEXT) | instid1(VALU_DEP_1)
	v_fma_mix_f32 v10, v15, v15, v10 op_sel:[1,1,0] op_sel_hi:[1,1,0]
	;; [unrolled: 3-line block ×7, first 2 shown]
	v_mov_b32_dpp v21, v10 quad_perm:[1,0,3,2] row_mask:0xf bank_mask:0xf
	s_delay_alu instid0(VALU_DEP_1)
	v_dual_add_f32 v10, v10, v21 :: v_dual_and_b32 v29, 31, v0
	v_lshrrev_b32_e32 v21, 16, v14
	v_cvt_f32_f16_e32 v14, v15
	v_cvt_f32_f16_e32 v15, v16
	;; [unrolled: 1-line block ×3, first 2 shown]
	v_mov_b32_dpp v24, v10 quad_perm:[2,3,0,1] row_mask:0xf bank_mask:0xf
	v_cvt_f32_f16_e32 v17, v18
	v_cvt_f32_f16_e32 v18, v19
	;; [unrolled: 1-line block ×3, first 2 shown]
	v_lshrrev_b32_e32 v20, 16, v20
	v_add_f32_e32 v10, v10, v24
	s_clause 0x1
	buffer_load_b128 v[5:8], v1, s[24:27], 0 offen
	buffer_load_b128 v[1:4], v1, s[24:27], s2 offen
	v_cvt_f32_f16_e32 v27, v21
	v_cvt_f32_f16_e32 v24, v25
	v_cvt_f32_f16_e32 v25, v28
	v_mov_b32_dpp v32, v10 row_xmask:7 row_mask:0xf bank_mask:0xf
	v_cvt_f32_f16_e32 v21, v31
	v_cvt_f32_f16_e32 v20, v20
	v_cmp_eq_u32_e64 s2, 31, v29
	s_delay_alu instid0(VALU_DEP_4) | instskip(NEXT) | instid1(VALU_DEP_1)
	v_add_f32_e32 v10, v10, v32
	v_mov_b32_dpp v28, v10 row_xmask:15 row_mask:0xf bank_mask:0xf
	s_delay_alu instid0(VALU_DEP_3)
	s_and_saveexec_b32 s3, s2
	s_cbranch_execz .LBB77_3
; %bb.2:
	s_delay_alu instid0(VALU_DEP_1) | instskip(SKIP_2) | instid1(VALU_DEP_2)
	v_add_f32_e32 v10, v10, v28
	s_mov_b32 s6, 0x76543210
	v_lshrrev_b32_e32 v28, 3, v0
	v_permlanex16_b32 v29, v10, s6, 0xfedcba98 op_sel:[1,1]
	s_delay_alu instid0(VALU_DEP_2) | instskip(NEXT) | instid1(VALU_DEP_2)
	v_and_b32_e32 v28, 0x7c, v28
	v_add_f32_e32 v10, v10, v29
	ds_store_b32 v28, v10 offset:32
.LBB77_3:
	s_or_b32 exec_lo, exec_lo, s3
	v_and_b32_e32 v10, 7, v0
	s_waitcnt vmcnt(0) lgkmcnt(0)
	s_barrier
	buffer_gl0_inv
	v_cvt_f32_i32_e32 v30, s5
	v_dual_mov_b32 v37, 0x2edbe6ff :: v_dual_lshlrev_b32 v10, 2, v10
	v_cvt_f32_f16_e32 v35, v3
	v_lshrrev_b32_e32 v3, 16, v3
	v_cvt_f32_f16_e32 v36, v4
	ds_load_b32 v28, v10 offset:32
	s_clause 0x1
	s_load_b64 s[6:7], s[0:1], 0x4c
	s_load_b32 s10, s[0:1], 0x54
	v_lshrrev_b32_e32 v4, 16, v4
	v_cvt_f32_f16_e32 v3, v3
	s_delay_alu instid0(VALU_DEP_2) | instskip(SKIP_3) | instid1(VALU_DEP_1)
	v_cvt_f32_f16_e32 v4, v4
	s_waitcnt lgkmcnt(0)
	s_cmp_lg_u32 s7, 0
	v_mov_b32_dpp v29, v28 quad_perm:[1,0,3,2] row_mask:0xf bank_mask:0xf
	v_add_f32_e32 v28, v28, v29
	s_delay_alu instid0(VALU_DEP_1) | instskip(NEXT) | instid1(VALU_DEP_1)
	v_mov_b32_dpp v29, v28 quad_perm:[2,3,0,1] row_mask:0xf bank_mask:0xf
	v_add_f32_e32 v28, v28, v29
	s_delay_alu instid0(VALU_DEP_1) | instskip(NEXT) | instid1(VALU_DEP_1)
	v_mov_b32_dpp v29, v28 row_xmask:7 row_mask:0xf bank_mask:0xf
	v_add_f32_e32 v28, v28, v29
	s_delay_alu instid0(VALU_DEP_1) | instskip(SKIP_1) | instid1(VALU_DEP_2)
	v_div_scale_f32 v29, null, v30, v30, v28
	v_div_scale_f32 v33, vcc_lo, v28, v30, v28
	v_rcp_f32_e32 v31, v29
	s_waitcnt_depctr 0xfff
	v_fma_f32 v32, -v29, v31, 1.0
	s_delay_alu instid0(VALU_DEP_1) | instskip(NEXT) | instid1(VALU_DEP_1)
	v_fmac_f32_e32 v31, v32, v31
	v_mul_f32_e32 v32, v33, v31
	s_delay_alu instid0(VALU_DEP_1) | instskip(NEXT) | instid1(VALU_DEP_1)
	v_fma_f32 v34, -v29, v32, v33
	v_fmac_f32_e32 v32, v34, v31
	v_cvt_f32_f16_e32 v34, v2
	v_lshrrev_b32_e32 v2, 16, v2
	s_delay_alu instid0(VALU_DEP_3) | instskip(SKIP_2) | instid1(VALU_DEP_4)
	v_fma_f32 v29, -v29, v32, v33
	v_cvt_f32_f16_e32 v33, v1
	v_lshrrev_b32_e32 v1, 16, v1
	v_cvt_f32_f16_e32 v2, v2
	s_delay_alu instid0(VALU_DEP_4)
	v_div_fmas_f32 v29, v29, v31, v32
	v_cvt_f32_f16_e32 v31, v6
	v_lshrrev_b32_e32 v6, 16, v6
	v_cvt_f32_f16_e32 v1, v1
	v_cvt_f32_f16_e32 v32, v8
	v_div_fixup_f32 v28, v29, v30, v28
	v_lshrrev_b32_e32 v8, 16, v8
	v_cvt_f32_f16_e32 v6, v6
	s_delay_alu instid0(VALU_DEP_3) | instskip(NEXT) | instid1(VALU_DEP_3)
	v_cvt_f64_f32_e32 v[28:29], v28
	v_cvt_f32_f16_e32 v8, v8
	s_delay_alu instid0(VALU_DEP_2) | instskip(NEXT) | instid1(VALU_DEP_1)
	v_add_f64 v[28:29], v[28:29], s[18:19]
	v_cvt_f32_f64_e32 v28, v[28:29]
	v_cvt_f32_f16_e32 v29, v5
	v_lshrrev_b32_e32 v5, 16, v5
	s_delay_alu instid0(VALU_DEP_1) | instskip(NEXT) | instid1(VALU_DEP_4)
	v_cvt_f32_f16_e32 v5, v5
	v_mul_f32_e32 v30, 0x4b800000, v28
	v_cmp_gt_f32_e32 vcc_lo, 0x800000, v28
	s_delay_alu instid0(VALU_DEP_2) | instskip(SKIP_2) | instid1(VALU_DEP_3)
	v_cndmask_b32_e32 v28, v28, v30, vcc_lo
	v_cvt_f32_f16_e32 v30, v7
	v_lshrrev_b32_e32 v7, 16, v7
	v_rsq_f32_e32 v28, v28
	s_delay_alu instid0(VALU_DEP_1) | instskip(SKIP_2) | instid1(VALU_DEP_1)
	v_cvt_f32_f16_e32 v7, v7
	s_waitcnt_depctr 0xfff
	v_mul_f32_e32 v38, 0x45800000, v28
	v_cndmask_b32_e32 v28, v28, v38, vcc_lo
	s_delay_alu instid0(VALU_DEP_1)
	v_mul_f32_e32 v13, v28, v13
	v_mul_f32_e32 v27, v28, v27
	;; [unrolled: 1-line block ×5, first 2 shown]
	v_dual_mul_f32 v19, v13, v29 :: v_dual_mul_f32 v12, v28, v12
	v_mul_f32_e32 v11, v28, v11
	v_mul_f32_e32 v23, v28, v23
	;; [unrolled: 1-line block ×10, first 2 shown]
	v_dual_mul_f32 v39, v28, v16 :: v_dual_mul_f32 v6, v21, v3
	v_and_b32_e32 v21, 0x7fffffff, v17
	s_delay_alu instid0(VALU_DEP_4)
	v_dual_mul_f32 v14, v28, v14 :: v_dual_and_b32 v29, 0x7fffffff, v12
	v_mul_f32_e32 v3, v42, v36
	v_mul_f32_e32 v28, v28, v20
	;; [unrolled: 1-line block ×4, first 2 shown]
	v_dual_mul_f32 v15, v14, v30 :: v_dual_mul_f32 v14, v24, v8
	v_mul_f32_e32 v8, v23, v2
	v_and_b32_e32 v23, 0x7fffffff, v18
	v_mul_f32_e32 v13, v38, v32
	v_mul_f32_e32 v11, v39, v33
	v_and_b32_e32 v1, 0x7fffffff, v19
	v_and_b32_e32 v2, 0x7fffffff, v20
	;; [unrolled: 1-line block ×3, first 2 shown]
	v_mul_f32_e32 v7, v40, v34
	;;#ASMSTART
	v_max3_f32 v1, v37, v1, v2

	;;#ASMEND
	v_mul_f32_e32 v5, v41, v35
	v_and_b32_e32 v31, 0x7fffffff, v8
	v_dual_mul_f32 v4, v28, v4 :: v_dual_and_b32 v33, 0x7fffffff, v6
	;;#ASMSTART
	v_max3_f32 v1, v1, v21, v23

	;;#ASMEND
	v_and_b32_e32 v24, 0x7fffffff, v15
	;;#ASMSTART
	v_max3_f32 v1, v1, v24, v25

	;;#ASMEND
	v_and_b32_e32 v26, 0x7fffffff, v13
	v_and_b32_e32 v27, 0x7fffffff, v14
	;;#ASMSTART
	v_max3_f32 v1, v1, v26, v27

	;;#ASMEND
	v_and_b32_e32 v28, 0x7fffffff, v11
	;;#ASMSTART
	v_max3_f32 v1, v1, v28, v29

	;;#ASMEND
	;; [unrolled: 5-line block ×3, first 2 shown]
	v_and_b32_e32 v32, 0x7fffffff, v5
	v_and_b32_e32 v34, 0x7fffffff, v3
	;; [unrolled: 1-line block ×3, first 2 shown]
	;;#ASMSTART
	v_max3_f32 v1, v1, v32, v33

	;;#ASMEND
	;;#ASMSTART
	v_max3_f32 v21, v1, v34, v35

	;;#ASMEND
	s_cbranch_scc0 .LBB77_10
; %bb.4:
	s_ashr_i32 s11, s7, 31
	s_delay_alu instid0(SALU_CYCLE_1) | instskip(NEXT) | instid1(SALU_CYCLE_1)
	s_lshr_b32 s3, s11, 28
	s_add_i32 s3, s7, s3
	s_delay_alu instid0(SALU_CYCLE_1) | instskip(NEXT) | instid1(SALU_CYCLE_1)
	s_ashr_i32 s3, s3, 4
	s_cmp_lt_i32 s3, 8
	s_cbranch_scc1 .LBB77_11
; %bb.5:
	s_cmp_lt_i32 s3, 16
	s_cbranch_scc1 .LBB77_12
; %bb.6:
	;; [unrolled: 3-line block ×3, first 2 shown]
	v_mov_b32_e32 v1, v21
	s_cmp_eq_u32 s3, 32
	s_cbranch_scc0 .LBB77_9
; %bb.8:
	s_delay_alu instid0(VALU_DEP_1) | instskip(SKIP_1) | instid1(VALU_DEP_1)
	v_mov_b32_dpp v1, v21 quad_perm:[1,0,3,2] row_mask:0xf bank_mask:0xf
	s_mov_b32 s12, 0x76543210
	v_cmp_gt_f32_e32 vcc_lo, v21, v1
	v_cndmask_b32_e32 v1, v1, v21, vcc_lo
	s_delay_alu instid0(VALU_DEP_1) | instskip(NEXT) | instid1(VALU_DEP_1)
	v_mov_b32_dpp v2, v1 quad_perm:[2,3,0,1] row_mask:0xf bank_mask:0xf
	v_cmp_gt_f32_e32 vcc_lo, v1, v2
	v_cndmask_b32_e32 v1, v2, v1, vcc_lo
	s_delay_alu instid0(VALU_DEP_1) | instskip(NEXT) | instid1(VALU_DEP_1)
	v_mov_b32_dpp v2, v1 row_xmask:7 row_mask:0xf bank_mask:0xf
	v_cmp_gt_f32_e32 vcc_lo, v1, v2
	v_cndmask_b32_e32 v1, v2, v1, vcc_lo
	s_delay_alu instid0(VALU_DEP_1) | instskip(NEXT) | instid1(VALU_DEP_1)
	v_mov_b32_dpp v2, v1 row_xmask:15 row_mask:0xf bank_mask:0xf
	v_cmp_gt_f32_e32 vcc_lo, v1, v2
	v_cndmask_b32_e32 v1, v2, v1, vcc_lo
	s_delay_alu instid0(VALU_DEP_1) | instskip(NEXT) | instid1(VALU_DEP_1)
	v_permlanex16_b32 v2, v1, s12, 0xfedcba98 op_sel:[1,1]
	v_cmp_gt_f32_e32 vcc_lo, v1, v2
	v_cndmask_b32_e32 v1, v2, v1, vcc_lo
.LBB77_9:
	s_mov_b32 s12, 0
	s_branch .LBB77_14
.LBB77_10:
	s_mov_b32 s3, 0
                                        ; implicit-def: $vgpr22
                                        ; implicit-def: $vgpr1_vgpr2
	s_and_b32 vcc_lo, exec_lo, s15
	s_cbranch_vccnz .LBB77_38
	s_branch .LBB77_41
.LBB77_11:
                                        ; implicit-def: $vgpr1
	s_branch .LBB77_21
.LBB77_12:
                                        ; implicit-def: $vgpr1
	s_branch .LBB77_18
.LBB77_13:
	s_mov_b32 s12, -1
                                        ; implicit-def: $vgpr1
.LBB77_14:
	s_delay_alu instid0(SALU_CYCLE_1)
	s_and_not1_b32 vcc_lo, exec_lo, s12
	s_cbranch_vccnz .LBB77_17
; %bb.15:
	v_mov_b32_e32 v1, v21
	s_cmp_eq_u32 s3, 16
	s_cbranch_scc0 .LBB77_17
; %bb.16:
	s_delay_alu instid0(VALU_DEP_1) | instskip(NEXT) | instid1(VALU_DEP_1)
	v_mov_b32_dpp v1, v21 quad_perm:[1,0,3,2] row_mask:0xf bank_mask:0xf
	v_cmp_gt_f32_e32 vcc_lo, v21, v1
	v_cndmask_b32_e32 v1, v1, v21, vcc_lo
	s_delay_alu instid0(VALU_DEP_1) | instskip(NEXT) | instid1(VALU_DEP_1)
	v_mov_b32_dpp v2, v1 quad_perm:[2,3,0,1] row_mask:0xf bank_mask:0xf
	v_cmp_gt_f32_e32 vcc_lo, v1, v2
	v_cndmask_b32_e32 v1, v2, v1, vcc_lo
	s_delay_alu instid0(VALU_DEP_1) | instskip(NEXT) | instid1(VALU_DEP_1)
	v_mov_b32_dpp v2, v1 row_half_mirror row_mask:0xf bank_mask:0xf
	v_cmp_gt_f32_e32 vcc_lo, v1, v2
	v_cndmask_b32_e32 v1, v2, v1, vcc_lo
	s_delay_alu instid0(VALU_DEP_1) | instskip(NEXT) | instid1(VALU_DEP_1)
	v_mov_b32_dpp v2, v1 row_mirror row_mask:0xf bank_mask:0xf
	v_cmp_gt_f32_e32 vcc_lo, v1, v2
	v_cndmask_b32_e32 v1, v2, v1, vcc_lo
.LBB77_17:
	s_cbranch_execnz .LBB77_20
.LBB77_18:
	v_mov_b32_e32 v1, v21
	s_cmp_eq_u32 s3, 8
	s_cbranch_scc0 .LBB77_20
; %bb.19:
	s_delay_alu instid0(VALU_DEP_1) | instskip(NEXT) | instid1(VALU_DEP_1)
	v_mov_b32_dpp v1, v21 quad_perm:[1,0,3,2] row_mask:0xf bank_mask:0xf
	v_cmp_gt_f32_e32 vcc_lo, v21, v1
	v_cndmask_b32_e32 v1, v1, v21, vcc_lo
	s_delay_alu instid0(VALU_DEP_1) | instskip(NEXT) | instid1(VALU_DEP_1)
	v_mov_b32_dpp v2, v1 quad_perm:[2,3,0,1] row_mask:0xf bank_mask:0xf
	v_cmp_gt_f32_e32 vcc_lo, v1, v2
	v_cndmask_b32_e32 v1, v2, v1, vcc_lo
	s_delay_alu instid0(VALU_DEP_1) | instskip(NEXT) | instid1(VALU_DEP_1)
	v_mov_b32_dpp v2, v1 row_half_mirror row_mask:0xf bank_mask:0xf
	v_cmp_gt_f32_e32 vcc_lo, v1, v2
	v_cndmask_b32_e32 v1, v2, v1, vcc_lo
.LBB77_20:
	s_cbranch_execnz .LBB77_28
.LBB77_21:
	s_cmp_lt_i32 s3, 4
	s_cbranch_scc1 .LBB77_24
; %bb.22:
	v_mov_b32_e32 v1, v21
	s_cmp_eq_u32 s3, 4
	s_cbranch_scc0 .LBB77_25
; %bb.23:
	s_delay_alu instid0(VALU_DEP_1) | instskip(NEXT) | instid1(VALU_DEP_1)
	v_mov_b32_dpp v1, v21 quad_perm:[1,0,3,2] row_mask:0xf bank_mask:0xf
	v_cmp_gt_f32_e32 vcc_lo, v21, v1
	v_cndmask_b32_e32 v1, v1, v21, vcc_lo
	s_delay_alu instid0(VALU_DEP_1) | instskip(NEXT) | instid1(VALU_DEP_1)
	v_mov_b32_dpp v2, v1 quad_perm:[2,3,0,1] row_mask:0xf bank_mask:0xf
	v_cmp_gt_f32_e32 vcc_lo, v1, v2
	v_cndmask_b32_e32 v1, v2, v1, vcc_lo
	s_cbranch_execz .LBB77_26
	s_branch .LBB77_28
.LBB77_24:
                                        ; implicit-def: $vgpr1
	s_branch .LBB77_26
.LBB77_25:
	s_cbranch_execnz .LBB77_28
.LBB77_26:
	v_mov_b32_e32 v1, v21
	s_cmp_lg_u32 s3, 2
	s_cbranch_scc1 .LBB77_28
; %bb.27:
	s_delay_alu instid0(VALU_DEP_1) | instskip(NEXT) | instid1(VALU_DEP_1)
	v_mov_b32_dpp v1, v21 quad_perm:[1,0,3,2] row_mask:0xf bank_mask:0xf
	v_cmp_gt_f32_e32 vcc_lo, v21, v1
	v_cndmask_b32_e32 v1, v1, v21, vcc_lo
.LBB77_28:
	v_cvt_f32_u32_e32 v2, s3
	s_sub_i32 s12, 0, s3
	s_mov_b32 s15, 0
	s_delay_alu instid0(VALU_DEP_1) | instskip(SKIP_2) | instid1(VALU_DEP_1)
	v_rcp_iflag_f32_e32 v2, v2
	s_waitcnt_depctr 0xfff
	v_mul_f32_e32 v2, 0x4f7ffffe, v2
	v_cvt_u32_f32_e32 v2, v2
	s_delay_alu instid0(VALU_DEP_1) | instskip(NEXT) | instid1(VALU_DEP_1)
	v_mul_lo_u32 v23, s12, v2
	v_mul_hi_u32 v23, v2, v23
	s_delay_alu instid0(VALU_DEP_1) | instskip(NEXT) | instid1(VALU_DEP_1)
	v_add_nc_u32_e32 v2, v2, v23
	v_mul_hi_u32 v2, v0, v2
	s_delay_alu instid0(VALU_DEP_1) | instskip(SKIP_1) | instid1(VALU_DEP_2)
	v_mul_lo_u32 v23, v2, s3
	v_add_nc_u32_e32 v24, 1, v2
	v_sub_nc_u32_e32 v23, v0, v23
	s_delay_alu instid0(VALU_DEP_1) | instskip(SKIP_1) | instid1(VALU_DEP_2)
	v_subrev_nc_u32_e32 v25, s3, v23
	v_cmp_le_u32_e32 vcc_lo, s3, v23
	v_dual_cndmask_b32 v23, v23, v25 :: v_dual_cndmask_b32 v2, v2, v24
	s_delay_alu instid0(VALU_DEP_1) | instskip(NEXT) | instid1(VALU_DEP_2)
	v_cmp_le_u32_e32 vcc_lo, s3, v23
	v_add_nc_u32_e32 v24, 1, v2
	s_delay_alu instid0(VALU_DEP_1) | instskip(SKIP_2) | instid1(VALU_DEP_3)
	v_cndmask_b32_e32 v23, v2, v24, vcc_lo
	v_cmp_gt_u32_e32 vcc_lo, s5, v22
	v_mul_f32_e32 v22, 0x3b124925, v1
	v_mul_lo_u32 v2, v23, s3
	s_delay_alu instid0(VALU_DEP_1) | instskip(NEXT) | instid1(VALU_DEP_1)
	v_sub_nc_u32_e32 v2, v0, v2
	v_cmp_eq_u32_e64 s3, 0, v2
                                        ; implicit-def: $vgpr1_vgpr2
	s_delay_alu instid0(VALU_DEP_1) | instskip(SKIP_2) | instid1(SALU_CYCLE_1)
	s_and_b32 s12, s3, vcc_lo
	s_mov_b32 s3, 0
	s_and_saveexec_b32 s13, s12
	s_xor_b32 s14, exec_lo, s13
	s_cbranch_execz .LBB77_37
; %bb.29:
	s_bitcmp0_b32 s10, 0
	s_mov_b32 s16, 0
	s_cbranch_scc0 .LBB77_34
; %bb.30:
	s_ashr_i32 s3, s5, 31
	s_mul_hi_u32 s10, s5, s20
	s_mul_i32 s3, s3, s20
	s_mul_i32 s12, s5, s20
	s_add_i32 s13, s10, s3
	s_mov_b32 s10, s7
	s_delay_alu instid0(SALU_CYCLE_1) | instskip(NEXT) | instid1(SALU_CYCLE_1)
	s_or_b64 s[18:19], s[12:13], s[10:11]
	s_mov_b32 s17, s19
	s_delay_alu instid0(SALU_CYCLE_1)
	s_cmp_lg_u64 s[16:17], 0
	s_cbranch_scc0 .LBB77_45
; %bb.31:
	s_add_u32 s18, s10, s11
	s_mov_b32 s16, s11
	s_mov_b32 s17, s11
	s_addc_u32 s19, s11, s11
	s_delay_alu instid0(SALU_CYCLE_1) | instskip(NEXT) | instid1(SALU_CYCLE_1)
	s_xor_b64 s[18:19], s[18:19], s[16:17]
	v_cvt_f32_u32_e32 v1, s18
	v_cvt_f32_u32_e32 v2, s19
	s_sub_u32 s11, 0, s18
	s_subb_u32 s22, 0, s19
	s_delay_alu instid0(VALU_DEP_1) | instskip(NEXT) | instid1(VALU_DEP_1)
	v_fmamk_f32 v1, v2, 0x4f800000, v1
	v_rcp_f32_e32 v1, v1
	s_waitcnt_depctr 0xfff
	v_mul_f32_e32 v1, 0x5f7ffffc, v1
	s_delay_alu instid0(VALU_DEP_1) | instskip(NEXT) | instid1(VALU_DEP_1)
	v_mul_f32_e32 v2, 0x2f800000, v1
	v_trunc_f32_e32 v2, v2
	s_delay_alu instid0(VALU_DEP_1) | instskip(SKIP_1) | instid1(VALU_DEP_2)
	v_fmamk_f32 v1, v2, 0xcf800000, v1
	v_cvt_u32_f32_e32 v2, v2
	v_cvt_u32_f32_e32 v1, v1
	s_delay_alu instid0(VALU_DEP_2) | instskip(NEXT) | instid1(VALU_DEP_2)
	v_readfirstlane_b32 s3, v2
	v_readfirstlane_b32 s7, v1
	s_delay_alu instid0(VALU_DEP_2) | instskip(NEXT) | instid1(VALU_DEP_1)
	s_mul_i32 s23, s11, s3
	s_mul_hi_u32 s25, s11, s7
	s_mul_i32 s24, s22, s7
	s_add_i32 s23, s25, s23
	s_mul_i32 s26, s11, s7
	s_add_i32 s23, s23, s24
	s_mul_hi_u32 s25, s7, s26
	s_mul_hi_u32 s27, s3, s26
	s_mul_i32 s24, s3, s26
	s_mul_hi_u32 s26, s7, s23
	s_mul_i32 s7, s7, s23
	s_mul_hi_u32 s28, s3, s23
	s_add_u32 s7, s25, s7
	s_addc_u32 s25, 0, s26
	s_add_u32 s7, s7, s24
	s_mul_i32 s23, s3, s23
	s_addc_u32 s7, s25, s27
	s_addc_u32 s24, s28, 0
	s_add_u32 s7, s7, s23
	s_addc_u32 s23, 0, s24
	v_add_co_u32 v1, s7, v1, s7
	s_delay_alu instid0(VALU_DEP_1) | instskip(SKIP_1) | instid1(VALU_DEP_1)
	s_cmp_lg_u32 s7, 0
	s_addc_u32 s3, s3, s23
	v_readfirstlane_b32 s7, v1
	s_mul_i32 s23, s11, s3
	s_delay_alu instid0(VALU_DEP_1)
	s_mul_hi_u32 s24, s11, s7
	s_mul_i32 s22, s22, s7
	s_add_i32 s23, s24, s23
	s_mul_i32 s11, s11, s7
	s_add_i32 s23, s23, s22
	s_mul_hi_u32 s24, s3, s11
	s_mul_i32 s25, s3, s11
	s_mul_hi_u32 s11, s7, s11
	s_mul_hi_u32 s26, s7, s23
	s_mul_i32 s7, s7, s23
	s_mul_hi_u32 s22, s3, s23
	s_add_u32 s7, s11, s7
	s_addc_u32 s11, 0, s26
	s_add_u32 s7, s7, s25
	s_mul_i32 s23, s3, s23
	s_addc_u32 s7, s11, s24
	s_addc_u32 s11, s22, 0
	s_add_u32 s7, s7, s23
	s_addc_u32 s11, 0, s11
	v_add_co_u32 v1, s7, v1, s7
	s_delay_alu instid0(VALU_DEP_1) | instskip(SKIP_2) | instid1(VALU_DEP_1)
	s_cmp_lg_u32 s7, 0
	s_addc_u32 s3, s3, s11
	s_ashr_i32 s22, s13, 31
	v_readfirstlane_b32 s7, v1
	s_add_u32 s24, s12, s22
	s_mov_b32 s23, s22
	s_addc_u32 s25, s13, s22
	s_delay_alu instid0(SALU_CYCLE_1) | instskip(NEXT) | instid1(SALU_CYCLE_1)
	s_xor_b64 s[24:25], s[24:25], s[22:23]
	s_mul_i32 s13, s24, s3
	s_mul_hi_u32 s26, s24, s7
	s_mul_hi_u32 s11, s24, s3
	;; [unrolled: 1-line block ×3, first 2 shown]
	s_mul_i32 s7, s25, s7
	s_add_u32 s13, s26, s13
	s_addc_u32 s11, 0, s11
	s_mul_hi_u32 s27, s25, s3
	s_add_u32 s7, s13, s7
	s_mul_i32 s3, s25, s3
	s_addc_u32 s7, s11, s28
	s_addc_u32 s11, s27, 0
	s_add_u32 s7, s7, s3
	s_addc_u32 s11, 0, s11
	s_mul_i32 s27, s18, s7
	s_mul_hi_u32 s3, s18, s7
	s_mul_i32 s26, s18, s11
	v_sub_co_u32 v1, s24, s24, s27
	s_mul_i32 s13, s19, s7
	s_add_i32 s3, s3, s26
	s_delay_alu instid0(SALU_CYCLE_1) | instskip(NEXT) | instid1(VALU_DEP_1)
	s_add_i32 s3, s3, s13
	v_sub_co_u32 v2, s26, v1, s18
	s_sub_i32 s13, s25, s3
	s_cmp_lg_u32 s24, 0
	s_subb_u32 s13, s13, s19
	s_cmp_lg_u32 s26, 0
	v_cmp_le_u32_e32 vcc_lo, s18, v2
	s_subb_u32 s13, s13, 0
	s_delay_alu instid0(SALU_CYCLE_1)
	s_cmp_ge_u32 s13, s19
	v_cndmask_b32_e64 v2, 0, -1, vcc_lo
	s_cselect_b32 s26, -1, 0
	s_cmp_eq_u32 s13, s19
	s_cselect_b32 vcc_lo, -1, 0
	s_add_u32 s13, s7, 1
	v_cndmask_b32_e32 v2, s26, v2, vcc_lo
	s_addc_u32 s26, s11, 0
	s_add_u32 s27, s7, 2
	s_addc_u32 s28, s11, 0
	s_cmp_lg_u32 s24, 0
	v_cmp_le_u32_e32 vcc_lo, s18, v1
	s_subb_u32 s3, s25, s3
	v_mov_b32_e32 v24, s27
	s_cmp_ge_u32 s3, s19
	v_cndmask_b32_e64 v1, 0, -1, vcc_lo
	s_cselect_b32 s18, -1, 0
	s_cmp_eq_u32 s3, s19
	v_cmp_ne_u32_e32 vcc_lo, 0, v2
	v_mov_b32_e32 v2, s28
	s_cselect_b32 s3, -1, 0
	s_xor_b64 s[16:17], s[22:23], s[16:17]
	v_cndmask_b32_e64 v1, s18, v1, s3
	v_cndmask_b32_e32 v24, s13, v24, vcc_lo
	v_cndmask_b32_e32 v2, s26, v2, vcc_lo
	s_delay_alu instid0(VALU_DEP_3) | instskip(NEXT) | instid1(VALU_DEP_2)
	v_cmp_ne_u32_e32 vcc_lo, 0, v1
	v_cndmask_b32_e32 v1, s11, v2, vcc_lo
	s_delay_alu instid0(VALU_DEP_4) | instskip(NEXT) | instid1(VALU_DEP_2)
	v_cndmask_b32_e32 v2, s7, v24, vcc_lo
	v_xor_b32_e32 v24, s17, v1
	s_delay_alu instid0(VALU_DEP_2) | instskip(NEXT) | instid1(VALU_DEP_1)
	v_xor_b32_e32 v2, s16, v2
	v_sub_co_u32 v1, vcc_lo, v2, s16
	s_delay_alu instid0(VALU_DEP_3)
	v_subrev_co_ci_u32_e32 v2, vcc_lo, s17, v24, vcc_lo
	s_cbranch_execnz .LBB77_33
.LBB77_32:
	v_cvt_f32_u32_e32 v1, s10
	s_sub_i32 s7, 0, s10
	s_delay_alu instid0(VALU_DEP_1) | instskip(SKIP_2) | instid1(VALU_DEP_1)
	v_rcp_iflag_f32_e32 v1, v1
	s_waitcnt_depctr 0xfff
	v_mul_f32_e32 v1, 0x4f7ffffe, v1
	v_cvt_u32_f32_e32 v1, v1
	s_delay_alu instid0(VALU_DEP_1) | instskip(NEXT) | instid1(VALU_DEP_1)
	v_readfirstlane_b32 s3, v1
	s_mul_i32 s7, s7, s3
	s_delay_alu instid0(SALU_CYCLE_1) | instskip(NEXT) | instid1(SALU_CYCLE_1)
	s_mul_hi_u32 s7, s3, s7
	s_add_i32 s3, s3, s7
	s_delay_alu instid0(SALU_CYCLE_1) | instskip(NEXT) | instid1(SALU_CYCLE_1)
	s_mul_hi_u32 s3, s12, s3
	s_mul_i32 s7, s3, s10
	s_add_i32 s11, s3, 1
	s_sub_i32 s7, s12, s7
	s_delay_alu instid0(SALU_CYCLE_1)
	s_sub_i32 s12, s7, s10
	s_cmp_ge_u32 s7, s10
	s_cselect_b32 s3, s11, s3
	s_cselect_b32 s7, s12, s7
	s_add_i32 s12, s3, 1
	s_cmp_ge_u32 s7, s10
	s_mov_b32 s11, 0
	s_cselect_b32 s10, s12, s3
	s_delay_alu instid0(SALU_CYCLE_1)
	v_dual_mov_b32 v1, s10 :: v_dual_mov_b32 v2, s11
.LBB77_33:
	s_delay_alu instid0(VALU_DEP_1) | instskip(NEXT) | instid1(VALU_DEP_2)
	v_add_co_u32 v1, vcc_lo, v1, v23
	v_add_co_ci_u32_e32 v2, vcc_lo, 0, v2, vcc_lo
	s_branch .LBB77_36
.LBB77_34:
                                        ; implicit-def: $vgpr1_vgpr2
	s_cbranch_execz .LBB77_36
; %bb.35:
	v_mul_lo_u32 v1, v23, s4
	s_delay_alu instid0(VALU_DEP_1) | instskip(SKIP_1) | instid1(VALU_DEP_2)
	v_ashrrev_i32_e32 v2, 31, v1
	v_add_co_u32 v1, vcc_lo, v1, s20
	v_add_co_ci_u32_e32 v2, vcc_lo, 0, v2, vcc_lo
.LBB77_36:
	s_mov_b32 s3, exec_lo
.LBB77_37:
	s_or_b32 exec_lo, exec_lo, s14
	s_delay_alu instid0(SALU_CYCLE_1)
	s_and_b32 vcc_lo, exec_lo, s15
	s_cbranch_vccz .LBB77_41
.LBB77_38:
	v_mov_b32_dpp v1, v21 quad_perm:[1,0,3,2] row_mask:0xf bank_mask:0xf
	s_delay_alu instid0(VALU_DEP_1) | instskip(SKIP_1) | instid1(VALU_DEP_1)
	v_cmp_gt_f32_e32 vcc_lo, v21, v1
	v_cndmask_b32_e32 v1, v1, v21, vcc_lo
	v_mov_b32_dpp v2, v1 quad_perm:[2,3,0,1] row_mask:0xf bank_mask:0xf
	s_delay_alu instid0(VALU_DEP_1) | instskip(SKIP_1) | instid1(VALU_DEP_1)
	v_cmp_gt_f32_e32 vcc_lo, v1, v2
	v_cndmask_b32_e32 v1, v2, v1, vcc_lo
	v_mov_b32_dpp v2, v1 row_xmask:7 row_mask:0xf bank_mask:0xf
	s_delay_alu instid0(VALU_DEP_1) | instskip(SKIP_1) | instid1(VALU_DEP_1)
	v_cmp_gt_f32_e32 vcc_lo, v1, v2
	v_cndmask_b32_e32 v1, v2, v1, vcc_lo
	v_mov_b32_dpp v2, v1 row_xmask:15 row_mask:0xf bank_mask:0xf
	s_delay_alu instid0(VALU_DEP_1)
	v_cmp_gt_f32_e32 vcc_lo, v1, v2
	s_and_saveexec_b32 s3, s2
	s_cbranch_execz .LBB77_40
; %bb.39:
	v_cndmask_b32_e32 v1, v2, v1, vcc_lo
	v_lshrrev_b32_e32 v2, 3, v0
	s_mov_b32 s2, 0x76543210
	s_delay_alu instid0(VALU_DEP_1) | instskip(NEXT) | instid1(VALU_DEP_3)
	v_and_b32_e32 v2, 0x7c, v2
	v_permlanex16_b32 v21, v1, s2, 0xfedcba98 op_sel:[1,1]
	s_delay_alu instid0(VALU_DEP_1)
	v_cmp_gt_f32_e32 vcc_lo, v1, v21
	v_cndmask_b32_e32 v1, v21, v1, vcc_lo
	ds_store_b32 v2, v1
.LBB77_40:
	s_or_b32 exec_lo, exec_lo, s3
	s_waitcnt lgkmcnt(0)
	s_barrier
	buffer_gl0_inv
	ds_load_b32 v1, v10
	v_cmp_eq_u32_e64 s3, 0, v0
	s_waitcnt lgkmcnt(0)
	v_mov_b32_dpp v2, v1 quad_perm:[1,0,3,2] row_mask:0xf bank_mask:0xf
	s_delay_alu instid0(VALU_DEP_1) | instskip(SKIP_1) | instid1(VALU_DEP_1)
	v_cmp_gt_f32_e32 vcc_lo, v1, v2
	v_cndmask_b32_e32 v1, v2, v1, vcc_lo
	v_mov_b32_dpp v2, v1 quad_perm:[2,3,0,1] row_mask:0xf bank_mask:0xf
	s_delay_alu instid0(VALU_DEP_1) | instskip(SKIP_1) | instid1(VALU_DEP_1)
	v_cmp_gt_f32_e32 vcc_lo, v1, v2
	v_cndmask_b32_e32 v1, v2, v1, vcc_lo
	v_mov_b32_dpp v2, v1 row_xmask:7 row_mask:0xf bank_mask:0xf
	s_delay_alu instid0(VALU_DEP_1) | instskip(SKIP_1) | instid1(VALU_DEP_1)
	v_cmp_gt_f32_e32 vcc_lo, v1, v2
	v_cndmask_b32_e32 v1, v2, v1, vcc_lo
	v_dual_mul_f32 v22, 0x3b124925, v1 :: v_dual_mov_b32 v1, s20
	v_mov_b32_e32 v2, s21
.LBB77_41:
	s_and_saveexec_b32 s2, s3
	s_cbranch_execz .LBB77_43
; %bb.42:
	s_delay_alu instid0(VALU_DEP_1) | instskip(NEXT) | instid1(VALU_DEP_1)
	v_lshlrev_b64 v[0:1], 2, v[1:2]
	v_add_co_u32 v0, vcc_lo, s8, v0
	s_delay_alu instid0(VALU_DEP_2)
	v_add_co_ci_u32_e32 v1, vcc_lo, s9, v1, vcc_lo
	global_store_b32 v[0:1], v22, off
.LBB77_43:
	s_or_b32 exec_lo, exec_lo, s2
	;;#ASMSTART
	v_rcp_f32 v2, v22
	;;#ASMEND
	v_dual_mul_f32 v0, v19, v2 :: v_dual_mov_b32 v19, 0x43e00000
	v_dual_mul_f32 v1, v20, v2 :: v_dual_mov_b32 v10, 0xc3e00000
	v_mul_f32_e32 v17, v17, v2
	v_mul_f32_e32 v18, v18, v2
	;;#ASMSTART
	v_med3_f32 v0, v0, v10, v19
v_med3_f32 v1, v1, v10, v19
v_cvt_pk_fp8_f32 v20, v0, v1
	;;#ASMEND
	;;#ASMSTART
	v_med3_f32 v17, v17, v10, v19
v_med3_f32 v18, v18, v10, v19
v_cvt_pk_fp8_f32 v0, v17, v18
	;;#ASMEND
	v_perm_b32 v1, v0, v20, 0x5040100
	s_load_b64 s[0:1], s[0:1], 0x0
	v_and_b32_e32 v0, 0xffffff00, v0
	s_add_i32 s2, s5, 3
	v_mul_f32_e32 v16, v16, v2
	v_lshrrev_b32_e32 v17, 16, v1
	s_ashr_i32 s3, s2, 31
	v_mul_f32_e32 v13, v13, v2
	s_lshr_b32 s3, s3, 30
	s_delay_alu instid0(VALU_DEP_2)
	v_dual_mul_f32 v14, v14, v2 :: v_dual_and_b32 v17, 0xff, v17
	s_add_i32 s2, s2, s3
	s_ashr_i32 s3, s6, 31
	s_mul_hi_u32 s4, s6, s20
	s_mul_i32 s3, s3, s20
	v_or_b32_e32 v0, v17, v0
	v_mul_f32_e32 v15, v15, v2
	s_add_i32 s4, s4, s3
	s_mul_i32 s3, s6, s20
	s_and_b32 s2, s2, -4
	v_lshlrev_b32_e32 v0, 16, v0
	;;#ASMSTART
	v_med3_f32 v15, v15, v10, v19
v_med3_f32 v16, v16, v10, v19
v_cvt_pk_fp8_f32 v17, v15, v16
	;;#ASMEND
	;;#ASMSTART
	v_med3_f32 v13, v13, v10, v19
v_med3_f32 v14, v14, v10, v19
v_cvt_pk_fp8_f32 v15, v13, v14
	;;#ASMEND
	v_lshlrev_b32_e32 v13, 16, v15
	s_waitcnt lgkmcnt(0)
	s_add_u32 s0, s0, s3
	v_and_or_b32 v0, 0xffff, v1, v0
	s_addc_u32 s1, s1, s4
	s_mov_b32 s3, -1
	v_and_or_b32 v1, 0xffff, v17, v13
	s_and_b32 s1, s1, 0xffff
	v_mul_f32_e32 v11, v11, v2
	v_mul_f32_e32 v12, v12, v2
	;; [unrolled: 1-line block ×4, first 2 shown]
	buffer_store_b64 v[0:1], v9, s[0:3], 0 offen
	;;#ASMSTART
	s_nop 0
	;;#ASMEND
	;;#ASMSTART
	v_med3_f32 v11, v11, v10, v19
v_med3_f32 v12, v12, v10, v19
v_cvt_pk_fp8_f32 v0, v11, v12
	;;#ASMEND
	;;#ASMSTART
	v_med3_f32 v7, v7, v10, v19
v_med3_f32 v8, v8, v10, v19
v_cvt_pk_fp8_f32 v1, v7, v8
	;;#ASMEND
	v_perm_b32 v0, v1, v0, 0x5040100
	v_and_b32_e32 v1, 0xffffff00, v1
	v_mul_f32_e32 v5, v5, v2
	v_mul_f32_e32 v6, v6, v2
	;; [unrolled: 1-line block ×3, first 2 shown]
	v_lshrrev_b32_e32 v7, 16, v0
	v_mul_f32_e32 v2, v4, v2
	;;#ASMSTART
	v_med3_f32 v5, v5, v10, v19
v_med3_f32 v6, v6, v10, v19
v_cvt_pk_fp8_f32 v4, v5, v6
	;;#ASMEND
	;;#ASMSTART
	v_med3_f32 v3, v3, v10, v19
v_med3_f32 v2, v2, v10, v19
v_cvt_pk_fp8_f32 v5, v3, v2
	;;#ASMEND
	v_lshlrev_b32_e32 v2, 16, v5
	v_and_b32_e32 v7, 0xff, v7
	s_movk_i32 s4, 0x100
	s_delay_alu instid0(VALU_DEP_1) | instskip(NEXT) | instid1(VALU_DEP_1)
	v_or_b32_e32 v1, v7, v1
	v_lshlrev_b32_e32 v3, 16, v1
	v_and_or_b32 v1, 0xffff, v4, v2
	s_delay_alu instid0(VALU_DEP_2)
	v_and_or_b32 v0, 0xffff, v0, v3
	buffer_store_b64 v[0:1], v9, s[0:3], s4 offen
	;;#ASMSTART
	s_nop 0
	;;#ASMEND
.LBB77_44:
	s_nop 0
	s_sendmsg sendmsg(MSG_DEALLOC_VGPRS)
	s_endpgm
.LBB77_45:
                                        ; implicit-def: $vgpr1_vgpr2
	s_branch .LBB77_32
	.section	.rodata,"a",@progbits
	.p2align	6, 0x0
	.amdhsa_kernel _ZN5aiter24add_rmsnorm_quant_kernelIDF16_DB8_Li256ELi16ELb0ELb1ELb1ELi1EEEvPT0_PT_PfS5_S5_S5_diiiiiiib
		.amdhsa_group_segment_fixed_size 64
		.amdhsa_private_segment_fixed_size 0
		.amdhsa_kernarg_size 88
		.amdhsa_user_sgpr_count 15
		.amdhsa_user_sgpr_dispatch_ptr 0
		.amdhsa_user_sgpr_queue_ptr 0
		.amdhsa_user_sgpr_kernarg_segment_ptr 1
		.amdhsa_user_sgpr_dispatch_id 0
		.amdhsa_user_sgpr_private_segment_size 0
		.amdhsa_wavefront_size32 1
		.amdhsa_uses_dynamic_stack 0
		.amdhsa_enable_private_segment 0
		.amdhsa_system_sgpr_workgroup_id_x 1
		.amdhsa_system_sgpr_workgroup_id_y 0
		.amdhsa_system_sgpr_workgroup_id_z 0
		.amdhsa_system_sgpr_workgroup_info 0
		.amdhsa_system_vgpr_workitem_id 0
		.amdhsa_next_free_vgpr 43
		.amdhsa_next_free_sgpr 29
		.amdhsa_reserve_vcc 1
		.amdhsa_float_round_mode_32 0
		.amdhsa_float_round_mode_16_64 0
		.amdhsa_float_denorm_mode_32 3
		.amdhsa_float_denorm_mode_16_64 3
		.amdhsa_dx10_clamp 1
		.amdhsa_ieee_mode 1
		.amdhsa_fp16_overflow 0
		.amdhsa_workgroup_processor_mode 1
		.amdhsa_memory_ordered 1
		.amdhsa_forward_progress 0
		.amdhsa_shared_vgpr_count 0
		.amdhsa_exception_fp_ieee_invalid_op 0
		.amdhsa_exception_fp_denorm_src 0
		.amdhsa_exception_fp_ieee_div_zero 0
		.amdhsa_exception_fp_ieee_overflow 0
		.amdhsa_exception_fp_ieee_underflow 0
		.amdhsa_exception_fp_ieee_inexact 0
		.amdhsa_exception_int_div_zero 0
	.end_amdhsa_kernel
	.section	.text._ZN5aiter24add_rmsnorm_quant_kernelIDF16_DB8_Li256ELi16ELb0ELb1ELb1ELi1EEEvPT0_PT_PfS5_S5_S5_diiiiiiib,"axG",@progbits,_ZN5aiter24add_rmsnorm_quant_kernelIDF16_DB8_Li256ELi16ELb0ELb1ELb1ELi1EEEvPT0_PT_PfS5_S5_S5_diiiiiiib,comdat
.Lfunc_end77:
	.size	_ZN5aiter24add_rmsnorm_quant_kernelIDF16_DB8_Li256ELi16ELb0ELb1ELb1ELi1EEEvPT0_PT_PfS5_S5_S5_diiiiiiib, .Lfunc_end77-_ZN5aiter24add_rmsnorm_quant_kernelIDF16_DB8_Li256ELi16ELb0ELb1ELb1ELi1EEEvPT0_PT_PfS5_S5_S5_diiiiiiib
                                        ; -- End function
	.section	.AMDGPU.csdata,"",@progbits
; Kernel info:
; codeLenInByte = 4232
; NumSgprs: 31
; NumVgprs: 43
; ScratchSize: 0
; MemoryBound: 0
; FloatMode: 240
; IeeeMode: 1
; LDSByteSize: 64 bytes/workgroup (compile time only)
; SGPRBlocks: 3
; VGPRBlocks: 5
; NumSGPRsForWavesPerEU: 31
; NumVGPRsForWavesPerEU: 43
; Occupancy: 16
; WaveLimiterHint : 0
; COMPUTE_PGM_RSRC2:SCRATCH_EN: 0
; COMPUTE_PGM_RSRC2:USER_SGPR: 15
; COMPUTE_PGM_RSRC2:TRAP_HANDLER: 0
; COMPUTE_PGM_RSRC2:TGID_X_EN: 1
; COMPUTE_PGM_RSRC2:TGID_Y_EN: 0
; COMPUTE_PGM_RSRC2:TGID_Z_EN: 0
; COMPUTE_PGM_RSRC2:TIDIG_COMP_CNT: 0
	.section	.text._ZN5aiter24add_rmsnorm_quant_kernelItDB8_Li256ELi16ELb0ELb1ELb1ELi1EEEvPT0_PT_PfS5_S5_S5_diiiiiiib,"axG",@progbits,_ZN5aiter24add_rmsnorm_quant_kernelItDB8_Li256ELi16ELb0ELb1ELb1ELi1EEEvPT0_PT_PfS5_S5_S5_diiiiiiib,comdat
	.protected	_ZN5aiter24add_rmsnorm_quant_kernelItDB8_Li256ELi16ELb0ELb1ELb1ELi1EEEvPT0_PT_PfS5_S5_S5_diiiiiiib ; -- Begin function _ZN5aiter24add_rmsnorm_quant_kernelItDB8_Li256ELi16ELb0ELb1ELb1ELi1EEEvPT0_PT_PfS5_S5_S5_diiiiiiib
	.globl	_ZN5aiter24add_rmsnorm_quant_kernelItDB8_Li256ELi16ELb0ELb1ELb1ELi1EEEvPT0_PT_PfS5_S5_S5_diiiiiiib
	.p2align	8
	.type	_ZN5aiter24add_rmsnorm_quant_kernelItDB8_Li256ELi16ELb0ELb1ELb1ELi1EEEvPT0_PT_PfS5_S5_S5_diiiiiiib,@function
_ZN5aiter24add_rmsnorm_quant_kernelItDB8_Li256ELi16ELb0ELb1ELb1ELi1EEEvPT0_PT_PfS5_S5_S5_diiiiiiib: ; @_ZN5aiter24add_rmsnorm_quant_kernelItDB8_Li256ELi16ELb0ELb1ELb1ELi1EEEvPT0_PT_PfS5_S5_S5_diiiiiiib
; %bb.0:
	s_load_b128 s[4:7], s[0:1], 0x38
	s_mov_b32 s20, s15
	s_mov_b32 s21, 0
	s_waitcnt lgkmcnt(0)
	s_ashr_i32 s3, s4, 31
	s_mov_b32 s2, s4
	s_delay_alu instid0(SALU_CYCLE_1) | instskip(NEXT) | instid1(VALU_DEP_1)
	v_cmp_ge_i64_e64 s2, s[20:21], s[2:3]
	s_and_b32 vcc_lo, exec_lo, s2
	s_cbranch_vccnz .LBB78_44
; %bb.1:
	s_clause 0x1
	s_load_b128 s[8:11], s[0:1], 0x10
	s_load_b128 s[16:19], s[0:1], 0x28
	v_lshlrev_b32_e32 v22, 4, v0
	s_ashr_i32 s2, s6, 31
	s_mul_hi_u32 s3, s6, s20
	s_mul_i32 s7, s2, s20
	v_lshlrev_b32_e32 v1, 3, v0
	v_and_b32_e32 v2, 0x3e00, v22
	s_mul_i32 s2, s6, s20
	s_add_i32 s3, s3, s7
	s_mov_b32 s15, -1
	s_lshl_b64 s[2:3], s[2:3], 1
	v_and_or_b32 v9, 0xf8, v1, v2
	s_mov_b32 s27, s15
	v_and_b32_e32 v29, 31, v0
	s_delay_alu instid0(VALU_DEP_2)
	v_lshlrev_b32_e32 v1, 1, v9
	s_waitcnt lgkmcnt(0)
	s_add_u32 s12, s10, s2
	s_addc_u32 s2, s11, s3
	s_add_i32 s3, s5, 1
	s_and_b32 s13, s2, 0xffff
	s_lshr_b32 s6, s3, 31
	s_movk_i32 s2, 0x200
	s_add_i32 s3, s3, s6
	s_mov_b32 s24, s16
	s_lshl_b32 s3, s3, 1
	s_and_b32 s25, s17, 0xffff
	s_and_b32 s14, s3, -4
	s_clause 0x1
	buffer_load_b128 v[14:17], v1, s[12:15], 0 offen glc slc
	buffer_load_b128 v[23:26], v1, s[12:15], s2 offen glc slc
	s_mov_b32 s26, s14
	s_waitcnt vmcnt(1)
	v_lshrrev_b32_e32 v10, 16, v14
	v_and_b32_e32 v12, 0xffff, v14
	v_lshrrev_b32_e32 v14, 16, v15
	v_lshrrev_b32_e32 v18, 16, v17
	s_waitcnt vmcnt(0)
	v_lshrrev_b32_e32 v20, 16, v23
	v_cvt_f32_u32_e32 v11, v10
	v_cvt_f32_u32_e32 v12, v12
	v_and_b32_e32 v10, 0xffff, v15
	v_cvt_f32_u32_e32 v14, v14
	v_cvt_f32_u32_e32 v18, v18
	v_mul_f32_e32 v28, v11, v11
	v_cvt_f32_u32_e32 v20, v20
	v_cvt_f32_u32_e32 v13, v10
	v_and_b32_e32 v10, 0xffff, v16
	v_lshrrev_b32_e32 v16, 16, v16
	v_fmac_f32_e32 v28, v12, v12
	s_clause 0x1
	buffer_load_b128 v[5:8], v1, s[24:27], 0 offen
	buffer_load_b128 v[1:4], v1, s[24:27], s2 offen
	v_lshrrev_b32_e32 v27, 16, v26
	v_cvt_f32_u32_e32 v15, v10
	v_and_b32_e32 v10, 0xffff, v17
	v_fmac_f32_e32 v28, v13, v13
	v_cvt_f32_u32_e32 v16, v16
	v_cvt_f32_u32_e32 v27, v27
	v_cmp_eq_u32_e64 s2, 31, v29
	v_cvt_f32_u32_e32 v17, v10
	v_fmac_f32_e32 v28, v14, v14
	v_and_b32_e32 v10, 0xffff, v23
	v_lshrrev_b32_e32 v23, 16, v24
	s_delay_alu instid0(VALU_DEP_3) | instskip(NEXT) | instid1(VALU_DEP_3)
	v_fmac_f32_e32 v28, v15, v15
	v_cvt_f32_u32_e32 v19, v10
	v_and_b32_e32 v10, 0xffff, v24
	s_delay_alu instid0(VALU_DEP_4) | instskip(NEXT) | instid1(VALU_DEP_4)
	v_cvt_f32_u32_e32 v23, v23
	v_fmac_f32_e32 v28, v16, v16
	s_delay_alu instid0(VALU_DEP_3) | instskip(SKIP_2) | instid1(VALU_DEP_4)
	v_cvt_f32_u32_e32 v21, v10
	v_and_b32_e32 v10, 0xffff, v25
	v_lshrrev_b32_e32 v25, 16, v25
	v_fmac_f32_e32 v28, v17, v17
	s_delay_alu instid0(VALU_DEP_3) | instskip(SKIP_1) | instid1(VALU_DEP_3)
	v_cvt_f32_u32_e32 v24, v10
	v_and_b32_e32 v10, 0xffff, v26
	v_fmac_f32_e32 v28, v18, v18
	v_cvt_f32_u32_e32 v25, v25
	s_delay_alu instid0(VALU_DEP_3) | instskip(NEXT) | instid1(VALU_DEP_3)
	v_cvt_f32_u32_e32 v26, v10
	v_fmac_f32_e32 v28, v19, v19
	s_delay_alu instid0(VALU_DEP_1) | instskip(NEXT) | instid1(VALU_DEP_1)
	v_fmac_f32_e32 v28, v20, v20
	v_fmac_f32_e32 v28, v21, v21
	s_delay_alu instid0(VALU_DEP_1) | instskip(NEXT) | instid1(VALU_DEP_1)
	v_fmac_f32_e32 v28, v23, v23
	;; [unrolled: 3-line block ×4, first 2 shown]
	v_mov_b32_dpp v10, v28 quad_perm:[1,0,3,2] row_mask:0xf bank_mask:0xf
	s_delay_alu instid0(VALU_DEP_1) | instskip(NEXT) | instid1(VALU_DEP_1)
	v_add_f32_e32 v10, v28, v10
	v_mov_b32_dpp v28, v10 quad_perm:[2,3,0,1] row_mask:0xf bank_mask:0xf
	s_delay_alu instid0(VALU_DEP_1) | instskip(NEXT) | instid1(VALU_DEP_1)
	v_add_f32_e32 v10, v10, v28
	v_mov_b32_dpp v28, v10 row_xmask:7 row_mask:0xf bank_mask:0xf
	s_delay_alu instid0(VALU_DEP_1) | instskip(NEXT) | instid1(VALU_DEP_1)
	v_add_f32_e32 v10, v10, v28
	v_mov_b32_dpp v28, v10 row_xmask:15 row_mask:0xf bank_mask:0xf
	s_and_saveexec_b32 s3, s2
	s_cbranch_execz .LBB78_3
; %bb.2:
	s_delay_alu instid0(VALU_DEP_1) | instskip(SKIP_2) | instid1(VALU_DEP_2)
	v_add_f32_e32 v10, v10, v28
	s_mov_b32 s6, 0x76543210
	v_lshrrev_b32_e32 v28, 3, v0
	v_permlanex16_b32 v29, v10, s6, 0xfedcba98 op_sel:[1,1]
	s_delay_alu instid0(VALU_DEP_2) | instskip(NEXT) | instid1(VALU_DEP_2)
	v_and_b32_e32 v28, 0x7c, v28
	v_add_f32_e32 v10, v10, v29
	ds_store_b32 v28, v10 offset:32
.LBB78_3:
	s_or_b32 exec_lo, exec_lo, s3
	v_and_b32_e32 v10, 7, v0
	s_waitcnt vmcnt(0) lgkmcnt(0)
	s_barrier
	buffer_gl0_inv
	v_cvt_f32_i32_e32 v30, s5
	v_dual_mov_b32 v37, 0x2edbe6ff :: v_dual_lshlrev_b32 v10, 2, v10
	v_and_b32_e32 v35, 0xffff, v2
	v_lshrrev_b32_e32 v2, 16, v2
	ds_load_b32 v28, v10 offset:32
	s_clause 0x1
	s_load_b64 s[6:7], s[0:1], 0x4c
	s_load_b32 s10, s[0:1], 0x54
	v_cvt_f32_u32_e32 v35, v35
	v_cvt_f32_u32_e32 v2, v2
	s_waitcnt lgkmcnt(0)
	v_mov_b32_dpp v29, v28 quad_perm:[1,0,3,2] row_mask:0xf bank_mask:0xf
	s_cmp_lg_u32 s7, 0
	s_delay_alu instid0(VALU_DEP_1) | instskip(NEXT) | instid1(VALU_DEP_1)
	v_add_f32_e32 v28, v28, v29
	v_mov_b32_dpp v29, v28 quad_perm:[2,3,0,1] row_mask:0xf bank_mask:0xf
	s_delay_alu instid0(VALU_DEP_1) | instskip(NEXT) | instid1(VALU_DEP_1)
	v_add_f32_e32 v28, v28, v29
	v_mov_b32_dpp v29, v28 row_xmask:7 row_mask:0xf bank_mask:0xf
	s_delay_alu instid0(VALU_DEP_1) | instskip(NEXT) | instid1(VALU_DEP_1)
	v_add_f32_e32 v28, v28, v29
	v_div_scale_f32 v29, null, v30, v30, v28
	v_div_scale_f32 v33, vcc_lo, v28, v30, v28
	s_delay_alu instid0(VALU_DEP_2) | instskip(SKIP_2) | instid1(VALU_DEP_1)
	v_rcp_f32_e32 v31, v29
	s_waitcnt_depctr 0xfff
	v_fma_f32 v32, -v29, v31, 1.0
	v_fmac_f32_e32 v31, v32, v31
	s_delay_alu instid0(VALU_DEP_1) | instskip(NEXT) | instid1(VALU_DEP_1)
	v_mul_f32_e32 v32, v33, v31
	v_fma_f32 v34, -v29, v32, v33
	s_delay_alu instid0(VALU_DEP_1) | instskip(NEXT) | instid1(VALU_DEP_1)
	v_fmac_f32_e32 v32, v34, v31
	v_fma_f32 v29, -v29, v32, v33
	v_and_b32_e32 v33, 0xffff, v1
	v_lshrrev_b32_e32 v1, 16, v1
	s_delay_alu instid0(VALU_DEP_3) | instskip(SKIP_2) | instid1(VALU_DEP_4)
	v_div_fmas_f32 v29, v29, v31, v32
	v_and_b32_e32 v31, 0xffff, v7
	v_lshrrev_b32_e32 v7, 16, v7
	v_cvt_f32_u32_e32 v1, v1
	v_cvt_f32_u32_e32 v33, v33
	v_div_fixup_f32 v28, v29, v30, v28
	v_cvt_f32_u32_e32 v31, v31
	v_cvt_f32_u32_e32 v7, v7
	s_delay_alu instid0(VALU_DEP_3) | instskip(NEXT) | instid1(VALU_DEP_1)
	v_cvt_f64_f32_e32 v[28:29], v28
	v_add_f64 v[28:29], v[28:29], s[18:19]
	s_delay_alu instid0(VALU_DEP_1) | instskip(SKIP_2) | instid1(VALU_DEP_2)
	v_cvt_f32_f64_e32 v28, v[28:29]
	v_and_b32_e32 v29, 0xffff, v5
	v_lshrrev_b32_e32 v5, 16, v5
	v_cvt_f32_u32_e32 v29, v29
	s_delay_alu instid0(VALU_DEP_2) | instskip(SKIP_2) | instid1(VALU_DEP_2)
	v_cvt_f32_u32_e32 v5, v5
	v_mul_f32_e32 v34, 0x4b800000, v28
	v_cmp_gt_f32_e32 vcc_lo, 0x800000, v28
	v_cndmask_b32_e32 v28, v28, v34, vcc_lo
	s_delay_alu instid0(VALU_DEP_1) | instskip(SKIP_2) | instid1(VALU_DEP_1)
	v_rsq_f32_e32 v28, v28
	s_waitcnt_depctr 0xfff
	v_mul_f32_e32 v38, 0x45800000, v28
	v_cndmask_b32_e32 v28, v28, v38, vcc_lo
	v_and_b32_e32 v30, 0xffff, v6
	v_and_b32_e32 v32, 0xffff, v8
	v_lshrrev_b32_e32 v6, 16, v6
	v_lshrrev_b32_e32 v8, 16, v8
	v_mul_f32_e32 v13, v28, v13
	v_mul_f32_e32 v11, v28, v11
	v_cvt_f32_u32_e32 v30, v30
	v_cvt_f32_u32_e32 v32, v32
	v_mul_f32_e32 v38, v28, v17
	v_cvt_f32_u32_e32 v6, v6
	v_cvt_f32_u32_e32 v8, v8
	v_mul_f32_e32 v17, v13, v30
	s_delay_alu instid0(VALU_DEP_4)
	v_dual_mul_f32 v13, v38, v32 :: v_dual_and_b32 v34, 0xffff, v3
	v_dual_mul_f32 v39, v28, v18 :: v_dual_and_b32 v36, 0xffff, v4
	v_mul_f32_e32 v21, v28, v21
	v_mul_f32_e32 v12, v28, v12
	;; [unrolled: 1-line block ×3, first 2 shown]
	v_dual_mul_f32 v41, v28, v20 :: v_dual_mul_f32 v20, v11, v5
	v_cvt_f32_u32_e32 v34, v34
	v_mul_f32_e32 v40, v28, v19
	v_mul_f32_e32 v23, v28, v23
	;; [unrolled: 1-line block ×6, first 2 shown]
	v_lshrrev_b32_e32 v3, 16, v3
	v_lshrrev_b32_e32 v4, 16, v4
	v_cvt_f32_u32_e32 v36, v36
	v_mul_f32_e32 v15, v28, v15
	v_dual_mul_f32 v26, v28, v26 :: v_dual_and_b32 v29, 0x7fffffff, v12
	v_mul_f32_e32 v14, v28, v14
	v_cvt_f32_u32_e32 v3, v3
	v_cvt_f32_u32_e32 v4, v4
	v_mul_f32_e32 v25, v28, v25
	s_delay_alu instid0(VALU_DEP_4)
	v_dual_mul_f32 v27, v28, v27 :: v_dual_mul_f32 v18, v14, v6
	v_mul_f32_e32 v14, v39, v8
	v_dual_mul_f32 v24, v28, v24 :: v_dual_mul_f32 v15, v15, v31
	v_dual_mul_f32 v8, v23, v2 :: v_dual_and_b32 v1, 0x7fffffff, v19
	v_and_b32_e32 v21, 0x7fffffff, v17
	v_dual_mul_f32 v11, v40, v33 :: v_dual_mul_f32 v6, v25, v3
	v_and_b32_e32 v2, 0x7fffffff, v20
	;;#ASMSTART
	v_max3_f32 v1, v37, v1, v2

	;;#ASMEND
	v_dual_mul_f32 v4, v27, v4 :: v_dual_and_b32 v23, 0x7fffffff, v18
	s_delay_alu instid0(VALU_DEP_3)
	v_and_b32_e32 v33, 0x7fffffff, v6
	v_and_b32_e32 v25, 0x7fffffff, v16
	v_mul_f32_e32 v3, v26, v36
	v_and_b32_e32 v27, 0x7fffffff, v14
	v_mul_f32_e32 v5, v24, v34
	;;#ASMSTART
	v_max3_f32 v1, v1, v21, v23

	;;#ASMEND
	v_and_b32_e32 v24, 0x7fffffff, v15
	;;#ASMSTART
	v_max3_f32 v1, v1, v24, v25

	;;#ASMEND
	v_and_b32_e32 v26, 0x7fffffff, v13
	;; [unrolled: 5-line block ×4, first 2 shown]
	v_and_b32_e32 v31, 0x7fffffff, v8
	;;#ASMSTART
	v_max3_f32 v1, v1, v30, v31

	;;#ASMEND
	v_and_b32_e32 v32, 0x7fffffff, v5
	v_and_b32_e32 v34, 0x7fffffff, v3
	;; [unrolled: 1-line block ×3, first 2 shown]
	;;#ASMSTART
	v_max3_f32 v1, v1, v32, v33

	;;#ASMEND
	;;#ASMSTART
	v_max3_f32 v21, v1, v34, v35

	;;#ASMEND
	s_cbranch_scc0 .LBB78_10
; %bb.4:
	s_ashr_i32 s11, s7, 31
	s_delay_alu instid0(SALU_CYCLE_1) | instskip(NEXT) | instid1(SALU_CYCLE_1)
	s_lshr_b32 s3, s11, 28
	s_add_i32 s3, s7, s3
	s_delay_alu instid0(SALU_CYCLE_1) | instskip(NEXT) | instid1(SALU_CYCLE_1)
	s_ashr_i32 s3, s3, 4
	s_cmp_lt_i32 s3, 8
	s_cbranch_scc1 .LBB78_11
; %bb.5:
	s_cmp_lt_i32 s3, 16
	s_cbranch_scc1 .LBB78_12
; %bb.6:
	;; [unrolled: 3-line block ×3, first 2 shown]
	v_mov_b32_e32 v1, v21
	s_cmp_eq_u32 s3, 32
	s_cbranch_scc0 .LBB78_9
; %bb.8:
	s_delay_alu instid0(VALU_DEP_1) | instskip(SKIP_1) | instid1(VALU_DEP_1)
	v_mov_b32_dpp v1, v21 quad_perm:[1,0,3,2] row_mask:0xf bank_mask:0xf
	s_mov_b32 s12, 0x76543210
	v_cmp_gt_f32_e32 vcc_lo, v21, v1
	v_cndmask_b32_e32 v1, v1, v21, vcc_lo
	s_delay_alu instid0(VALU_DEP_1) | instskip(NEXT) | instid1(VALU_DEP_1)
	v_mov_b32_dpp v2, v1 quad_perm:[2,3,0,1] row_mask:0xf bank_mask:0xf
	v_cmp_gt_f32_e32 vcc_lo, v1, v2
	v_cndmask_b32_e32 v1, v2, v1, vcc_lo
	s_delay_alu instid0(VALU_DEP_1) | instskip(NEXT) | instid1(VALU_DEP_1)
	v_mov_b32_dpp v2, v1 row_xmask:7 row_mask:0xf bank_mask:0xf
	v_cmp_gt_f32_e32 vcc_lo, v1, v2
	v_cndmask_b32_e32 v1, v2, v1, vcc_lo
	s_delay_alu instid0(VALU_DEP_1) | instskip(NEXT) | instid1(VALU_DEP_1)
	v_mov_b32_dpp v2, v1 row_xmask:15 row_mask:0xf bank_mask:0xf
	v_cmp_gt_f32_e32 vcc_lo, v1, v2
	v_cndmask_b32_e32 v1, v2, v1, vcc_lo
	s_delay_alu instid0(VALU_DEP_1) | instskip(NEXT) | instid1(VALU_DEP_1)
	v_permlanex16_b32 v2, v1, s12, 0xfedcba98 op_sel:[1,1]
	v_cmp_gt_f32_e32 vcc_lo, v1, v2
	v_cndmask_b32_e32 v1, v2, v1, vcc_lo
.LBB78_9:
	s_mov_b32 s12, 0
	s_branch .LBB78_14
.LBB78_10:
	s_mov_b32 s3, 0
                                        ; implicit-def: $vgpr22
                                        ; implicit-def: $vgpr1_vgpr2
	s_and_b32 vcc_lo, exec_lo, s15
	s_cbranch_vccnz .LBB78_38
	s_branch .LBB78_41
.LBB78_11:
                                        ; implicit-def: $vgpr1
	s_branch .LBB78_21
.LBB78_12:
                                        ; implicit-def: $vgpr1
	s_branch .LBB78_18
.LBB78_13:
	s_mov_b32 s12, -1
                                        ; implicit-def: $vgpr1
.LBB78_14:
	s_delay_alu instid0(SALU_CYCLE_1)
	s_and_not1_b32 vcc_lo, exec_lo, s12
	s_cbranch_vccnz .LBB78_17
; %bb.15:
	v_mov_b32_e32 v1, v21
	s_cmp_eq_u32 s3, 16
	s_cbranch_scc0 .LBB78_17
; %bb.16:
	s_delay_alu instid0(VALU_DEP_1) | instskip(NEXT) | instid1(VALU_DEP_1)
	v_mov_b32_dpp v1, v21 quad_perm:[1,0,3,2] row_mask:0xf bank_mask:0xf
	v_cmp_gt_f32_e32 vcc_lo, v21, v1
	v_cndmask_b32_e32 v1, v1, v21, vcc_lo
	s_delay_alu instid0(VALU_DEP_1) | instskip(NEXT) | instid1(VALU_DEP_1)
	v_mov_b32_dpp v2, v1 quad_perm:[2,3,0,1] row_mask:0xf bank_mask:0xf
	v_cmp_gt_f32_e32 vcc_lo, v1, v2
	v_cndmask_b32_e32 v1, v2, v1, vcc_lo
	s_delay_alu instid0(VALU_DEP_1) | instskip(NEXT) | instid1(VALU_DEP_1)
	v_mov_b32_dpp v2, v1 row_half_mirror row_mask:0xf bank_mask:0xf
	v_cmp_gt_f32_e32 vcc_lo, v1, v2
	v_cndmask_b32_e32 v1, v2, v1, vcc_lo
	s_delay_alu instid0(VALU_DEP_1) | instskip(NEXT) | instid1(VALU_DEP_1)
	v_mov_b32_dpp v2, v1 row_mirror row_mask:0xf bank_mask:0xf
	v_cmp_gt_f32_e32 vcc_lo, v1, v2
	v_cndmask_b32_e32 v1, v2, v1, vcc_lo
.LBB78_17:
	s_cbranch_execnz .LBB78_20
.LBB78_18:
	v_mov_b32_e32 v1, v21
	s_cmp_eq_u32 s3, 8
	s_cbranch_scc0 .LBB78_20
; %bb.19:
	s_delay_alu instid0(VALU_DEP_1) | instskip(NEXT) | instid1(VALU_DEP_1)
	v_mov_b32_dpp v1, v21 quad_perm:[1,0,3,2] row_mask:0xf bank_mask:0xf
	v_cmp_gt_f32_e32 vcc_lo, v21, v1
	v_cndmask_b32_e32 v1, v1, v21, vcc_lo
	s_delay_alu instid0(VALU_DEP_1) | instskip(NEXT) | instid1(VALU_DEP_1)
	v_mov_b32_dpp v2, v1 quad_perm:[2,3,0,1] row_mask:0xf bank_mask:0xf
	v_cmp_gt_f32_e32 vcc_lo, v1, v2
	v_cndmask_b32_e32 v1, v2, v1, vcc_lo
	s_delay_alu instid0(VALU_DEP_1) | instskip(NEXT) | instid1(VALU_DEP_1)
	v_mov_b32_dpp v2, v1 row_half_mirror row_mask:0xf bank_mask:0xf
	v_cmp_gt_f32_e32 vcc_lo, v1, v2
	v_cndmask_b32_e32 v1, v2, v1, vcc_lo
.LBB78_20:
	s_cbranch_execnz .LBB78_28
.LBB78_21:
	s_cmp_lt_i32 s3, 4
	s_cbranch_scc1 .LBB78_24
; %bb.22:
	v_mov_b32_e32 v1, v21
	s_cmp_eq_u32 s3, 4
	s_cbranch_scc0 .LBB78_25
; %bb.23:
	s_delay_alu instid0(VALU_DEP_1) | instskip(NEXT) | instid1(VALU_DEP_1)
	v_mov_b32_dpp v1, v21 quad_perm:[1,0,3,2] row_mask:0xf bank_mask:0xf
	v_cmp_gt_f32_e32 vcc_lo, v21, v1
	v_cndmask_b32_e32 v1, v1, v21, vcc_lo
	s_delay_alu instid0(VALU_DEP_1) | instskip(NEXT) | instid1(VALU_DEP_1)
	v_mov_b32_dpp v2, v1 quad_perm:[2,3,0,1] row_mask:0xf bank_mask:0xf
	v_cmp_gt_f32_e32 vcc_lo, v1, v2
	v_cndmask_b32_e32 v1, v2, v1, vcc_lo
	s_cbranch_execz .LBB78_26
	s_branch .LBB78_28
.LBB78_24:
                                        ; implicit-def: $vgpr1
	s_branch .LBB78_26
.LBB78_25:
	s_cbranch_execnz .LBB78_28
.LBB78_26:
	v_mov_b32_e32 v1, v21
	s_cmp_lg_u32 s3, 2
	s_cbranch_scc1 .LBB78_28
; %bb.27:
	s_delay_alu instid0(VALU_DEP_1) | instskip(NEXT) | instid1(VALU_DEP_1)
	v_mov_b32_dpp v1, v21 quad_perm:[1,0,3,2] row_mask:0xf bank_mask:0xf
	v_cmp_gt_f32_e32 vcc_lo, v21, v1
	v_cndmask_b32_e32 v1, v1, v21, vcc_lo
.LBB78_28:
	v_cvt_f32_u32_e32 v2, s3
	s_sub_i32 s12, 0, s3
	s_mov_b32 s15, 0
	s_delay_alu instid0(VALU_DEP_1) | instskip(SKIP_2) | instid1(VALU_DEP_1)
	v_rcp_iflag_f32_e32 v2, v2
	s_waitcnt_depctr 0xfff
	v_mul_f32_e32 v2, 0x4f7ffffe, v2
	v_cvt_u32_f32_e32 v2, v2
	s_delay_alu instid0(VALU_DEP_1) | instskip(NEXT) | instid1(VALU_DEP_1)
	v_mul_lo_u32 v23, s12, v2
	v_mul_hi_u32 v23, v2, v23
	s_delay_alu instid0(VALU_DEP_1) | instskip(NEXT) | instid1(VALU_DEP_1)
	v_add_nc_u32_e32 v2, v2, v23
	v_mul_hi_u32 v2, v0, v2
	s_delay_alu instid0(VALU_DEP_1) | instskip(SKIP_1) | instid1(VALU_DEP_2)
	v_mul_lo_u32 v23, v2, s3
	v_add_nc_u32_e32 v24, 1, v2
	v_sub_nc_u32_e32 v23, v0, v23
	s_delay_alu instid0(VALU_DEP_1) | instskip(SKIP_1) | instid1(VALU_DEP_2)
	v_subrev_nc_u32_e32 v25, s3, v23
	v_cmp_le_u32_e32 vcc_lo, s3, v23
	v_dual_cndmask_b32 v23, v23, v25 :: v_dual_cndmask_b32 v2, v2, v24
	s_delay_alu instid0(VALU_DEP_1) | instskip(NEXT) | instid1(VALU_DEP_2)
	v_cmp_le_u32_e32 vcc_lo, s3, v23
	v_add_nc_u32_e32 v24, 1, v2
	s_delay_alu instid0(VALU_DEP_1) | instskip(SKIP_2) | instid1(VALU_DEP_3)
	v_cndmask_b32_e32 v23, v2, v24, vcc_lo
	v_cmp_gt_u32_e32 vcc_lo, s5, v22
	v_mul_f32_e32 v22, 0x3b124925, v1
	v_mul_lo_u32 v2, v23, s3
	s_delay_alu instid0(VALU_DEP_1) | instskip(NEXT) | instid1(VALU_DEP_1)
	v_sub_nc_u32_e32 v2, v0, v2
	v_cmp_eq_u32_e64 s3, 0, v2
                                        ; implicit-def: $vgpr1_vgpr2
	s_delay_alu instid0(VALU_DEP_1) | instskip(SKIP_2) | instid1(SALU_CYCLE_1)
	s_and_b32 s12, s3, vcc_lo
	s_mov_b32 s3, 0
	s_and_saveexec_b32 s13, s12
	s_xor_b32 s14, exec_lo, s13
	s_cbranch_execz .LBB78_37
; %bb.29:
	s_bitcmp0_b32 s10, 0
	s_mov_b32 s16, 0
	s_cbranch_scc0 .LBB78_34
; %bb.30:
	s_ashr_i32 s3, s5, 31
	s_mul_hi_u32 s10, s5, s20
	s_mul_i32 s3, s3, s20
	s_mul_i32 s12, s5, s20
	s_add_i32 s13, s10, s3
	s_mov_b32 s10, s7
	s_delay_alu instid0(SALU_CYCLE_1) | instskip(NEXT) | instid1(SALU_CYCLE_1)
	s_or_b64 s[18:19], s[12:13], s[10:11]
	s_mov_b32 s17, s19
	s_delay_alu instid0(SALU_CYCLE_1)
	s_cmp_lg_u64 s[16:17], 0
	s_cbranch_scc0 .LBB78_45
; %bb.31:
	s_add_u32 s18, s10, s11
	s_mov_b32 s16, s11
	s_mov_b32 s17, s11
	s_addc_u32 s19, s11, s11
	s_delay_alu instid0(SALU_CYCLE_1) | instskip(NEXT) | instid1(SALU_CYCLE_1)
	s_xor_b64 s[18:19], s[18:19], s[16:17]
	v_cvt_f32_u32_e32 v1, s18
	v_cvt_f32_u32_e32 v2, s19
	s_sub_u32 s11, 0, s18
	s_subb_u32 s22, 0, s19
	s_delay_alu instid0(VALU_DEP_1) | instskip(NEXT) | instid1(VALU_DEP_1)
	v_fmamk_f32 v1, v2, 0x4f800000, v1
	v_rcp_f32_e32 v1, v1
	s_waitcnt_depctr 0xfff
	v_mul_f32_e32 v1, 0x5f7ffffc, v1
	s_delay_alu instid0(VALU_DEP_1) | instskip(NEXT) | instid1(VALU_DEP_1)
	v_mul_f32_e32 v2, 0x2f800000, v1
	v_trunc_f32_e32 v2, v2
	s_delay_alu instid0(VALU_DEP_1) | instskip(SKIP_1) | instid1(VALU_DEP_2)
	v_fmamk_f32 v1, v2, 0xcf800000, v1
	v_cvt_u32_f32_e32 v2, v2
	v_cvt_u32_f32_e32 v1, v1
	s_delay_alu instid0(VALU_DEP_2) | instskip(NEXT) | instid1(VALU_DEP_2)
	v_readfirstlane_b32 s3, v2
	v_readfirstlane_b32 s7, v1
	s_delay_alu instid0(VALU_DEP_2) | instskip(NEXT) | instid1(VALU_DEP_1)
	s_mul_i32 s23, s11, s3
	s_mul_hi_u32 s25, s11, s7
	s_mul_i32 s24, s22, s7
	s_add_i32 s23, s25, s23
	s_mul_i32 s26, s11, s7
	s_add_i32 s23, s23, s24
	s_mul_hi_u32 s25, s7, s26
	s_mul_hi_u32 s27, s3, s26
	s_mul_i32 s24, s3, s26
	s_mul_hi_u32 s26, s7, s23
	s_mul_i32 s7, s7, s23
	s_mul_hi_u32 s28, s3, s23
	s_add_u32 s7, s25, s7
	s_addc_u32 s25, 0, s26
	s_add_u32 s7, s7, s24
	s_mul_i32 s23, s3, s23
	s_addc_u32 s7, s25, s27
	s_addc_u32 s24, s28, 0
	s_add_u32 s7, s7, s23
	s_addc_u32 s23, 0, s24
	v_add_co_u32 v1, s7, v1, s7
	s_delay_alu instid0(VALU_DEP_1) | instskip(SKIP_1) | instid1(VALU_DEP_1)
	s_cmp_lg_u32 s7, 0
	s_addc_u32 s3, s3, s23
	v_readfirstlane_b32 s7, v1
	s_mul_i32 s23, s11, s3
	s_delay_alu instid0(VALU_DEP_1)
	s_mul_hi_u32 s24, s11, s7
	s_mul_i32 s22, s22, s7
	s_add_i32 s23, s24, s23
	s_mul_i32 s11, s11, s7
	s_add_i32 s23, s23, s22
	s_mul_hi_u32 s24, s3, s11
	s_mul_i32 s25, s3, s11
	s_mul_hi_u32 s11, s7, s11
	s_mul_hi_u32 s26, s7, s23
	s_mul_i32 s7, s7, s23
	s_mul_hi_u32 s22, s3, s23
	s_add_u32 s7, s11, s7
	s_addc_u32 s11, 0, s26
	s_add_u32 s7, s7, s25
	s_mul_i32 s23, s3, s23
	s_addc_u32 s7, s11, s24
	s_addc_u32 s11, s22, 0
	s_add_u32 s7, s7, s23
	s_addc_u32 s11, 0, s11
	v_add_co_u32 v1, s7, v1, s7
	s_delay_alu instid0(VALU_DEP_1) | instskip(SKIP_2) | instid1(VALU_DEP_1)
	s_cmp_lg_u32 s7, 0
	s_addc_u32 s3, s3, s11
	s_ashr_i32 s22, s13, 31
	v_readfirstlane_b32 s7, v1
	s_add_u32 s24, s12, s22
	s_mov_b32 s23, s22
	s_addc_u32 s25, s13, s22
	s_delay_alu instid0(SALU_CYCLE_1) | instskip(NEXT) | instid1(SALU_CYCLE_1)
	s_xor_b64 s[24:25], s[24:25], s[22:23]
	s_mul_i32 s13, s24, s3
	s_mul_hi_u32 s26, s24, s7
	s_mul_hi_u32 s11, s24, s3
	;; [unrolled: 1-line block ×3, first 2 shown]
	s_mul_i32 s7, s25, s7
	s_add_u32 s13, s26, s13
	s_addc_u32 s11, 0, s11
	s_mul_hi_u32 s27, s25, s3
	s_add_u32 s7, s13, s7
	s_mul_i32 s3, s25, s3
	s_addc_u32 s7, s11, s28
	s_addc_u32 s11, s27, 0
	s_add_u32 s7, s7, s3
	s_addc_u32 s11, 0, s11
	s_mul_i32 s27, s18, s7
	s_mul_hi_u32 s3, s18, s7
	s_mul_i32 s26, s18, s11
	v_sub_co_u32 v1, s24, s24, s27
	s_mul_i32 s13, s19, s7
	s_add_i32 s3, s3, s26
	s_delay_alu instid0(SALU_CYCLE_1) | instskip(NEXT) | instid1(VALU_DEP_1)
	s_add_i32 s3, s3, s13
	v_sub_co_u32 v2, s26, v1, s18
	s_sub_i32 s13, s25, s3
	s_cmp_lg_u32 s24, 0
	s_subb_u32 s13, s13, s19
	s_cmp_lg_u32 s26, 0
	v_cmp_le_u32_e32 vcc_lo, s18, v2
	s_subb_u32 s13, s13, 0
	s_delay_alu instid0(SALU_CYCLE_1)
	s_cmp_ge_u32 s13, s19
	v_cndmask_b32_e64 v2, 0, -1, vcc_lo
	s_cselect_b32 s26, -1, 0
	s_cmp_eq_u32 s13, s19
	s_cselect_b32 vcc_lo, -1, 0
	s_add_u32 s13, s7, 1
	v_cndmask_b32_e32 v2, s26, v2, vcc_lo
	s_addc_u32 s26, s11, 0
	s_add_u32 s27, s7, 2
	s_addc_u32 s28, s11, 0
	s_cmp_lg_u32 s24, 0
	v_cmp_le_u32_e32 vcc_lo, s18, v1
	s_subb_u32 s3, s25, s3
	v_mov_b32_e32 v24, s27
	s_cmp_ge_u32 s3, s19
	v_cndmask_b32_e64 v1, 0, -1, vcc_lo
	s_cselect_b32 s18, -1, 0
	s_cmp_eq_u32 s3, s19
	v_cmp_ne_u32_e32 vcc_lo, 0, v2
	v_mov_b32_e32 v2, s28
	s_cselect_b32 s3, -1, 0
	s_xor_b64 s[16:17], s[22:23], s[16:17]
	v_cndmask_b32_e64 v1, s18, v1, s3
	v_cndmask_b32_e32 v24, s13, v24, vcc_lo
	v_cndmask_b32_e32 v2, s26, v2, vcc_lo
	s_delay_alu instid0(VALU_DEP_3) | instskip(NEXT) | instid1(VALU_DEP_2)
	v_cmp_ne_u32_e32 vcc_lo, 0, v1
	v_cndmask_b32_e32 v1, s11, v2, vcc_lo
	s_delay_alu instid0(VALU_DEP_4) | instskip(NEXT) | instid1(VALU_DEP_2)
	v_cndmask_b32_e32 v2, s7, v24, vcc_lo
	v_xor_b32_e32 v24, s17, v1
	s_delay_alu instid0(VALU_DEP_2) | instskip(NEXT) | instid1(VALU_DEP_1)
	v_xor_b32_e32 v2, s16, v2
	v_sub_co_u32 v1, vcc_lo, v2, s16
	s_delay_alu instid0(VALU_DEP_3)
	v_subrev_co_ci_u32_e32 v2, vcc_lo, s17, v24, vcc_lo
	s_cbranch_execnz .LBB78_33
.LBB78_32:
	v_cvt_f32_u32_e32 v1, s10
	s_sub_i32 s7, 0, s10
	s_delay_alu instid0(VALU_DEP_1) | instskip(SKIP_2) | instid1(VALU_DEP_1)
	v_rcp_iflag_f32_e32 v1, v1
	s_waitcnt_depctr 0xfff
	v_mul_f32_e32 v1, 0x4f7ffffe, v1
	v_cvt_u32_f32_e32 v1, v1
	s_delay_alu instid0(VALU_DEP_1) | instskip(NEXT) | instid1(VALU_DEP_1)
	v_readfirstlane_b32 s3, v1
	s_mul_i32 s7, s7, s3
	s_delay_alu instid0(SALU_CYCLE_1) | instskip(NEXT) | instid1(SALU_CYCLE_1)
	s_mul_hi_u32 s7, s3, s7
	s_add_i32 s3, s3, s7
	s_delay_alu instid0(SALU_CYCLE_1) | instskip(NEXT) | instid1(SALU_CYCLE_1)
	s_mul_hi_u32 s3, s12, s3
	s_mul_i32 s7, s3, s10
	s_add_i32 s11, s3, 1
	s_sub_i32 s7, s12, s7
	s_delay_alu instid0(SALU_CYCLE_1)
	s_sub_i32 s12, s7, s10
	s_cmp_ge_u32 s7, s10
	s_cselect_b32 s3, s11, s3
	s_cselect_b32 s7, s12, s7
	s_add_i32 s12, s3, 1
	s_cmp_ge_u32 s7, s10
	s_mov_b32 s11, 0
	s_cselect_b32 s10, s12, s3
	s_delay_alu instid0(SALU_CYCLE_1)
	v_dual_mov_b32 v1, s10 :: v_dual_mov_b32 v2, s11
.LBB78_33:
	s_delay_alu instid0(VALU_DEP_1) | instskip(NEXT) | instid1(VALU_DEP_2)
	v_add_co_u32 v1, vcc_lo, v1, v23
	v_add_co_ci_u32_e32 v2, vcc_lo, 0, v2, vcc_lo
	s_branch .LBB78_36
.LBB78_34:
                                        ; implicit-def: $vgpr1_vgpr2
	s_cbranch_execz .LBB78_36
; %bb.35:
	v_mul_lo_u32 v1, v23, s4
	s_delay_alu instid0(VALU_DEP_1) | instskip(SKIP_1) | instid1(VALU_DEP_2)
	v_ashrrev_i32_e32 v2, 31, v1
	v_add_co_u32 v1, vcc_lo, v1, s20
	v_add_co_ci_u32_e32 v2, vcc_lo, 0, v2, vcc_lo
.LBB78_36:
	s_mov_b32 s3, exec_lo
.LBB78_37:
	s_or_b32 exec_lo, exec_lo, s14
	s_delay_alu instid0(SALU_CYCLE_1)
	s_and_b32 vcc_lo, exec_lo, s15
	s_cbranch_vccz .LBB78_41
.LBB78_38:
	v_mov_b32_dpp v1, v21 quad_perm:[1,0,3,2] row_mask:0xf bank_mask:0xf
	s_delay_alu instid0(VALU_DEP_1) | instskip(SKIP_1) | instid1(VALU_DEP_1)
	v_cmp_gt_f32_e32 vcc_lo, v21, v1
	v_cndmask_b32_e32 v1, v1, v21, vcc_lo
	v_mov_b32_dpp v2, v1 quad_perm:[2,3,0,1] row_mask:0xf bank_mask:0xf
	s_delay_alu instid0(VALU_DEP_1) | instskip(SKIP_1) | instid1(VALU_DEP_1)
	v_cmp_gt_f32_e32 vcc_lo, v1, v2
	v_cndmask_b32_e32 v1, v2, v1, vcc_lo
	v_mov_b32_dpp v2, v1 row_xmask:7 row_mask:0xf bank_mask:0xf
	s_delay_alu instid0(VALU_DEP_1) | instskip(SKIP_1) | instid1(VALU_DEP_1)
	v_cmp_gt_f32_e32 vcc_lo, v1, v2
	v_cndmask_b32_e32 v1, v2, v1, vcc_lo
	v_mov_b32_dpp v2, v1 row_xmask:15 row_mask:0xf bank_mask:0xf
	s_delay_alu instid0(VALU_DEP_1)
	v_cmp_gt_f32_e32 vcc_lo, v1, v2
	s_and_saveexec_b32 s3, s2
	s_cbranch_execz .LBB78_40
; %bb.39:
	v_cndmask_b32_e32 v1, v2, v1, vcc_lo
	v_lshrrev_b32_e32 v2, 3, v0
	s_mov_b32 s2, 0x76543210
	s_delay_alu instid0(VALU_DEP_1) | instskip(NEXT) | instid1(VALU_DEP_3)
	v_and_b32_e32 v2, 0x7c, v2
	v_permlanex16_b32 v21, v1, s2, 0xfedcba98 op_sel:[1,1]
	s_delay_alu instid0(VALU_DEP_1)
	v_cmp_gt_f32_e32 vcc_lo, v1, v21
	v_cndmask_b32_e32 v1, v21, v1, vcc_lo
	ds_store_b32 v2, v1
.LBB78_40:
	s_or_b32 exec_lo, exec_lo, s3
	s_waitcnt lgkmcnt(0)
	s_barrier
	buffer_gl0_inv
	ds_load_b32 v1, v10
	v_cmp_eq_u32_e64 s3, 0, v0
	s_waitcnt lgkmcnt(0)
	v_mov_b32_dpp v2, v1 quad_perm:[1,0,3,2] row_mask:0xf bank_mask:0xf
	s_delay_alu instid0(VALU_DEP_1) | instskip(SKIP_1) | instid1(VALU_DEP_1)
	v_cmp_gt_f32_e32 vcc_lo, v1, v2
	v_cndmask_b32_e32 v1, v2, v1, vcc_lo
	v_mov_b32_dpp v2, v1 quad_perm:[2,3,0,1] row_mask:0xf bank_mask:0xf
	s_delay_alu instid0(VALU_DEP_1) | instskip(SKIP_1) | instid1(VALU_DEP_1)
	v_cmp_gt_f32_e32 vcc_lo, v1, v2
	v_cndmask_b32_e32 v1, v2, v1, vcc_lo
	v_mov_b32_dpp v2, v1 row_xmask:7 row_mask:0xf bank_mask:0xf
	s_delay_alu instid0(VALU_DEP_1) | instskip(SKIP_1) | instid1(VALU_DEP_1)
	v_cmp_gt_f32_e32 vcc_lo, v1, v2
	v_cndmask_b32_e32 v1, v2, v1, vcc_lo
	v_dual_mul_f32 v22, 0x3b124925, v1 :: v_dual_mov_b32 v1, s20
	v_mov_b32_e32 v2, s21
.LBB78_41:
	s_and_saveexec_b32 s2, s3
	s_cbranch_execz .LBB78_43
; %bb.42:
	s_delay_alu instid0(VALU_DEP_1) | instskip(NEXT) | instid1(VALU_DEP_1)
	v_lshlrev_b64 v[0:1], 2, v[1:2]
	v_add_co_u32 v0, vcc_lo, s8, v0
	s_delay_alu instid0(VALU_DEP_2)
	v_add_co_ci_u32_e32 v1, vcc_lo, s9, v1, vcc_lo
	global_store_b32 v[0:1], v22, off
.LBB78_43:
	s_or_b32 exec_lo, exec_lo, s2
	;;#ASMSTART
	v_rcp_f32 v2, v22
	;;#ASMEND
	v_dual_mul_f32 v0, v19, v2 :: v_dual_mov_b32 v19, 0x43e00000
	v_dual_mul_f32 v1, v20, v2 :: v_dual_mov_b32 v10, 0xc3e00000
	v_mul_f32_e32 v17, v17, v2
	v_mul_f32_e32 v18, v18, v2
	;;#ASMSTART
	v_med3_f32 v0, v0, v10, v19
v_med3_f32 v1, v1, v10, v19
v_cvt_pk_fp8_f32 v20, v0, v1
	;;#ASMEND
	;;#ASMSTART
	v_med3_f32 v17, v17, v10, v19
v_med3_f32 v18, v18, v10, v19
v_cvt_pk_fp8_f32 v0, v17, v18
	;;#ASMEND
	v_perm_b32 v1, v0, v20, 0x5040100
	s_load_b64 s[0:1], s[0:1], 0x0
	v_and_b32_e32 v0, 0xffffff00, v0
	s_add_i32 s2, s5, 3
	v_mul_f32_e32 v16, v16, v2
	v_lshrrev_b32_e32 v17, 16, v1
	s_ashr_i32 s3, s2, 31
	v_mul_f32_e32 v13, v13, v2
	s_lshr_b32 s3, s3, 30
	s_delay_alu instid0(VALU_DEP_2)
	v_dual_mul_f32 v14, v14, v2 :: v_dual_and_b32 v17, 0xff, v17
	s_add_i32 s2, s2, s3
	s_ashr_i32 s3, s6, 31
	s_mul_hi_u32 s4, s6, s20
	s_mul_i32 s3, s3, s20
	v_or_b32_e32 v0, v17, v0
	v_mul_f32_e32 v15, v15, v2
	s_add_i32 s4, s4, s3
	s_mul_i32 s3, s6, s20
	s_and_b32 s2, s2, -4
	v_lshlrev_b32_e32 v0, 16, v0
	;;#ASMSTART
	v_med3_f32 v15, v15, v10, v19
v_med3_f32 v16, v16, v10, v19
v_cvt_pk_fp8_f32 v17, v15, v16
	;;#ASMEND
	;;#ASMSTART
	v_med3_f32 v13, v13, v10, v19
v_med3_f32 v14, v14, v10, v19
v_cvt_pk_fp8_f32 v15, v13, v14
	;;#ASMEND
	v_lshlrev_b32_e32 v13, 16, v15
	s_waitcnt lgkmcnt(0)
	s_add_u32 s0, s0, s3
	v_and_or_b32 v0, 0xffff, v1, v0
	s_addc_u32 s1, s1, s4
	s_mov_b32 s3, -1
	v_and_or_b32 v1, 0xffff, v17, v13
	s_and_b32 s1, s1, 0xffff
	v_mul_f32_e32 v11, v11, v2
	v_mul_f32_e32 v12, v12, v2
	;; [unrolled: 1-line block ×4, first 2 shown]
	buffer_store_b64 v[0:1], v9, s[0:3], 0 offen
	;;#ASMSTART
	s_nop 0
	;;#ASMEND
	;;#ASMSTART
	v_med3_f32 v11, v11, v10, v19
v_med3_f32 v12, v12, v10, v19
v_cvt_pk_fp8_f32 v0, v11, v12
	;;#ASMEND
	;;#ASMSTART
	v_med3_f32 v7, v7, v10, v19
v_med3_f32 v8, v8, v10, v19
v_cvt_pk_fp8_f32 v1, v7, v8
	;;#ASMEND
	v_perm_b32 v0, v1, v0, 0x5040100
	v_and_b32_e32 v1, 0xffffff00, v1
	v_mul_f32_e32 v5, v5, v2
	v_mul_f32_e32 v6, v6, v2
	;; [unrolled: 1-line block ×3, first 2 shown]
	v_lshrrev_b32_e32 v7, 16, v0
	v_mul_f32_e32 v2, v4, v2
	;;#ASMSTART
	v_med3_f32 v5, v5, v10, v19
v_med3_f32 v6, v6, v10, v19
v_cvt_pk_fp8_f32 v4, v5, v6
	;;#ASMEND
	;;#ASMSTART
	v_med3_f32 v3, v3, v10, v19
v_med3_f32 v2, v2, v10, v19
v_cvt_pk_fp8_f32 v5, v3, v2
	;;#ASMEND
	v_lshlrev_b32_e32 v2, 16, v5
	v_and_b32_e32 v7, 0xff, v7
	s_movk_i32 s4, 0x100
	s_delay_alu instid0(VALU_DEP_1) | instskip(NEXT) | instid1(VALU_DEP_1)
	v_or_b32_e32 v1, v7, v1
	v_lshlrev_b32_e32 v3, 16, v1
	v_and_or_b32 v1, 0xffff, v4, v2
	s_delay_alu instid0(VALU_DEP_2)
	v_and_or_b32 v0, 0xffff, v0, v3
	buffer_store_b64 v[0:1], v9, s[0:3], s4 offen
	;;#ASMSTART
	s_nop 0
	;;#ASMEND
.LBB78_44:
	s_nop 0
	s_sendmsg sendmsg(MSG_DEALLOC_VGPRS)
	s_endpgm
.LBB78_45:
                                        ; implicit-def: $vgpr1_vgpr2
	s_branch .LBB78_32
	.section	.rodata,"a",@progbits
	.p2align	6, 0x0
	.amdhsa_kernel _ZN5aiter24add_rmsnorm_quant_kernelItDB8_Li256ELi16ELb0ELb1ELb1ELi1EEEvPT0_PT_PfS5_S5_S5_diiiiiiib
		.amdhsa_group_segment_fixed_size 64
		.amdhsa_private_segment_fixed_size 0
		.amdhsa_kernarg_size 88
		.amdhsa_user_sgpr_count 15
		.amdhsa_user_sgpr_dispatch_ptr 0
		.amdhsa_user_sgpr_queue_ptr 0
		.amdhsa_user_sgpr_kernarg_segment_ptr 1
		.amdhsa_user_sgpr_dispatch_id 0
		.amdhsa_user_sgpr_private_segment_size 0
		.amdhsa_wavefront_size32 1
		.amdhsa_uses_dynamic_stack 0
		.amdhsa_enable_private_segment 0
		.amdhsa_system_sgpr_workgroup_id_x 1
		.amdhsa_system_sgpr_workgroup_id_y 0
		.amdhsa_system_sgpr_workgroup_id_z 0
		.amdhsa_system_sgpr_workgroup_info 0
		.amdhsa_system_vgpr_workitem_id 0
		.amdhsa_next_free_vgpr 42
		.amdhsa_next_free_sgpr 29
		.amdhsa_reserve_vcc 1
		.amdhsa_float_round_mode_32 0
		.amdhsa_float_round_mode_16_64 0
		.amdhsa_float_denorm_mode_32 3
		.amdhsa_float_denorm_mode_16_64 3
		.amdhsa_dx10_clamp 1
		.amdhsa_ieee_mode 1
		.amdhsa_fp16_overflow 0
		.amdhsa_workgroup_processor_mode 1
		.amdhsa_memory_ordered 1
		.amdhsa_forward_progress 0
		.amdhsa_shared_vgpr_count 0
		.amdhsa_exception_fp_ieee_invalid_op 0
		.amdhsa_exception_fp_denorm_src 0
		.amdhsa_exception_fp_ieee_div_zero 0
		.amdhsa_exception_fp_ieee_overflow 0
		.amdhsa_exception_fp_ieee_underflow 0
		.amdhsa_exception_fp_ieee_inexact 0
		.amdhsa_exception_int_div_zero 0
	.end_amdhsa_kernel
	.section	.text._ZN5aiter24add_rmsnorm_quant_kernelItDB8_Li256ELi16ELb0ELb1ELb1ELi1EEEvPT0_PT_PfS5_S5_S5_diiiiiiib,"axG",@progbits,_ZN5aiter24add_rmsnorm_quant_kernelItDB8_Li256ELi16ELb0ELb1ELb1ELi1EEEvPT0_PT_PfS5_S5_S5_diiiiiiib,comdat
.Lfunc_end78:
	.size	_ZN5aiter24add_rmsnorm_quant_kernelItDB8_Li256ELi16ELb0ELb1ELb1ELi1EEEvPT0_PT_PfS5_S5_S5_diiiiiiib, .Lfunc_end78-_ZN5aiter24add_rmsnorm_quant_kernelItDB8_Li256ELi16ELb0ELb1ELb1ELi1EEEvPT0_PT_PfS5_S5_S5_diiiiiiib
                                        ; -- End function
	.section	.AMDGPU.csdata,"",@progbits
; Kernel info:
; codeLenInByte = 4296
; NumSgprs: 31
; NumVgprs: 42
; ScratchSize: 0
; MemoryBound: 0
; FloatMode: 240
; IeeeMode: 1
; LDSByteSize: 64 bytes/workgroup (compile time only)
; SGPRBlocks: 3
; VGPRBlocks: 5
; NumSGPRsForWavesPerEU: 31
; NumVGPRsForWavesPerEU: 42
; Occupancy: 16
; WaveLimiterHint : 0
; COMPUTE_PGM_RSRC2:SCRATCH_EN: 0
; COMPUTE_PGM_RSRC2:USER_SGPR: 15
; COMPUTE_PGM_RSRC2:TRAP_HANDLER: 0
; COMPUTE_PGM_RSRC2:TGID_X_EN: 1
; COMPUTE_PGM_RSRC2:TGID_Y_EN: 0
; COMPUTE_PGM_RSRC2:TGID_Z_EN: 0
; COMPUTE_PGM_RSRC2:TIDIG_COMP_CNT: 0
	.section	.text._ZN5aiter24add_rmsnorm_quant_kernelIDF16_DB8_Li256ELi16ELb0ELb1ELb0ELi1EEEvPT0_PT_PfS5_S5_S5_diiiiiiib,"axG",@progbits,_ZN5aiter24add_rmsnorm_quant_kernelIDF16_DB8_Li256ELi16ELb0ELb1ELb0ELi1EEEvPT0_PT_PfS5_S5_S5_diiiiiiib,comdat
	.protected	_ZN5aiter24add_rmsnorm_quant_kernelIDF16_DB8_Li256ELi16ELb0ELb1ELb0ELi1EEEvPT0_PT_PfS5_S5_S5_diiiiiiib ; -- Begin function _ZN5aiter24add_rmsnorm_quant_kernelIDF16_DB8_Li256ELi16ELb0ELb1ELb0ELi1EEEvPT0_PT_PfS5_S5_S5_diiiiiiib
	.globl	_ZN5aiter24add_rmsnorm_quant_kernelIDF16_DB8_Li256ELi16ELb0ELb1ELb0ELi1EEEvPT0_PT_PfS5_S5_S5_diiiiiiib
	.p2align	8
	.type	_ZN5aiter24add_rmsnorm_quant_kernelIDF16_DB8_Li256ELi16ELb0ELb1ELb0ELi1EEEvPT0_PT_PfS5_S5_S5_diiiiiiib,@function
_ZN5aiter24add_rmsnorm_quant_kernelIDF16_DB8_Li256ELi16ELb0ELb1ELb0ELi1EEEvPT0_PT_PfS5_S5_S5_diiiiiiib: ; @_ZN5aiter24add_rmsnorm_quant_kernelIDF16_DB8_Li256ELi16ELb0ELb1ELb0ELi1EEEvPT0_PT_PfS5_S5_S5_diiiiiiib
; %bb.0:
	s_load_b128 s[4:7], s[0:1], 0x38
	s_mov_b32 s20, s15
	s_mov_b32 s21, 0
	s_waitcnt lgkmcnt(0)
	s_ashr_i32 s3, s4, 31
	s_mov_b32 s2, s4
	s_delay_alu instid0(SALU_CYCLE_1) | instskip(NEXT) | instid1(VALU_DEP_1)
	v_cmp_ge_i64_e64 s2, s[20:21], s[2:3]
	s_and_b32 vcc_lo, exec_lo, s2
	s_cbranch_vccnz .LBB79_44
; %bb.1:
	s_clause 0x1
	s_load_b128 s[8:11], s[0:1], 0x10
	s_load_b128 s[16:19], s[0:1], 0x28
	s_ashr_i32 s2, s6, 31
	s_mul_hi_u32 s3, s6, s20
	s_mul_i32 s7, s2, s20
	s_mul_i32 s2, s6, s20
	s_add_i32 s3, s3, s7
	v_lshlrev_b32_e32 v1, 5, v0
	s_lshl_b64 s[2:3], s[2:3], 1
	s_mov_b32 s15, -1
	v_and_b32_e32 v27, 31, v0
	s_mov_b32 s27, s15
	s_waitcnt lgkmcnt(0)
	s_add_u32 s12, s10, s2
	s_addc_u32 s2, s11, s3
	s_add_i32 s3, s5, 1
	s_and_b32 s13, s2, 0xffff
	s_lshr_b32 s6, s3, 31
	s_mov_b32 s24, s16
	s_add_i32 s3, s3, s6
	s_and_b32 s25, s17, 0xffff
	s_lshl_b32 s3, s3, 1
	v_cmp_eq_u32_e64 s2, 31, v27
	s_and_b32 s14, s3, -4
	s_clause 0x1
	buffer_load_b128 v[13:16], v1, s[12:15], 0 offen
	buffer_load_b128 v[17:20], v1, s[12:15], 16 offen
	s_mov_b32 s26, s14
	s_clause 0x1
	buffer_load_b128 v[5:8], v1, s[24:27], 0 offen
	buffer_load_b128 v[1:4], v1, s[24:27], 16 offen
	s_waitcnt vmcnt(3)
	v_lshrrev_b32_e32 v9, 16, v13
	v_cvt_f32_f16_e32 v12, v14
	v_lshrrev_b32_e32 v21, 16, v15
	v_lshrrev_b32_e32 v23, 16, v16
	s_waitcnt vmcnt(2)
	v_lshrrev_b32_e32 v24, 16, v17
	v_cvt_f32_f16_e32 v11, v9
	v_lshrrev_b32_e32 v28, 16, v19
	v_cvt_f32_f16_e32 v25, v21
	v_cvt_f32_f16_e32 v23, v23
	;; [unrolled: 1-line block ×3, first 2 shown]
	v_mul_f32_e32 v9, v11, v11
	v_cvt_f32_f16_e32 v21, v28
	s_delay_alu instid0(VALU_DEP_2) | instskip(SKIP_1) | instid1(VALU_DEP_2)
	v_fma_mix_f32 v9, v13, v13, v9 op_sel_hi:[1,1,0]
	v_cvt_f32_f16_e32 v13, v13
	v_fma_mix_f32 v9, v14, v14, v9 op_sel_hi:[1,1,0]
	s_delay_alu instid0(VALU_DEP_1) | instskip(NEXT) | instid1(VALU_DEP_1)
	v_fma_mix_f32 v9, v14, v14, v9 op_sel:[1,1,0] op_sel_hi:[1,1,0]
	v_fma_mix_f32 v9, v15, v15, v9 op_sel_hi:[1,1,0]
	s_delay_alu instid0(VALU_DEP_1) | instskip(NEXT) | instid1(VALU_DEP_1)
	v_fma_mix_f32 v9, v15, v15, v9 op_sel:[1,1,0] op_sel_hi:[1,1,0]
	v_fma_mix_f32 v9, v16, v16, v9 op_sel_hi:[1,1,0]
	s_delay_alu instid0(VALU_DEP_1) | instskip(NEXT) | instid1(VALU_DEP_1)
	v_fma_mix_f32 v9, v16, v16, v9 op_sel:[1,1,0] op_sel_hi:[1,1,0]
	v_fma_mix_f32 v9, v17, v17, v9 op_sel_hi:[1,1,0]
	s_delay_alu instid0(VALU_DEP_1) | instskip(NEXT) | instid1(VALU_DEP_1)
	v_fma_mix_f32 v9, v17, v17, v9 op_sel:[1,1,0] op_sel_hi:[1,1,0]
	v_fma_mix_f32 v9, v18, v18, v9 op_sel_hi:[1,1,0]
	s_delay_alu instid0(VALU_DEP_1) | instskip(NEXT) | instid1(VALU_DEP_1)
	v_fma_mix_f32 v9, v18, v18, v9 op_sel:[1,1,0] op_sel_hi:[1,1,0]
	v_fma_mix_f32 v9, v19, v19, v9 op_sel_hi:[1,1,0]
	s_delay_alu instid0(VALU_DEP_1) | instskip(NEXT) | instid1(VALU_DEP_1)
	v_fma_mix_f32 v9, v19, v19, v9 op_sel:[1,1,0] op_sel_hi:[1,1,0]
	v_fma_mix_f32 v9, v20, v20, v9 op_sel_hi:[1,1,0]
	s_delay_alu instid0(VALU_DEP_1) | instskip(NEXT) | instid1(VALU_DEP_1)
	v_fma_mix_f32 v9, v20, v20, v9 op_sel:[1,1,0] op_sel_hi:[1,1,0]
	v_mov_b32_dpp v10, v9 quad_perm:[1,0,3,2] row_mask:0xf bank_mask:0xf
	s_delay_alu instid0(VALU_DEP_1)
	v_add_f32_e32 v9, v9, v10
	v_lshrrev_b32_e32 v10, 16, v14
	v_cvt_f32_f16_e32 v14, v15
	v_cvt_f32_f16_e32 v15, v16
	v_cvt_f32_f16_e32 v16, v17
	v_mov_b32_dpp v22, v9 quad_perm:[2,3,0,1] row_mask:0xf bank_mask:0xf
	v_cvt_f32_f16_e32 v17, v18
	v_cvt_f32_f16_e32 v26, v10
	s_delay_alu instid0(VALU_DEP_3)
	v_add_f32_e32 v9, v9, v22
	v_lshrrev_b32_e32 v22, 16, v18
	v_cvt_f32_f16_e32 v18, v19
	v_cvt_f32_f16_e32 v19, v20
	v_lshrrev_b32_e32 v20, 16, v20
	v_mov_b32_dpp v29, v9 row_xmask:7 row_mask:0xf bank_mask:0xf
	v_cvt_f32_f16_e32 v22, v22
	s_delay_alu instid0(VALU_DEP_3) | instskip(NEXT) | instid1(VALU_DEP_3)
	v_cvt_f32_f16_e32 v20, v20
	v_add_f32_e32 v9, v9, v29
	s_delay_alu instid0(VALU_DEP_1)
	v_mov_b32_dpp v10, v9 row_xmask:15 row_mask:0xf bank_mask:0xf
	s_and_saveexec_b32 s3, s2
	s_cbranch_execz .LBB79_3
; %bb.2:
	s_delay_alu instid0(VALU_DEP_1) | instskip(SKIP_2) | instid1(VALU_DEP_2)
	v_add_f32_e32 v9, v9, v10
	s_mov_b32 s6, 0x76543210
	v_lshrrev_b32_e32 v10, 3, v0
	v_permlanex16_b32 v27, v9, s6, 0xfedcba98 op_sel:[1,1]
	s_delay_alu instid0(VALU_DEP_1)
	v_dual_add_f32 v9, v9, v27 :: v_dual_and_b32 v10, 0x7c, v10
	ds_store_b32 v10, v9 offset:32
.LBB79_3:
	s_or_b32 exec_lo, exec_lo, s3
	v_and_b32_e32 v9, 7, v0
	s_waitcnt vmcnt(0) lgkmcnt(0)
	s_barrier
	buffer_gl0_inv
	v_cvt_f32_i32_e32 v28, s5
	v_lshlrev_b32_e32 v10, 2, v9
	v_cvt_f32_f16_e32 v34, v3
	v_lshrrev_b32_e32 v3, 16, v3
	v_cvt_f32_f16_e32 v33, v2
	v_lshrrev_b32_e32 v2, 16, v2
	ds_load_b32 v9, v10 offset:32
	s_clause 0x1
	s_load_b64 s[6:7], s[0:1], 0x4c
	s_load_b32 s10, s[0:1], 0x54
	v_cvt_f32_f16_e32 v3, v3
	v_cvt_f32_f16_e32 v35, v4
	;; [unrolled: 1-line block ×3, first 2 shown]
	v_lshrrev_b32_e32 v4, 16, v4
	v_mov_b32_e32 v36, 0x2edbe6ff
	s_delay_alu instid0(VALU_DEP_2) | instskip(SKIP_3) | instid1(VALU_DEP_1)
	v_cvt_f32_f16_e32 v4, v4
	s_waitcnt lgkmcnt(0)
	v_mov_b32_dpp v27, v9 quad_perm:[1,0,3,2] row_mask:0xf bank_mask:0xf
	s_cmp_lg_u32 s7, 0
	v_add_f32_e32 v9, v9, v27
	s_delay_alu instid0(VALU_DEP_1) | instskip(NEXT) | instid1(VALU_DEP_1)
	v_mov_b32_dpp v27, v9 quad_perm:[2,3,0,1] row_mask:0xf bank_mask:0xf
	v_add_f32_e32 v9, v9, v27
	s_delay_alu instid0(VALU_DEP_1) | instskip(NEXT) | instid1(VALU_DEP_1)
	v_mov_b32_dpp v27, v9 row_xmask:7 row_mask:0xf bank_mask:0xf
	v_add_f32_e32 v9, v9, v27
	s_delay_alu instid0(VALU_DEP_1) | instskip(SKIP_1) | instid1(VALU_DEP_2)
	v_div_scale_f32 v27, null, v28, v28, v9
	v_div_scale_f32 v31, vcc_lo, v9, v28, v9
	v_rcp_f32_e32 v29, v27
	s_waitcnt_depctr 0xfff
	v_fma_f32 v30, -v27, v29, 1.0
	s_delay_alu instid0(VALU_DEP_1) | instskip(NEXT) | instid1(VALU_DEP_1)
	v_fmac_f32_e32 v29, v30, v29
	v_mul_f32_e32 v30, v31, v29
	s_delay_alu instid0(VALU_DEP_1) | instskip(NEXT) | instid1(VALU_DEP_1)
	v_fma_f32 v32, -v27, v30, v31
	v_fmac_f32_e32 v30, v32, v29
	v_cvt_f32_f16_e32 v32, v1
	v_lshrrev_b32_e32 v1, 16, v1
	s_delay_alu instid0(VALU_DEP_3) | instskip(SKIP_2) | instid1(VALU_DEP_4)
	v_fma_f32 v27, -v27, v30, v31
	v_cvt_f32_f16_e32 v31, v8
	v_lshrrev_b32_e32 v8, 16, v8
	v_cvt_f32_f16_e32 v1, v1
	s_delay_alu instid0(VALU_DEP_4) | instskip(SKIP_3) | instid1(VALU_DEP_4)
	v_div_fmas_f32 v27, v27, v29, v30
	v_cvt_f32_f16_e32 v30, v6
	v_lshrrev_b32_e32 v6, 16, v6
	v_cvt_f32_f16_e32 v8, v8
	v_div_fixup_f32 v9, v27, v28, v9
	s_delay_alu instid0(VALU_DEP_3) | instskip(NEXT) | instid1(VALU_DEP_2)
	v_cvt_f32_f16_e32 v6, v6
	v_cvt_f64_f32_e32 v[27:28], v9
	s_delay_alu instid0(VALU_DEP_1) | instskip(NEXT) | instid1(VALU_DEP_1)
	v_add_f64 v[27:28], v[27:28], s[18:19]
	v_cvt_f32_f64_e32 v27, v[27:28]
	v_cvt_f32_f16_e32 v28, v5
	v_lshrrev_b32_e32 v5, 16, v5
	s_delay_alu instid0(VALU_DEP_1) | instskip(NEXT) | instid1(VALU_DEP_4)
	v_cvt_f32_f16_e32 v5, v5
	v_mul_f32_e32 v29, 0x4b800000, v27
	v_cmp_gt_f32_e32 vcc_lo, 0x800000, v27
	s_delay_alu instid0(VALU_DEP_2) | instskip(SKIP_2) | instid1(VALU_DEP_3)
	v_cndmask_b32_e32 v27, v27, v29, vcc_lo
	v_cvt_f32_f16_e32 v29, v7
	v_lshrrev_b32_e32 v7, 16, v7
	v_rsq_f32_e32 v27, v27
	s_delay_alu instid0(VALU_DEP_1) | instskip(SKIP_2) | instid1(VALU_DEP_1)
	v_cvt_f32_f16_e32 v7, v7
	s_waitcnt_depctr 0xfff
	v_mul_f32_e32 v37, 0x45800000, v27
	v_cndmask_b32_e32 v27, v27, v37, vcc_lo
	s_delay_alu instid0(VALU_DEP_1) | instskip(SKIP_1) | instid1(VALU_DEP_2)
	v_mul_f32_e32 v25, v27, v25
	v_mul_f32_e32 v38, v27, v16
	v_dual_mul_f32 v16, v25, v7 :: v_dual_lshlrev_b32 v9, 4, v0
	v_mul_f32_e32 v26, v27, v26
	v_mul_f32_e32 v12, v27, v12
	;; [unrolled: 1-line block ×4, first 2 shown]
	s_delay_alu instid0(VALU_DEP_4)
	v_dual_mul_f32 v37, v27, v15 :: v_dual_mul_f32 v18, v26, v6
	v_mul_f32_e32 v23, v27, v23
	v_mul_f32_e32 v24, v27, v24
	;; [unrolled: 1-line block ×11, first 2 shown]
	s_delay_alu instid0(VALU_DEP_4) | instskip(NEXT) | instid1(VALU_DEP_4)
	v_dual_mul_f32 v41, v27, v19 :: v_dual_and_b32 v26, 0x7fffffff, v14
	v_dual_mul_f32 v6, v21, v3 :: v_dual_mul_f32 v27, v27, v20
	v_mul_f32_e32 v20, v11, v5
	s_delay_alu instid0(VALU_DEP_4) | instskip(SKIP_2) | instid1(VALU_DEP_4)
	v_dual_mul_f32 v8, v22, v2 :: v_dual_mul_f32 v19, v13, v28
	v_mul_f32_e32 v11, v38, v32
	v_and_b32_e32 v24, 0x7fffffff, v16
	v_dual_mul_f32 v13, v37, v31 :: v_dual_and_b32 v2, 0x7fffffff, v20
	s_delay_alu instid0(VALU_DEP_4)
	v_and_b32_e32 v1, 0x7fffffff, v19
	v_dual_mul_f32 v7, v39, v33 :: v_dual_and_b32 v30, 0x7fffffff, v8
	;;#ASMSTART
	v_max3_f32 v1, v36, v1, v2

	;;#ASMEND
	v_mul_f32_e32 v5, v40, v34
	v_and_b32_e32 v21, 0x7fffffff, v17
	v_and_b32_e32 v22, 0x7fffffff, v18
	;; [unrolled: 1-line block ×3, first 2 shown]
	v_dual_mul_f32 v3, v41, v35 :: v_dual_and_b32 v32, 0x7fffffff, v6
	v_mul_f32_e32 v4, v27, v4
	;;#ASMSTART
	v_max3_f32 v1, v1, v21, v22

	;;#ASMEND
	v_and_b32_e32 v23, 0x7fffffff, v15
	;;#ASMSTART
	v_max3_f32 v1, v1, v23, v24

	;;#ASMEND
	v_and_b32_e32 v25, 0x7fffffff, v13
	;; [unrolled: 5-line block ×5, first 2 shown]
	v_and_b32_e32 v33, 0x7fffffff, v3
	v_and_b32_e32 v34, 0x7fffffff, v4
	;;#ASMSTART
	v_max3_f32 v1, v1, v31, v32

	;;#ASMEND
	;;#ASMSTART
	v_max3_f32 v21, v1, v33, v34

	;;#ASMEND
	s_cbranch_scc0 .LBB79_10
; %bb.4:
	s_ashr_i32 s11, s7, 31
	s_delay_alu instid0(SALU_CYCLE_1) | instskip(NEXT) | instid1(SALU_CYCLE_1)
	s_lshr_b32 s3, s11, 28
	s_add_i32 s3, s7, s3
	s_delay_alu instid0(SALU_CYCLE_1) | instskip(NEXT) | instid1(SALU_CYCLE_1)
	s_ashr_i32 s3, s3, 4
	s_cmp_lt_i32 s3, 8
	s_cbranch_scc1 .LBB79_11
; %bb.5:
	s_cmp_lt_i32 s3, 16
	s_cbranch_scc1 .LBB79_12
; %bb.6:
	;; [unrolled: 3-line block ×3, first 2 shown]
	v_mov_b32_e32 v1, v21
	s_cmp_eq_u32 s3, 32
	s_cbranch_scc0 .LBB79_9
; %bb.8:
	s_delay_alu instid0(VALU_DEP_1) | instskip(SKIP_1) | instid1(VALU_DEP_1)
	v_mov_b32_dpp v1, v21 quad_perm:[1,0,3,2] row_mask:0xf bank_mask:0xf
	s_mov_b32 s12, 0x76543210
	v_cmp_gt_f32_e32 vcc_lo, v21, v1
	v_cndmask_b32_e32 v1, v1, v21, vcc_lo
	s_delay_alu instid0(VALU_DEP_1) | instskip(NEXT) | instid1(VALU_DEP_1)
	v_mov_b32_dpp v2, v1 quad_perm:[2,3,0,1] row_mask:0xf bank_mask:0xf
	v_cmp_gt_f32_e32 vcc_lo, v1, v2
	v_cndmask_b32_e32 v1, v2, v1, vcc_lo
	s_delay_alu instid0(VALU_DEP_1) | instskip(NEXT) | instid1(VALU_DEP_1)
	v_mov_b32_dpp v2, v1 row_xmask:7 row_mask:0xf bank_mask:0xf
	v_cmp_gt_f32_e32 vcc_lo, v1, v2
	v_cndmask_b32_e32 v1, v2, v1, vcc_lo
	s_delay_alu instid0(VALU_DEP_1) | instskip(NEXT) | instid1(VALU_DEP_1)
	v_mov_b32_dpp v2, v1 row_xmask:15 row_mask:0xf bank_mask:0xf
	v_cmp_gt_f32_e32 vcc_lo, v1, v2
	v_cndmask_b32_e32 v1, v2, v1, vcc_lo
	s_delay_alu instid0(VALU_DEP_1) | instskip(NEXT) | instid1(VALU_DEP_1)
	v_permlanex16_b32 v2, v1, s12, 0xfedcba98 op_sel:[1,1]
	v_cmp_gt_f32_e32 vcc_lo, v1, v2
	v_cndmask_b32_e32 v1, v2, v1, vcc_lo
.LBB79_9:
	s_mov_b32 s12, 0
	s_branch .LBB79_14
.LBB79_10:
	s_mov_b32 s3, 0
                                        ; implicit-def: $vgpr22
                                        ; implicit-def: $vgpr1_vgpr2
	s_and_b32 vcc_lo, exec_lo, s15
	s_cbranch_vccnz .LBB79_38
	s_branch .LBB79_41
.LBB79_11:
                                        ; implicit-def: $vgpr1
	s_branch .LBB79_21
.LBB79_12:
                                        ; implicit-def: $vgpr1
	s_branch .LBB79_18
.LBB79_13:
	s_mov_b32 s12, -1
                                        ; implicit-def: $vgpr1
.LBB79_14:
	s_delay_alu instid0(SALU_CYCLE_1)
	s_and_not1_b32 vcc_lo, exec_lo, s12
	s_cbranch_vccnz .LBB79_17
; %bb.15:
	v_mov_b32_e32 v1, v21
	s_cmp_eq_u32 s3, 16
	s_cbranch_scc0 .LBB79_17
; %bb.16:
	s_delay_alu instid0(VALU_DEP_1) | instskip(NEXT) | instid1(VALU_DEP_1)
	v_mov_b32_dpp v1, v21 quad_perm:[1,0,3,2] row_mask:0xf bank_mask:0xf
	v_cmp_gt_f32_e32 vcc_lo, v21, v1
	v_cndmask_b32_e32 v1, v1, v21, vcc_lo
	s_delay_alu instid0(VALU_DEP_1) | instskip(NEXT) | instid1(VALU_DEP_1)
	v_mov_b32_dpp v2, v1 quad_perm:[2,3,0,1] row_mask:0xf bank_mask:0xf
	v_cmp_gt_f32_e32 vcc_lo, v1, v2
	v_cndmask_b32_e32 v1, v2, v1, vcc_lo
	s_delay_alu instid0(VALU_DEP_1) | instskip(NEXT) | instid1(VALU_DEP_1)
	v_mov_b32_dpp v2, v1 row_half_mirror row_mask:0xf bank_mask:0xf
	v_cmp_gt_f32_e32 vcc_lo, v1, v2
	v_cndmask_b32_e32 v1, v2, v1, vcc_lo
	s_delay_alu instid0(VALU_DEP_1) | instskip(NEXT) | instid1(VALU_DEP_1)
	v_mov_b32_dpp v2, v1 row_mirror row_mask:0xf bank_mask:0xf
	v_cmp_gt_f32_e32 vcc_lo, v1, v2
	v_cndmask_b32_e32 v1, v2, v1, vcc_lo
.LBB79_17:
	s_cbranch_execnz .LBB79_20
.LBB79_18:
	v_mov_b32_e32 v1, v21
	s_cmp_eq_u32 s3, 8
	s_cbranch_scc0 .LBB79_20
; %bb.19:
	s_delay_alu instid0(VALU_DEP_1) | instskip(NEXT) | instid1(VALU_DEP_1)
	v_mov_b32_dpp v1, v21 quad_perm:[1,0,3,2] row_mask:0xf bank_mask:0xf
	v_cmp_gt_f32_e32 vcc_lo, v21, v1
	v_cndmask_b32_e32 v1, v1, v21, vcc_lo
	s_delay_alu instid0(VALU_DEP_1) | instskip(NEXT) | instid1(VALU_DEP_1)
	v_mov_b32_dpp v2, v1 quad_perm:[2,3,0,1] row_mask:0xf bank_mask:0xf
	v_cmp_gt_f32_e32 vcc_lo, v1, v2
	v_cndmask_b32_e32 v1, v2, v1, vcc_lo
	s_delay_alu instid0(VALU_DEP_1) | instskip(NEXT) | instid1(VALU_DEP_1)
	v_mov_b32_dpp v2, v1 row_half_mirror row_mask:0xf bank_mask:0xf
	v_cmp_gt_f32_e32 vcc_lo, v1, v2
	v_cndmask_b32_e32 v1, v2, v1, vcc_lo
.LBB79_20:
	s_cbranch_execnz .LBB79_28
.LBB79_21:
	s_cmp_lt_i32 s3, 4
	s_cbranch_scc1 .LBB79_24
; %bb.22:
	v_mov_b32_e32 v1, v21
	s_cmp_eq_u32 s3, 4
	s_cbranch_scc0 .LBB79_25
; %bb.23:
	s_delay_alu instid0(VALU_DEP_1) | instskip(NEXT) | instid1(VALU_DEP_1)
	v_mov_b32_dpp v1, v21 quad_perm:[1,0,3,2] row_mask:0xf bank_mask:0xf
	v_cmp_gt_f32_e32 vcc_lo, v21, v1
	v_cndmask_b32_e32 v1, v1, v21, vcc_lo
	s_delay_alu instid0(VALU_DEP_1) | instskip(NEXT) | instid1(VALU_DEP_1)
	v_mov_b32_dpp v2, v1 quad_perm:[2,3,0,1] row_mask:0xf bank_mask:0xf
	v_cmp_gt_f32_e32 vcc_lo, v1, v2
	v_cndmask_b32_e32 v1, v2, v1, vcc_lo
	s_cbranch_execz .LBB79_26
	s_branch .LBB79_28
.LBB79_24:
                                        ; implicit-def: $vgpr1
	s_branch .LBB79_26
.LBB79_25:
	s_cbranch_execnz .LBB79_28
.LBB79_26:
	v_mov_b32_e32 v1, v21
	s_cmp_lg_u32 s3, 2
	s_cbranch_scc1 .LBB79_28
; %bb.27:
	s_delay_alu instid0(VALU_DEP_1) | instskip(NEXT) | instid1(VALU_DEP_1)
	v_mov_b32_dpp v1, v21 quad_perm:[1,0,3,2] row_mask:0xf bank_mask:0xf
	v_cmp_gt_f32_e32 vcc_lo, v21, v1
	v_cndmask_b32_e32 v1, v1, v21, vcc_lo
.LBB79_28:
	v_cvt_f32_u32_e32 v2, s3
	s_sub_i32 s12, 0, s3
	s_mov_b32 s15, 0
	s_delay_alu instid0(VALU_DEP_1) | instskip(SKIP_2) | instid1(VALU_DEP_1)
	v_rcp_iflag_f32_e32 v2, v2
	s_waitcnt_depctr 0xfff
	v_mul_f32_e32 v2, 0x4f7ffffe, v2
	v_cvt_u32_f32_e32 v2, v2
	s_delay_alu instid0(VALU_DEP_1) | instskip(NEXT) | instid1(VALU_DEP_1)
	v_mul_lo_u32 v22, s12, v2
	v_mul_hi_u32 v22, v2, v22
	s_delay_alu instid0(VALU_DEP_1) | instskip(NEXT) | instid1(VALU_DEP_1)
	v_add_nc_u32_e32 v2, v2, v22
	v_mul_hi_u32 v2, v0, v2
	s_delay_alu instid0(VALU_DEP_1) | instskip(NEXT) | instid1(VALU_DEP_1)
	v_mul_lo_u32 v22, v2, s3
	v_sub_nc_u32_e32 v22, v0, v22
	s_delay_alu instid0(VALU_DEP_1) | instskip(SKIP_1) | instid1(VALU_DEP_2)
	v_subrev_nc_u32_e32 v24, s3, v22
	v_cmp_le_u32_e32 vcc_lo, s3, v22
	v_dual_cndmask_b32 v22, v22, v24 :: v_dual_add_nc_u32 v23, 1, v2
	s_delay_alu instid0(VALU_DEP_1) | instskip(NEXT) | instid1(VALU_DEP_2)
	v_cndmask_b32_e32 v2, v2, v23, vcc_lo
	v_cmp_le_u32_e32 vcc_lo, s3, v22
	s_delay_alu instid0(VALU_DEP_2) | instskip(NEXT) | instid1(VALU_DEP_1)
	v_dual_mul_f32 v22, 0x3b124925, v1 :: v_dual_add_nc_u32 v23, 1, v2
	v_cndmask_b32_e32 v23, v2, v23, vcc_lo
	v_cmp_gt_u32_e32 vcc_lo, s5, v9
	s_delay_alu instid0(VALU_DEP_2) | instskip(NEXT) | instid1(VALU_DEP_1)
	v_mul_lo_u32 v2, v23, s3
	v_sub_nc_u32_e32 v2, v0, v2
	s_delay_alu instid0(VALU_DEP_1) | instskip(NEXT) | instid1(VALU_DEP_1)
	v_cmp_eq_u32_e64 s3, 0, v2
                                        ; implicit-def: $vgpr1_vgpr2
	s_and_b32 s12, s3, vcc_lo
	s_mov_b32 s3, 0
	s_and_saveexec_b32 s13, s12
	s_delay_alu instid0(SALU_CYCLE_1)
	s_xor_b32 s14, exec_lo, s13
	s_cbranch_execz .LBB79_37
; %bb.29:
	s_bitcmp0_b32 s10, 0
	s_mov_b32 s16, 0
	s_cbranch_scc0 .LBB79_34
; %bb.30:
	s_ashr_i32 s3, s5, 31
	s_mul_hi_u32 s10, s5, s20
	s_mul_i32 s3, s3, s20
	s_mul_i32 s12, s5, s20
	s_add_i32 s13, s10, s3
	s_mov_b32 s10, s7
	s_delay_alu instid0(SALU_CYCLE_1) | instskip(NEXT) | instid1(SALU_CYCLE_1)
	s_or_b64 s[18:19], s[12:13], s[10:11]
	s_mov_b32 s17, s19
	s_delay_alu instid0(SALU_CYCLE_1)
	s_cmp_lg_u64 s[16:17], 0
	s_cbranch_scc0 .LBB79_45
; %bb.31:
	s_add_u32 s18, s10, s11
	s_mov_b32 s16, s11
	s_mov_b32 s17, s11
	s_addc_u32 s19, s11, s11
	s_delay_alu instid0(SALU_CYCLE_1) | instskip(NEXT) | instid1(SALU_CYCLE_1)
	s_xor_b64 s[18:19], s[18:19], s[16:17]
	v_cvt_f32_u32_e32 v1, s18
	v_cvt_f32_u32_e32 v2, s19
	s_sub_u32 s11, 0, s18
	s_subb_u32 s22, 0, s19
	s_delay_alu instid0(VALU_DEP_1) | instskip(NEXT) | instid1(VALU_DEP_1)
	v_fmamk_f32 v1, v2, 0x4f800000, v1
	v_rcp_f32_e32 v1, v1
	s_waitcnt_depctr 0xfff
	v_mul_f32_e32 v1, 0x5f7ffffc, v1
	s_delay_alu instid0(VALU_DEP_1) | instskip(NEXT) | instid1(VALU_DEP_1)
	v_mul_f32_e32 v2, 0x2f800000, v1
	v_trunc_f32_e32 v2, v2
	s_delay_alu instid0(VALU_DEP_1) | instskip(SKIP_1) | instid1(VALU_DEP_2)
	v_fmamk_f32 v1, v2, 0xcf800000, v1
	v_cvt_u32_f32_e32 v2, v2
	v_cvt_u32_f32_e32 v1, v1
	s_delay_alu instid0(VALU_DEP_2) | instskip(NEXT) | instid1(VALU_DEP_2)
	v_readfirstlane_b32 s3, v2
	v_readfirstlane_b32 s7, v1
	s_delay_alu instid0(VALU_DEP_2) | instskip(NEXT) | instid1(VALU_DEP_1)
	s_mul_i32 s23, s11, s3
	s_mul_hi_u32 s25, s11, s7
	s_mul_i32 s24, s22, s7
	s_add_i32 s23, s25, s23
	s_mul_i32 s26, s11, s7
	s_add_i32 s23, s23, s24
	s_mul_hi_u32 s25, s7, s26
	s_mul_hi_u32 s27, s3, s26
	s_mul_i32 s24, s3, s26
	s_mul_hi_u32 s26, s7, s23
	s_mul_i32 s7, s7, s23
	s_mul_hi_u32 s28, s3, s23
	s_add_u32 s7, s25, s7
	s_addc_u32 s25, 0, s26
	s_add_u32 s7, s7, s24
	s_mul_i32 s23, s3, s23
	s_addc_u32 s7, s25, s27
	s_addc_u32 s24, s28, 0
	s_add_u32 s7, s7, s23
	s_addc_u32 s23, 0, s24
	v_add_co_u32 v1, s7, v1, s7
	s_delay_alu instid0(VALU_DEP_1) | instskip(SKIP_1) | instid1(VALU_DEP_1)
	s_cmp_lg_u32 s7, 0
	s_addc_u32 s3, s3, s23
	v_readfirstlane_b32 s7, v1
	s_mul_i32 s23, s11, s3
	s_delay_alu instid0(VALU_DEP_1)
	s_mul_hi_u32 s24, s11, s7
	s_mul_i32 s22, s22, s7
	s_add_i32 s23, s24, s23
	s_mul_i32 s11, s11, s7
	s_add_i32 s23, s23, s22
	s_mul_hi_u32 s24, s3, s11
	s_mul_i32 s25, s3, s11
	s_mul_hi_u32 s11, s7, s11
	s_mul_hi_u32 s26, s7, s23
	s_mul_i32 s7, s7, s23
	s_mul_hi_u32 s22, s3, s23
	s_add_u32 s7, s11, s7
	s_addc_u32 s11, 0, s26
	s_add_u32 s7, s7, s25
	s_mul_i32 s23, s3, s23
	s_addc_u32 s7, s11, s24
	s_addc_u32 s11, s22, 0
	s_add_u32 s7, s7, s23
	s_addc_u32 s11, 0, s11
	v_add_co_u32 v1, s7, v1, s7
	s_delay_alu instid0(VALU_DEP_1) | instskip(SKIP_2) | instid1(VALU_DEP_1)
	s_cmp_lg_u32 s7, 0
	s_addc_u32 s3, s3, s11
	s_ashr_i32 s22, s13, 31
	v_readfirstlane_b32 s7, v1
	s_add_u32 s24, s12, s22
	s_mov_b32 s23, s22
	s_addc_u32 s25, s13, s22
	s_delay_alu instid0(SALU_CYCLE_1) | instskip(NEXT) | instid1(SALU_CYCLE_1)
	s_xor_b64 s[24:25], s[24:25], s[22:23]
	s_mul_i32 s13, s24, s3
	s_mul_hi_u32 s26, s24, s7
	s_mul_hi_u32 s11, s24, s3
	;; [unrolled: 1-line block ×3, first 2 shown]
	s_mul_i32 s7, s25, s7
	s_add_u32 s13, s26, s13
	s_addc_u32 s11, 0, s11
	s_mul_hi_u32 s27, s25, s3
	s_add_u32 s7, s13, s7
	s_mul_i32 s3, s25, s3
	s_addc_u32 s7, s11, s28
	s_addc_u32 s11, s27, 0
	s_add_u32 s7, s7, s3
	s_addc_u32 s11, 0, s11
	s_mul_i32 s27, s18, s7
	s_mul_hi_u32 s3, s18, s7
	s_mul_i32 s26, s18, s11
	v_sub_co_u32 v1, s24, s24, s27
	s_mul_i32 s13, s19, s7
	s_add_i32 s3, s3, s26
	s_delay_alu instid0(SALU_CYCLE_1) | instskip(NEXT) | instid1(VALU_DEP_1)
	s_add_i32 s3, s3, s13
	v_sub_co_u32 v2, s26, v1, s18
	s_sub_i32 s13, s25, s3
	s_cmp_lg_u32 s24, 0
	s_subb_u32 s13, s13, s19
	s_cmp_lg_u32 s26, 0
	v_cmp_le_u32_e32 vcc_lo, s18, v2
	s_subb_u32 s13, s13, 0
	s_delay_alu instid0(SALU_CYCLE_1)
	s_cmp_ge_u32 s13, s19
	v_cndmask_b32_e64 v2, 0, -1, vcc_lo
	s_cselect_b32 s26, -1, 0
	s_cmp_eq_u32 s13, s19
	s_cselect_b32 vcc_lo, -1, 0
	s_add_u32 s13, s7, 1
	v_cndmask_b32_e32 v2, s26, v2, vcc_lo
	s_addc_u32 s26, s11, 0
	s_add_u32 s27, s7, 2
	s_addc_u32 s28, s11, 0
	s_cmp_lg_u32 s24, 0
	v_cmp_le_u32_e32 vcc_lo, s18, v1
	s_subb_u32 s3, s25, s3
	v_mov_b32_e32 v24, s27
	s_cmp_ge_u32 s3, s19
	v_cndmask_b32_e64 v1, 0, -1, vcc_lo
	s_cselect_b32 s18, -1, 0
	s_cmp_eq_u32 s3, s19
	v_cmp_ne_u32_e32 vcc_lo, 0, v2
	v_mov_b32_e32 v2, s28
	s_cselect_b32 s3, -1, 0
	s_xor_b64 s[16:17], s[22:23], s[16:17]
	v_cndmask_b32_e64 v1, s18, v1, s3
	v_cndmask_b32_e32 v24, s13, v24, vcc_lo
	v_cndmask_b32_e32 v2, s26, v2, vcc_lo
	s_delay_alu instid0(VALU_DEP_3) | instskip(NEXT) | instid1(VALU_DEP_2)
	v_cmp_ne_u32_e32 vcc_lo, 0, v1
	v_cndmask_b32_e32 v1, s11, v2, vcc_lo
	s_delay_alu instid0(VALU_DEP_4) | instskip(NEXT) | instid1(VALU_DEP_2)
	v_cndmask_b32_e32 v2, s7, v24, vcc_lo
	v_xor_b32_e32 v24, s17, v1
	s_delay_alu instid0(VALU_DEP_2) | instskip(NEXT) | instid1(VALU_DEP_1)
	v_xor_b32_e32 v2, s16, v2
	v_sub_co_u32 v1, vcc_lo, v2, s16
	s_delay_alu instid0(VALU_DEP_3)
	v_subrev_co_ci_u32_e32 v2, vcc_lo, s17, v24, vcc_lo
	s_cbranch_execnz .LBB79_33
.LBB79_32:
	v_cvt_f32_u32_e32 v1, s10
	s_sub_i32 s7, 0, s10
	s_delay_alu instid0(VALU_DEP_1) | instskip(SKIP_2) | instid1(VALU_DEP_1)
	v_rcp_iflag_f32_e32 v1, v1
	s_waitcnt_depctr 0xfff
	v_mul_f32_e32 v1, 0x4f7ffffe, v1
	v_cvt_u32_f32_e32 v1, v1
	s_delay_alu instid0(VALU_DEP_1) | instskip(NEXT) | instid1(VALU_DEP_1)
	v_readfirstlane_b32 s3, v1
	s_mul_i32 s7, s7, s3
	s_delay_alu instid0(SALU_CYCLE_1) | instskip(NEXT) | instid1(SALU_CYCLE_1)
	s_mul_hi_u32 s7, s3, s7
	s_add_i32 s3, s3, s7
	s_delay_alu instid0(SALU_CYCLE_1) | instskip(NEXT) | instid1(SALU_CYCLE_1)
	s_mul_hi_u32 s3, s12, s3
	s_mul_i32 s7, s3, s10
	s_add_i32 s11, s3, 1
	s_sub_i32 s7, s12, s7
	s_delay_alu instid0(SALU_CYCLE_1)
	s_sub_i32 s12, s7, s10
	s_cmp_ge_u32 s7, s10
	s_cselect_b32 s3, s11, s3
	s_cselect_b32 s7, s12, s7
	s_add_i32 s12, s3, 1
	s_cmp_ge_u32 s7, s10
	s_mov_b32 s11, 0
	s_cselect_b32 s10, s12, s3
	s_delay_alu instid0(SALU_CYCLE_1)
	v_dual_mov_b32 v1, s10 :: v_dual_mov_b32 v2, s11
.LBB79_33:
	s_delay_alu instid0(VALU_DEP_1) | instskip(NEXT) | instid1(VALU_DEP_2)
	v_add_co_u32 v1, vcc_lo, v1, v23
	v_add_co_ci_u32_e32 v2, vcc_lo, 0, v2, vcc_lo
	s_branch .LBB79_36
.LBB79_34:
                                        ; implicit-def: $vgpr1_vgpr2
	s_cbranch_execz .LBB79_36
; %bb.35:
	v_mul_lo_u32 v1, v23, s4
	s_delay_alu instid0(VALU_DEP_1) | instskip(SKIP_1) | instid1(VALU_DEP_2)
	v_ashrrev_i32_e32 v2, 31, v1
	v_add_co_u32 v1, vcc_lo, v1, s20
	v_add_co_ci_u32_e32 v2, vcc_lo, 0, v2, vcc_lo
.LBB79_36:
	s_mov_b32 s3, exec_lo
.LBB79_37:
	s_or_b32 exec_lo, exec_lo, s14
	s_delay_alu instid0(SALU_CYCLE_1)
	s_and_b32 vcc_lo, exec_lo, s15
	s_cbranch_vccz .LBB79_41
.LBB79_38:
	v_mov_b32_dpp v1, v21 quad_perm:[1,0,3,2] row_mask:0xf bank_mask:0xf
	s_delay_alu instid0(VALU_DEP_1) | instskip(SKIP_1) | instid1(VALU_DEP_1)
	v_cmp_gt_f32_e32 vcc_lo, v21, v1
	v_cndmask_b32_e32 v1, v1, v21, vcc_lo
	v_mov_b32_dpp v2, v1 quad_perm:[2,3,0,1] row_mask:0xf bank_mask:0xf
	s_delay_alu instid0(VALU_DEP_1) | instskip(SKIP_1) | instid1(VALU_DEP_1)
	v_cmp_gt_f32_e32 vcc_lo, v1, v2
	v_cndmask_b32_e32 v1, v2, v1, vcc_lo
	v_mov_b32_dpp v2, v1 row_xmask:7 row_mask:0xf bank_mask:0xf
	s_delay_alu instid0(VALU_DEP_1) | instskip(SKIP_1) | instid1(VALU_DEP_1)
	v_cmp_gt_f32_e32 vcc_lo, v1, v2
	v_cndmask_b32_e32 v1, v2, v1, vcc_lo
	v_mov_b32_dpp v2, v1 row_xmask:15 row_mask:0xf bank_mask:0xf
	s_delay_alu instid0(VALU_DEP_1)
	v_cmp_gt_f32_e32 vcc_lo, v1, v2
	s_and_saveexec_b32 s3, s2
	s_cbranch_execz .LBB79_40
; %bb.39:
	v_cndmask_b32_e32 v1, v2, v1, vcc_lo
	v_lshrrev_b32_e32 v2, 3, v0
	s_mov_b32 s2, 0x76543210
	s_delay_alu instid0(VALU_DEP_1) | instskip(NEXT) | instid1(VALU_DEP_3)
	v_and_b32_e32 v2, 0x7c, v2
	v_permlanex16_b32 v21, v1, s2, 0xfedcba98 op_sel:[1,1]
	s_delay_alu instid0(VALU_DEP_1)
	v_cmp_gt_f32_e32 vcc_lo, v1, v21
	v_cndmask_b32_e32 v1, v21, v1, vcc_lo
	ds_store_b32 v2, v1
.LBB79_40:
	s_or_b32 exec_lo, exec_lo, s3
	s_waitcnt lgkmcnt(0)
	s_barrier
	buffer_gl0_inv
	ds_load_b32 v1, v10
	v_cmp_eq_u32_e64 s3, 0, v0
	s_waitcnt lgkmcnt(0)
	v_mov_b32_dpp v2, v1 quad_perm:[1,0,3,2] row_mask:0xf bank_mask:0xf
	s_delay_alu instid0(VALU_DEP_1) | instskip(SKIP_1) | instid1(VALU_DEP_1)
	v_cmp_gt_f32_e32 vcc_lo, v1, v2
	v_cndmask_b32_e32 v1, v2, v1, vcc_lo
	v_mov_b32_dpp v2, v1 quad_perm:[2,3,0,1] row_mask:0xf bank_mask:0xf
	s_delay_alu instid0(VALU_DEP_1) | instskip(SKIP_1) | instid1(VALU_DEP_1)
	v_cmp_gt_f32_e32 vcc_lo, v1, v2
	v_cndmask_b32_e32 v1, v2, v1, vcc_lo
	v_mov_b32_dpp v2, v1 row_xmask:7 row_mask:0xf bank_mask:0xf
	s_delay_alu instid0(VALU_DEP_1) | instskip(SKIP_1) | instid1(VALU_DEP_1)
	v_cmp_gt_f32_e32 vcc_lo, v1, v2
	v_cndmask_b32_e32 v1, v2, v1, vcc_lo
	v_dual_mul_f32 v22, 0x3b124925, v1 :: v_dual_mov_b32 v1, s20
	v_mov_b32_e32 v2, s21
.LBB79_41:
	s_and_saveexec_b32 s2, s3
	s_cbranch_execz .LBB79_43
; %bb.42:
	s_delay_alu instid0(VALU_DEP_1) | instskip(NEXT) | instid1(VALU_DEP_1)
	v_lshlrev_b64 v[0:1], 2, v[1:2]
	v_add_co_u32 v0, vcc_lo, s8, v0
	s_delay_alu instid0(VALU_DEP_2)
	v_add_co_ci_u32_e32 v1, vcc_lo, s9, v1, vcc_lo
	global_store_b32 v[0:1], v22, off
.LBB79_43:
	s_or_b32 exec_lo, exec_lo, s2
	s_load_b64 s[0:1], s[0:1], 0x0
	;;#ASMSTART
	v_rcp_f32 v2, v22
	;;#ASMEND
	v_dual_mul_f32 v0, v19, v2 :: v_dual_mov_b32 v19, 0x43e00000
	v_dual_mul_f32 v1, v20, v2 :: v_dual_mov_b32 v10, 0xc3e00000
	v_mul_f32_e32 v17, v17, v2
	v_mul_f32_e32 v18, v18, v2
	;;#ASMSTART
	v_med3_f32 v0, v0, v10, v19
v_med3_f32 v1, v1, v10, v19
v_cvt_pk_fp8_f32 v20, v0, v1
	;;#ASMEND
	;;#ASMSTART
	v_med3_f32 v17, v17, v10, v19
v_med3_f32 v18, v18, v10, v19
v_cvt_pk_fp8_f32 v0, v17, v18
	;;#ASMEND
	v_perm_b32 v1, v0, v20, 0x5040100
	s_add_i32 s2, s5, 3
	v_mul_f32_e32 v15, v15, v2
	s_ashr_i32 s3, s2, 31
	v_mul_f32_e32 v16, v16, v2
	s_ashr_i32 s4, s6, 31
	s_lshr_b32 s3, s3, 30
	v_mul_f32_e32 v13, v13, v2
	v_mul_f32_e32 v14, v14, v2
	v_perm_b32 v0, v1, v0, 0x1060504
	;;#ASMSTART
	v_med3_f32 v15, v15, v10, v19
v_med3_f32 v16, v16, v10, v19
v_cvt_pk_fp8_f32 v1, v15, v16
	;;#ASMEND
	v_mul_f32_e32 v11, v11, v2
	v_mul_f32_e32 v12, v12, v2
	;;#ASMSTART
	v_med3_f32 v13, v13, v10, v19
v_med3_f32 v14, v14, v10, v19
v_cvt_pk_fp8_f32 v15, v13, v14
	;;#ASMEND
	v_mul_f32_e32 v7, v7, v2
	v_mul_f32_e32 v8, v8, v2
	;; [unrolled: 1-line block ×6, first 2 shown]
	;;#ASMSTART
	v_med3_f32 v11, v11, v10, v19
v_med3_f32 v12, v12, v10, v19
v_cvt_pk_fp8_f32 v2, v11, v12
	;;#ASMEND
	s_mul_hi_u32 s5, s6, s20
	s_add_i32 s2, s2, s3
	s_mul_i32 s4, s4, s20
	;;#ASMSTART
	v_med3_f32 v7, v7, v10, v19
v_med3_f32 v8, v8, v10, v19
v_cvt_pk_fp8_f32 v11, v7, v8
	;;#ASMEND
	s_mul_i32 s3, s6, s20
	;;#ASMSTART
	v_med3_f32 v5, v5, v10, v19
v_med3_f32 v6, v6, v10, v19
v_cvt_pk_fp8_f32 v7, v5, v6
	;;#ASMEND
	s_and_b32 s2, s2, -4
	s_add_i32 s5, s5, s4
	;;#ASMSTART
	v_med3_f32 v3, v3, v10, v19
v_med3_f32 v4, v4, v10, v19
v_cvt_pk_fp8_f32 v5, v3, v4
	;;#ASMEND
	s_waitcnt lgkmcnt(0)
	s_add_u32 s0, s0, s3
	v_perm_b32 v1, v1, v15, 0x1000504
	v_perm_b32 v2, v2, v11, 0x1000504
	;; [unrolled: 1-line block ×3, first 2 shown]
	s_addc_u32 s1, s1, s5
	s_mov_b32 s3, -1
	s_and_b32 s1, s1, 0xffff
	buffer_store_b128 v[0:3], v9, s[0:3], 0 offen
	;;#ASMSTART
	s_nop 0
	;;#ASMEND
.LBB79_44:
	s_nop 0
	s_sendmsg sendmsg(MSG_DEALLOC_VGPRS)
	s_endpgm
.LBB79_45:
                                        ; implicit-def: $vgpr1_vgpr2
	s_branch .LBB79_32
	.section	.rodata,"a",@progbits
	.p2align	6, 0x0
	.amdhsa_kernel _ZN5aiter24add_rmsnorm_quant_kernelIDF16_DB8_Li256ELi16ELb0ELb1ELb0ELi1EEEvPT0_PT_PfS5_S5_S5_diiiiiiib
		.amdhsa_group_segment_fixed_size 64
		.amdhsa_private_segment_fixed_size 0
		.amdhsa_kernarg_size 88
		.amdhsa_user_sgpr_count 15
		.amdhsa_user_sgpr_dispatch_ptr 0
		.amdhsa_user_sgpr_queue_ptr 0
		.amdhsa_user_sgpr_kernarg_segment_ptr 1
		.amdhsa_user_sgpr_dispatch_id 0
		.amdhsa_user_sgpr_private_segment_size 0
		.amdhsa_wavefront_size32 1
		.amdhsa_uses_dynamic_stack 0
		.amdhsa_enable_private_segment 0
		.amdhsa_system_sgpr_workgroup_id_x 1
		.amdhsa_system_sgpr_workgroup_id_y 0
		.amdhsa_system_sgpr_workgroup_id_z 0
		.amdhsa_system_sgpr_workgroup_info 0
		.amdhsa_system_vgpr_workitem_id 0
		.amdhsa_next_free_vgpr 42
		.amdhsa_next_free_sgpr 29
		.amdhsa_reserve_vcc 1
		.amdhsa_float_round_mode_32 0
		.amdhsa_float_round_mode_16_64 0
		.amdhsa_float_denorm_mode_32 3
		.amdhsa_float_denorm_mode_16_64 3
		.amdhsa_dx10_clamp 1
		.amdhsa_ieee_mode 1
		.amdhsa_fp16_overflow 0
		.amdhsa_workgroup_processor_mode 1
		.amdhsa_memory_ordered 1
		.amdhsa_forward_progress 0
		.amdhsa_shared_vgpr_count 0
		.amdhsa_exception_fp_ieee_invalid_op 0
		.amdhsa_exception_fp_denorm_src 0
		.amdhsa_exception_fp_ieee_div_zero 0
		.amdhsa_exception_fp_ieee_overflow 0
		.amdhsa_exception_fp_ieee_underflow 0
		.amdhsa_exception_fp_ieee_inexact 0
		.amdhsa_exception_int_div_zero 0
	.end_amdhsa_kernel
	.section	.text._ZN5aiter24add_rmsnorm_quant_kernelIDF16_DB8_Li256ELi16ELb0ELb1ELb0ELi1EEEvPT0_PT_PfS5_S5_S5_diiiiiiib,"axG",@progbits,_ZN5aiter24add_rmsnorm_quant_kernelIDF16_DB8_Li256ELi16ELb0ELb1ELb0ELi1EEEvPT0_PT_PfS5_S5_S5_diiiiiiib,comdat
.Lfunc_end79:
	.size	_ZN5aiter24add_rmsnorm_quant_kernelIDF16_DB8_Li256ELi16ELb0ELb1ELb0ELi1EEEvPT0_PT_PfS5_S5_S5_diiiiiiib, .Lfunc_end79-_ZN5aiter24add_rmsnorm_quant_kernelIDF16_DB8_Li256ELi16ELb0ELb1ELb0ELi1EEEvPT0_PT_PfS5_S5_S5_diiiiiiib
                                        ; -- End function
	.section	.AMDGPU.csdata,"",@progbits
; Kernel info:
; codeLenInByte = 4096
; NumSgprs: 31
; NumVgprs: 42
; ScratchSize: 0
; MemoryBound: 0
; FloatMode: 240
; IeeeMode: 1
; LDSByteSize: 64 bytes/workgroup (compile time only)
; SGPRBlocks: 3
; VGPRBlocks: 5
; NumSGPRsForWavesPerEU: 31
; NumVGPRsForWavesPerEU: 42
; Occupancy: 16
; WaveLimiterHint : 0
; COMPUTE_PGM_RSRC2:SCRATCH_EN: 0
; COMPUTE_PGM_RSRC2:USER_SGPR: 15
; COMPUTE_PGM_RSRC2:TRAP_HANDLER: 0
; COMPUTE_PGM_RSRC2:TGID_X_EN: 1
; COMPUTE_PGM_RSRC2:TGID_Y_EN: 0
; COMPUTE_PGM_RSRC2:TGID_Z_EN: 0
; COMPUTE_PGM_RSRC2:TIDIG_COMP_CNT: 0
	.section	.text._ZN5aiter24add_rmsnorm_quant_kernelItDB8_Li256ELi16ELb0ELb1ELb0ELi1EEEvPT0_PT_PfS5_S5_S5_diiiiiiib,"axG",@progbits,_ZN5aiter24add_rmsnorm_quant_kernelItDB8_Li256ELi16ELb0ELb1ELb0ELi1EEEvPT0_PT_PfS5_S5_S5_diiiiiiib,comdat
	.protected	_ZN5aiter24add_rmsnorm_quant_kernelItDB8_Li256ELi16ELb0ELb1ELb0ELi1EEEvPT0_PT_PfS5_S5_S5_diiiiiiib ; -- Begin function _ZN5aiter24add_rmsnorm_quant_kernelItDB8_Li256ELi16ELb0ELb1ELb0ELi1EEEvPT0_PT_PfS5_S5_S5_diiiiiiib
	.globl	_ZN5aiter24add_rmsnorm_quant_kernelItDB8_Li256ELi16ELb0ELb1ELb0ELi1EEEvPT0_PT_PfS5_S5_S5_diiiiiiib
	.p2align	8
	.type	_ZN5aiter24add_rmsnorm_quant_kernelItDB8_Li256ELi16ELb0ELb1ELb0ELi1EEEvPT0_PT_PfS5_S5_S5_diiiiiiib,@function
_ZN5aiter24add_rmsnorm_quant_kernelItDB8_Li256ELi16ELb0ELb1ELb0ELi1EEEvPT0_PT_PfS5_S5_S5_diiiiiiib: ; @_ZN5aiter24add_rmsnorm_quant_kernelItDB8_Li256ELi16ELb0ELb1ELb0ELi1EEEvPT0_PT_PfS5_S5_S5_diiiiiiib
; %bb.0:
	s_load_b128 s[4:7], s[0:1], 0x38
	s_mov_b32 s20, s15
	s_mov_b32 s21, 0
	s_waitcnt lgkmcnt(0)
	s_ashr_i32 s3, s4, 31
	s_mov_b32 s2, s4
	s_delay_alu instid0(SALU_CYCLE_1) | instskip(NEXT) | instid1(VALU_DEP_1)
	v_cmp_ge_i64_e64 s2, s[20:21], s[2:3]
	s_and_b32 vcc_lo, exec_lo, s2
	s_cbranch_vccnz .LBB80_44
; %bb.1:
	s_clause 0x1
	s_load_b128 s[8:11], s[0:1], 0x10
	s_load_b128 s[16:19], s[0:1], 0x28
	s_ashr_i32 s2, s6, 31
	s_mul_hi_u32 s3, s6, s20
	s_mul_i32 s7, s2, s20
	s_mul_i32 s2, s6, s20
	s_add_i32 s3, s3, s7
	v_lshlrev_b32_e32 v1, 5, v0
	s_lshl_b64 s[2:3], s[2:3], 1
	s_mov_b32 s15, -1
	v_and_b32_e32 v27, 31, v0
	s_mov_b32 s27, s15
	s_waitcnt lgkmcnt(0)
	s_add_u32 s12, s10, s2
	s_addc_u32 s2, s11, s3
	s_add_i32 s3, s5, 1
	s_and_b32 s13, s2, 0xffff
	s_lshr_b32 s6, s3, 31
	s_mov_b32 s24, s16
	s_add_i32 s3, s3, s6
	s_and_b32 s25, s17, 0xffff
	s_lshl_b32 s3, s3, 1
	v_cmp_eq_u32_e64 s2, 31, v27
	s_and_b32 s14, s3, -4
	s_clause 0x1
	buffer_load_b128 v[14:17], v1, s[12:15], 0 offen
	buffer_load_b128 v[22:25], v1, s[12:15], 16 offen
	s_mov_b32 s26, s14
	s_waitcnt vmcnt(1)
	v_lshrrev_b32_e32 v9, 16, v14
	v_and_b32_e32 v10, 0xffff, v14
	v_lshrrev_b32_e32 v14, 16, v15
	v_lshrrev_b32_e32 v18, 16, v17
	s_waitcnt vmcnt(0)
	v_lshrrev_b32_e32 v20, 16, v22
	v_cvt_f32_u32_e32 v11, v9
	v_cvt_f32_u32_e32 v12, v10
	;; [unrolled: 1-line block ×5, first 2 shown]
	v_mul_f32_e32 v10, v11, v11
	s_clause 0x1
	buffer_load_b128 v[5:8], v1, s[24:27], 0 offen
	buffer_load_b128 v[1:4], v1, s[24:27], 16 offen
	v_and_b32_e32 v9, 0xffff, v15
	v_lshrrev_b32_e32 v26, 16, v25
	v_fmac_f32_e32 v10, v12, v12
	s_delay_alu instid0(VALU_DEP_3) | instskip(SKIP_3) | instid1(VALU_DEP_4)
	v_cvt_f32_u32_e32 v13, v9
	v_and_b32_e32 v9, 0xffff, v16
	v_lshrrev_b32_e32 v16, 16, v16
	v_cvt_f32_u32_e32 v26, v26
	v_fmac_f32_e32 v10, v13, v13
	s_delay_alu instid0(VALU_DEP_4) | instskip(SKIP_2) | instid1(VALU_DEP_4)
	v_cvt_f32_u32_e32 v15, v9
	v_and_b32_e32 v9, 0xffff, v17
	v_cvt_f32_u32_e32 v16, v16
	v_fmac_f32_e32 v10, v14, v14
	s_delay_alu instid0(VALU_DEP_3) | instskip(SKIP_2) | instid1(VALU_DEP_4)
	v_cvt_f32_u32_e32 v17, v9
	v_and_b32_e32 v9, 0xffff, v22
	v_lshrrev_b32_e32 v22, 16, v23
	v_fmac_f32_e32 v10, v15, v15
	s_delay_alu instid0(VALU_DEP_3) | instskip(NEXT) | instid1(VALU_DEP_2)
	v_cvt_f32_u32_e32 v19, v9
	v_dual_fmac_f32 v10, v16, v16 :: v_dual_and_b32 v9, 0xffff, v23
	s_delay_alu instid0(VALU_DEP_4) | instskip(NEXT) | instid1(VALU_DEP_2)
	v_cvt_f32_u32_e32 v22, v22
	v_cvt_f32_u32_e32 v21, v9
	s_delay_alu instid0(VALU_DEP_3) | instskip(SKIP_1) | instid1(VALU_DEP_2)
	v_dual_fmac_f32 v10, v17, v17 :: v_dual_and_b32 v9, 0xffff, v24
	v_lshrrev_b32_e32 v24, 16, v24
	v_fmac_f32_e32 v10, v18, v18
	s_delay_alu instid0(VALU_DEP_3) | instskip(SKIP_1) | instid1(VALU_DEP_4)
	v_cvt_f32_u32_e32 v23, v9
	v_and_b32_e32 v9, 0xffff, v25
	v_cvt_f32_u32_e32 v24, v24
	s_delay_alu instid0(VALU_DEP_4) | instskip(NEXT) | instid1(VALU_DEP_3)
	v_fmac_f32_e32 v10, v19, v19
	v_cvt_f32_u32_e32 v25, v9
	s_delay_alu instid0(VALU_DEP_2) | instskip(NEXT) | instid1(VALU_DEP_1)
	v_fmac_f32_e32 v10, v20, v20
	v_fmac_f32_e32 v10, v21, v21
	s_delay_alu instid0(VALU_DEP_1) | instskip(NEXT) | instid1(VALU_DEP_1)
	v_fmac_f32_e32 v10, v22, v22
	v_fmac_f32_e32 v10, v23, v23
	s_delay_alu instid0(VALU_DEP_1) | instskip(NEXT) | instid1(VALU_DEP_1)
	;; [unrolled: 3-line block ×3, first 2 shown]
	v_fmac_f32_e32 v10, v26, v26
	v_mov_b32_dpp v9, v10 quad_perm:[1,0,3,2] row_mask:0xf bank_mask:0xf
	s_delay_alu instid0(VALU_DEP_1) | instskip(NEXT) | instid1(VALU_DEP_1)
	v_add_f32_e32 v9, v10, v9
	v_mov_b32_dpp v10, v9 quad_perm:[2,3,0,1] row_mask:0xf bank_mask:0xf
	s_delay_alu instid0(VALU_DEP_1) | instskip(NEXT) | instid1(VALU_DEP_1)
	v_add_f32_e32 v9, v9, v10
	v_mov_b32_dpp v10, v9 row_xmask:7 row_mask:0xf bank_mask:0xf
	s_delay_alu instid0(VALU_DEP_1) | instskip(NEXT) | instid1(VALU_DEP_1)
	v_add_f32_e32 v9, v9, v10
	v_mov_b32_dpp v10, v9 row_xmask:15 row_mask:0xf bank_mask:0xf
	s_and_saveexec_b32 s3, s2
	s_cbranch_execz .LBB80_3
; %bb.2:
	s_delay_alu instid0(VALU_DEP_1) | instskip(SKIP_2) | instid1(VALU_DEP_2)
	v_add_f32_e32 v9, v9, v10
	s_mov_b32 s6, 0x76543210
	v_lshrrev_b32_e32 v10, 3, v0
	v_permlanex16_b32 v27, v9, s6, 0xfedcba98 op_sel:[1,1]
	s_delay_alu instid0(VALU_DEP_1)
	v_dual_add_f32 v9, v9, v27 :: v_dual_and_b32 v10, 0x7c, v10
	ds_store_b32 v10, v9 offset:32
.LBB80_3:
	s_or_b32 exec_lo, exec_lo, s3
	v_and_b32_e32 v9, 7, v0
	s_waitcnt vmcnt(0) lgkmcnt(0)
	s_barrier
	buffer_gl0_inv
	v_cvt_f32_i32_e32 v28, s5
	v_lshlrev_b32_e32 v10, 2, v9
	v_mov_b32_e32 v36, 0x2edbe6ff
	ds_load_b32 v9, v10 offset:32
	s_clause 0x1
	s_load_b64 s[6:7], s[0:1], 0x4c
	s_load_b32 s10, s[0:1], 0x54
	s_waitcnt lgkmcnt(0)
	v_mov_b32_dpp v27, v9 quad_perm:[1,0,3,2] row_mask:0xf bank_mask:0xf
	s_cmp_lg_u32 s7, 0
	s_delay_alu instid0(VALU_DEP_1) | instskip(NEXT) | instid1(VALU_DEP_1)
	v_add_f32_e32 v9, v9, v27
	v_mov_b32_dpp v27, v9 quad_perm:[2,3,0,1] row_mask:0xf bank_mask:0xf
	s_delay_alu instid0(VALU_DEP_1) | instskip(NEXT) | instid1(VALU_DEP_1)
	v_add_f32_e32 v9, v9, v27
	v_mov_b32_dpp v27, v9 row_xmask:7 row_mask:0xf bank_mask:0xf
	s_delay_alu instid0(VALU_DEP_1) | instskip(NEXT) | instid1(VALU_DEP_1)
	v_add_f32_e32 v9, v9, v27
	v_div_scale_f32 v27, null, v28, v28, v9
	v_div_scale_f32 v31, vcc_lo, v9, v28, v9
	s_delay_alu instid0(VALU_DEP_2) | instskip(SKIP_2) | instid1(VALU_DEP_1)
	v_rcp_f32_e32 v29, v27
	s_waitcnt_depctr 0xfff
	v_fma_f32 v30, -v27, v29, 1.0
	v_fmac_f32_e32 v29, v30, v29
	s_delay_alu instid0(VALU_DEP_1) | instskip(NEXT) | instid1(VALU_DEP_1)
	v_mul_f32_e32 v30, v31, v29
	v_fma_f32 v32, -v27, v30, v31
	s_delay_alu instid0(VALU_DEP_1) | instskip(NEXT) | instid1(VALU_DEP_1)
	v_fmac_f32_e32 v30, v32, v29
	v_fma_f32 v27, -v27, v30, v31
	s_delay_alu instid0(VALU_DEP_1) | instskip(SKIP_2) | instid1(VALU_DEP_3)
	v_div_fmas_f32 v27, v27, v29, v30
	v_and_b32_e32 v30, 0xffff, v7
	v_lshrrev_b32_e32 v7, 16, v7
	v_div_fixup_f32 v9, v27, v28, v9
	s_delay_alu instid0(VALU_DEP_3) | instskip(NEXT) | instid1(VALU_DEP_3)
	v_cvt_f32_u32_e32 v30, v30
	v_cvt_f32_u32_e32 v7, v7
	s_delay_alu instid0(VALU_DEP_3) | instskip(SKIP_1) | instid1(VALU_DEP_2)
	v_cvt_f64_f32_e32 v[27:28], v9
	v_lshlrev_b32_e32 v9, 4, v0
	v_add_f64 v[27:28], v[27:28], s[18:19]
	s_delay_alu instid0(VALU_DEP_1) | instskip(SKIP_2) | instid1(VALU_DEP_2)
	v_cvt_f32_f64_e32 v27, v[27:28]
	v_and_b32_e32 v28, 0xffff, v5
	v_lshrrev_b32_e32 v5, 16, v5
	v_cvt_f32_u32_e32 v28, v28
	s_delay_alu instid0(VALU_DEP_2) | instskip(SKIP_4) | instid1(VALU_DEP_4)
	v_cvt_f32_u32_e32 v5, v5
	v_mul_f32_e32 v33, 0x4b800000, v27
	v_cmp_gt_f32_e32 vcc_lo, 0x800000, v27
	v_and_b32_e32 v34, 0xffff, v2
	v_lshrrev_b32_e32 v2, 16, v2
	v_cndmask_b32_e32 v27, v27, v33, vcc_lo
	s_delay_alu instid0(VALU_DEP_3) | instskip(NEXT) | instid1(VALU_DEP_3)
	v_cvt_f32_u32_e32 v34, v34
	v_cvt_f32_u32_e32 v2, v2
	s_delay_alu instid0(VALU_DEP_3) | instskip(SKIP_2) | instid1(VALU_DEP_1)
	v_rsq_f32_e32 v27, v27
	s_waitcnt_depctr 0xfff
	v_mul_f32_e32 v37, 0x45800000, v27
	v_cndmask_b32_e32 v27, v27, v37, vcc_lo
	v_and_b32_e32 v29, 0xffff, v6
	v_lshrrev_b32_e32 v6, 16, v6
	v_and_b32_e32 v31, 0xffff, v8
	v_lshrrev_b32_e32 v8, 16, v8
	v_dual_mul_f32 v14, v27, v14 :: v_dual_and_b32 v33, 0xffff, v3
	v_mul_f32_e32 v38, v27, v18
	v_cvt_f32_u32_e32 v6, v6
	v_lshrrev_b32_e32 v3, 16, v3
	v_cvt_f32_u32_e32 v8, v8
	v_cvt_f32_u32_e32 v31, v31
	;; [unrolled: 1-line block ×3, first 2 shown]
	v_mul_f32_e32 v18, v14, v6
	v_dual_mul_f32 v11, v27, v11 :: v_dual_and_b32 v32, 0xffff, v1
	v_lshrrev_b32_e32 v1, 16, v1
	v_mul_f32_e32 v12, v27, v12
	v_dual_mul_f32 v22, v27, v22 :: v_dual_and_b32 v35, 0xffff, v4
	v_cvt_f32_u32_e32 v29, v29
	v_mul_f32_e32 v16, v27, v16
	v_mul_f32_e32 v13, v27, v13
	v_lshrrev_b32_e32 v4, 16, v4
	v_mul_f32_e32 v37, v27, v17
	v_dual_mul_f32 v15, v27, v15 :: v_dual_mul_f32 v14, v38, v8
	v_cvt_f32_u32_e32 v32, v32
	v_cvt_f32_u32_e32 v1, v1
	v_mul_f32_e32 v40, v27, v20
	v_mul_f32_e32 v39, v27, v19
	v_dual_mul_f32 v26, v27, v26 :: v_dual_mul_f32 v19, v12, v28
	v_cvt_f32_u32_e32 v3, v3
	v_mul_f32_e32 v16, v16, v7
	v_dual_mul_f32 v24, v27, v24 :: v_dual_mul_f32 v17, v13, v29
	v_dual_mul_f32 v21, v27, v21 :: v_dual_mul_f32 v8, v22, v2
	;; [unrolled: 1-line block ×3, first 2 shown]
	v_cvt_f32_u32_e32 v35, v35
	v_cvt_f32_u32_e32 v4, v4
	v_mul_f32_e32 v23, v27, v23
	s_delay_alu instid0(VALU_DEP_4) | instskip(SKIP_4) | instid1(VALU_DEP_4)
	v_dual_mul_f32 v25, v27, v25 :: v_dual_and_b32 v2, 0x7fffffff, v20
	v_dual_mul_f32 v15, v15, v30 :: v_dual_mul_f32 v12, v40, v1
	v_dual_mul_f32 v11, v39, v32 :: v_dual_and_b32 v22, 0x7fffffff, v18
	v_and_b32_e32 v1, 0x7fffffff, v19
	v_dual_mul_f32 v6, v24, v3 :: v_dual_mul_f32 v7, v21, v34
	v_and_b32_e32 v28, 0x7fffffff, v12
	;;#ASMSTART
	v_max3_f32 v1, v36, v1, v2

	;;#ASMEND
	v_dual_mul_f32 v3, v25, v35 :: v_dual_and_b32 v30, 0x7fffffff, v8
	v_dual_mul_f32 v4, v26, v4 :: v_dual_mul_f32 v5, v23, v33
	v_and_b32_e32 v26, 0x7fffffff, v14
	v_and_b32_e32 v21, 0x7fffffff, v17
	;;#ASMSTART
	v_max3_f32 v1, v1, v21, v22

	;;#ASMEND
	v_and_b32_e32 v24, 0x7fffffff, v16
	v_and_b32_e32 v23, 0x7fffffff, v15
	;;#ASMSTART
	v_max3_f32 v1, v1, v23, v24

	;;#ASMEND
	v_and_b32_e32 v25, 0x7fffffff, v13
	;;#ASMSTART
	v_max3_f32 v1, v1, v25, v26

	;;#ASMEND
	;; [unrolled: 5-line block ×4, first 2 shown]
	v_and_b32_e32 v31, 0x7fffffff, v5
	v_and_b32_e32 v32, 0x7fffffff, v6
	;; [unrolled: 1-line block ×4, first 2 shown]
	;;#ASMSTART
	v_max3_f32 v1, v1, v31, v32

	;;#ASMEND
	;;#ASMSTART
	v_max3_f32 v21, v1, v33, v34

	;;#ASMEND
	s_cbranch_scc0 .LBB80_10
; %bb.4:
	s_ashr_i32 s11, s7, 31
	s_delay_alu instid0(SALU_CYCLE_1) | instskip(NEXT) | instid1(SALU_CYCLE_1)
	s_lshr_b32 s3, s11, 28
	s_add_i32 s3, s7, s3
	s_delay_alu instid0(SALU_CYCLE_1) | instskip(NEXT) | instid1(SALU_CYCLE_1)
	s_ashr_i32 s3, s3, 4
	s_cmp_lt_i32 s3, 8
	s_cbranch_scc1 .LBB80_11
; %bb.5:
	s_cmp_lt_i32 s3, 16
	s_cbranch_scc1 .LBB80_12
; %bb.6:
	;; [unrolled: 3-line block ×3, first 2 shown]
	v_mov_b32_e32 v1, v21
	s_cmp_eq_u32 s3, 32
	s_cbranch_scc0 .LBB80_9
; %bb.8:
	s_delay_alu instid0(VALU_DEP_1) | instskip(SKIP_1) | instid1(VALU_DEP_1)
	v_mov_b32_dpp v1, v21 quad_perm:[1,0,3,2] row_mask:0xf bank_mask:0xf
	s_mov_b32 s12, 0x76543210
	v_cmp_gt_f32_e32 vcc_lo, v21, v1
	v_cndmask_b32_e32 v1, v1, v21, vcc_lo
	s_delay_alu instid0(VALU_DEP_1) | instskip(NEXT) | instid1(VALU_DEP_1)
	v_mov_b32_dpp v2, v1 quad_perm:[2,3,0,1] row_mask:0xf bank_mask:0xf
	v_cmp_gt_f32_e32 vcc_lo, v1, v2
	v_cndmask_b32_e32 v1, v2, v1, vcc_lo
	s_delay_alu instid0(VALU_DEP_1) | instskip(NEXT) | instid1(VALU_DEP_1)
	v_mov_b32_dpp v2, v1 row_xmask:7 row_mask:0xf bank_mask:0xf
	v_cmp_gt_f32_e32 vcc_lo, v1, v2
	v_cndmask_b32_e32 v1, v2, v1, vcc_lo
	s_delay_alu instid0(VALU_DEP_1) | instskip(NEXT) | instid1(VALU_DEP_1)
	v_mov_b32_dpp v2, v1 row_xmask:15 row_mask:0xf bank_mask:0xf
	v_cmp_gt_f32_e32 vcc_lo, v1, v2
	v_cndmask_b32_e32 v1, v2, v1, vcc_lo
	s_delay_alu instid0(VALU_DEP_1) | instskip(NEXT) | instid1(VALU_DEP_1)
	v_permlanex16_b32 v2, v1, s12, 0xfedcba98 op_sel:[1,1]
	v_cmp_gt_f32_e32 vcc_lo, v1, v2
	v_cndmask_b32_e32 v1, v2, v1, vcc_lo
.LBB80_9:
	s_mov_b32 s12, 0
	s_branch .LBB80_14
.LBB80_10:
	s_mov_b32 s3, 0
                                        ; implicit-def: $vgpr22
                                        ; implicit-def: $vgpr1_vgpr2
	s_and_b32 vcc_lo, exec_lo, s15
	s_cbranch_vccnz .LBB80_38
	s_branch .LBB80_41
.LBB80_11:
                                        ; implicit-def: $vgpr1
	s_branch .LBB80_21
.LBB80_12:
                                        ; implicit-def: $vgpr1
	s_branch .LBB80_18
.LBB80_13:
	s_mov_b32 s12, -1
                                        ; implicit-def: $vgpr1
.LBB80_14:
	s_delay_alu instid0(SALU_CYCLE_1)
	s_and_not1_b32 vcc_lo, exec_lo, s12
	s_cbranch_vccnz .LBB80_17
; %bb.15:
	v_mov_b32_e32 v1, v21
	s_cmp_eq_u32 s3, 16
	s_cbranch_scc0 .LBB80_17
; %bb.16:
	s_delay_alu instid0(VALU_DEP_1) | instskip(NEXT) | instid1(VALU_DEP_1)
	v_mov_b32_dpp v1, v21 quad_perm:[1,0,3,2] row_mask:0xf bank_mask:0xf
	v_cmp_gt_f32_e32 vcc_lo, v21, v1
	v_cndmask_b32_e32 v1, v1, v21, vcc_lo
	s_delay_alu instid0(VALU_DEP_1) | instskip(NEXT) | instid1(VALU_DEP_1)
	v_mov_b32_dpp v2, v1 quad_perm:[2,3,0,1] row_mask:0xf bank_mask:0xf
	v_cmp_gt_f32_e32 vcc_lo, v1, v2
	v_cndmask_b32_e32 v1, v2, v1, vcc_lo
	s_delay_alu instid0(VALU_DEP_1) | instskip(NEXT) | instid1(VALU_DEP_1)
	v_mov_b32_dpp v2, v1 row_half_mirror row_mask:0xf bank_mask:0xf
	v_cmp_gt_f32_e32 vcc_lo, v1, v2
	v_cndmask_b32_e32 v1, v2, v1, vcc_lo
	s_delay_alu instid0(VALU_DEP_1) | instskip(NEXT) | instid1(VALU_DEP_1)
	v_mov_b32_dpp v2, v1 row_mirror row_mask:0xf bank_mask:0xf
	v_cmp_gt_f32_e32 vcc_lo, v1, v2
	v_cndmask_b32_e32 v1, v2, v1, vcc_lo
.LBB80_17:
	s_cbranch_execnz .LBB80_20
.LBB80_18:
	v_mov_b32_e32 v1, v21
	s_cmp_eq_u32 s3, 8
	s_cbranch_scc0 .LBB80_20
; %bb.19:
	s_delay_alu instid0(VALU_DEP_1) | instskip(NEXT) | instid1(VALU_DEP_1)
	v_mov_b32_dpp v1, v21 quad_perm:[1,0,3,2] row_mask:0xf bank_mask:0xf
	v_cmp_gt_f32_e32 vcc_lo, v21, v1
	v_cndmask_b32_e32 v1, v1, v21, vcc_lo
	s_delay_alu instid0(VALU_DEP_1) | instskip(NEXT) | instid1(VALU_DEP_1)
	v_mov_b32_dpp v2, v1 quad_perm:[2,3,0,1] row_mask:0xf bank_mask:0xf
	v_cmp_gt_f32_e32 vcc_lo, v1, v2
	v_cndmask_b32_e32 v1, v2, v1, vcc_lo
	s_delay_alu instid0(VALU_DEP_1) | instskip(NEXT) | instid1(VALU_DEP_1)
	v_mov_b32_dpp v2, v1 row_half_mirror row_mask:0xf bank_mask:0xf
	v_cmp_gt_f32_e32 vcc_lo, v1, v2
	v_cndmask_b32_e32 v1, v2, v1, vcc_lo
.LBB80_20:
	s_cbranch_execnz .LBB80_28
.LBB80_21:
	s_cmp_lt_i32 s3, 4
	s_cbranch_scc1 .LBB80_24
; %bb.22:
	v_mov_b32_e32 v1, v21
	s_cmp_eq_u32 s3, 4
	s_cbranch_scc0 .LBB80_25
; %bb.23:
	s_delay_alu instid0(VALU_DEP_1) | instskip(NEXT) | instid1(VALU_DEP_1)
	v_mov_b32_dpp v1, v21 quad_perm:[1,0,3,2] row_mask:0xf bank_mask:0xf
	v_cmp_gt_f32_e32 vcc_lo, v21, v1
	v_cndmask_b32_e32 v1, v1, v21, vcc_lo
	s_delay_alu instid0(VALU_DEP_1) | instskip(NEXT) | instid1(VALU_DEP_1)
	v_mov_b32_dpp v2, v1 quad_perm:[2,3,0,1] row_mask:0xf bank_mask:0xf
	v_cmp_gt_f32_e32 vcc_lo, v1, v2
	v_cndmask_b32_e32 v1, v2, v1, vcc_lo
	s_cbranch_execz .LBB80_26
	s_branch .LBB80_28
.LBB80_24:
                                        ; implicit-def: $vgpr1
	s_branch .LBB80_26
.LBB80_25:
	s_cbranch_execnz .LBB80_28
.LBB80_26:
	v_mov_b32_e32 v1, v21
	s_cmp_lg_u32 s3, 2
	s_cbranch_scc1 .LBB80_28
; %bb.27:
	s_delay_alu instid0(VALU_DEP_1) | instskip(NEXT) | instid1(VALU_DEP_1)
	v_mov_b32_dpp v1, v21 quad_perm:[1,0,3,2] row_mask:0xf bank_mask:0xf
	v_cmp_gt_f32_e32 vcc_lo, v21, v1
	v_cndmask_b32_e32 v1, v1, v21, vcc_lo
.LBB80_28:
	v_cvt_f32_u32_e32 v2, s3
	s_sub_i32 s12, 0, s3
	s_mov_b32 s15, 0
	s_delay_alu instid0(VALU_DEP_1) | instskip(SKIP_2) | instid1(VALU_DEP_1)
	v_rcp_iflag_f32_e32 v2, v2
	s_waitcnt_depctr 0xfff
	v_mul_f32_e32 v2, 0x4f7ffffe, v2
	v_cvt_u32_f32_e32 v2, v2
	s_delay_alu instid0(VALU_DEP_1) | instskip(NEXT) | instid1(VALU_DEP_1)
	v_mul_lo_u32 v22, s12, v2
	v_mul_hi_u32 v22, v2, v22
	s_delay_alu instid0(VALU_DEP_1) | instskip(NEXT) | instid1(VALU_DEP_1)
	v_add_nc_u32_e32 v2, v2, v22
	v_mul_hi_u32 v2, v0, v2
	s_delay_alu instid0(VALU_DEP_1) | instskip(NEXT) | instid1(VALU_DEP_1)
	v_mul_lo_u32 v22, v2, s3
	v_sub_nc_u32_e32 v22, v0, v22
	s_delay_alu instid0(VALU_DEP_1) | instskip(SKIP_1) | instid1(VALU_DEP_2)
	v_subrev_nc_u32_e32 v24, s3, v22
	v_cmp_le_u32_e32 vcc_lo, s3, v22
	v_dual_cndmask_b32 v22, v22, v24 :: v_dual_add_nc_u32 v23, 1, v2
	s_delay_alu instid0(VALU_DEP_1) | instskip(NEXT) | instid1(VALU_DEP_2)
	v_cndmask_b32_e32 v2, v2, v23, vcc_lo
	v_cmp_le_u32_e32 vcc_lo, s3, v22
	s_delay_alu instid0(VALU_DEP_2) | instskip(NEXT) | instid1(VALU_DEP_1)
	v_dual_mul_f32 v22, 0x3b124925, v1 :: v_dual_add_nc_u32 v23, 1, v2
	v_cndmask_b32_e32 v23, v2, v23, vcc_lo
	v_cmp_gt_u32_e32 vcc_lo, s5, v9
	s_delay_alu instid0(VALU_DEP_2) | instskip(NEXT) | instid1(VALU_DEP_1)
	v_mul_lo_u32 v2, v23, s3
	v_sub_nc_u32_e32 v2, v0, v2
	s_delay_alu instid0(VALU_DEP_1) | instskip(NEXT) | instid1(VALU_DEP_1)
	v_cmp_eq_u32_e64 s3, 0, v2
                                        ; implicit-def: $vgpr1_vgpr2
	s_and_b32 s12, s3, vcc_lo
	s_mov_b32 s3, 0
	s_and_saveexec_b32 s13, s12
	s_delay_alu instid0(SALU_CYCLE_1)
	s_xor_b32 s14, exec_lo, s13
	s_cbranch_execz .LBB80_37
; %bb.29:
	s_bitcmp0_b32 s10, 0
	s_mov_b32 s16, 0
	s_cbranch_scc0 .LBB80_34
; %bb.30:
	s_ashr_i32 s3, s5, 31
	s_mul_hi_u32 s10, s5, s20
	s_mul_i32 s3, s3, s20
	s_mul_i32 s12, s5, s20
	s_add_i32 s13, s10, s3
	s_mov_b32 s10, s7
	s_delay_alu instid0(SALU_CYCLE_1) | instskip(NEXT) | instid1(SALU_CYCLE_1)
	s_or_b64 s[18:19], s[12:13], s[10:11]
	s_mov_b32 s17, s19
	s_delay_alu instid0(SALU_CYCLE_1)
	s_cmp_lg_u64 s[16:17], 0
	s_cbranch_scc0 .LBB80_45
; %bb.31:
	s_add_u32 s18, s10, s11
	s_mov_b32 s16, s11
	s_mov_b32 s17, s11
	s_addc_u32 s19, s11, s11
	s_delay_alu instid0(SALU_CYCLE_1) | instskip(NEXT) | instid1(SALU_CYCLE_1)
	s_xor_b64 s[18:19], s[18:19], s[16:17]
	v_cvt_f32_u32_e32 v1, s18
	v_cvt_f32_u32_e32 v2, s19
	s_sub_u32 s11, 0, s18
	s_subb_u32 s22, 0, s19
	s_delay_alu instid0(VALU_DEP_1) | instskip(NEXT) | instid1(VALU_DEP_1)
	v_fmamk_f32 v1, v2, 0x4f800000, v1
	v_rcp_f32_e32 v1, v1
	s_waitcnt_depctr 0xfff
	v_mul_f32_e32 v1, 0x5f7ffffc, v1
	s_delay_alu instid0(VALU_DEP_1) | instskip(NEXT) | instid1(VALU_DEP_1)
	v_mul_f32_e32 v2, 0x2f800000, v1
	v_trunc_f32_e32 v2, v2
	s_delay_alu instid0(VALU_DEP_1) | instskip(SKIP_1) | instid1(VALU_DEP_2)
	v_fmamk_f32 v1, v2, 0xcf800000, v1
	v_cvt_u32_f32_e32 v2, v2
	v_cvt_u32_f32_e32 v1, v1
	s_delay_alu instid0(VALU_DEP_2) | instskip(NEXT) | instid1(VALU_DEP_2)
	v_readfirstlane_b32 s3, v2
	v_readfirstlane_b32 s7, v1
	s_delay_alu instid0(VALU_DEP_2) | instskip(NEXT) | instid1(VALU_DEP_1)
	s_mul_i32 s23, s11, s3
	s_mul_hi_u32 s25, s11, s7
	s_mul_i32 s24, s22, s7
	s_add_i32 s23, s25, s23
	s_mul_i32 s26, s11, s7
	s_add_i32 s23, s23, s24
	s_mul_hi_u32 s25, s7, s26
	s_mul_hi_u32 s27, s3, s26
	s_mul_i32 s24, s3, s26
	s_mul_hi_u32 s26, s7, s23
	s_mul_i32 s7, s7, s23
	s_mul_hi_u32 s28, s3, s23
	s_add_u32 s7, s25, s7
	s_addc_u32 s25, 0, s26
	s_add_u32 s7, s7, s24
	s_mul_i32 s23, s3, s23
	s_addc_u32 s7, s25, s27
	s_addc_u32 s24, s28, 0
	s_add_u32 s7, s7, s23
	s_addc_u32 s23, 0, s24
	v_add_co_u32 v1, s7, v1, s7
	s_delay_alu instid0(VALU_DEP_1) | instskip(SKIP_1) | instid1(VALU_DEP_1)
	s_cmp_lg_u32 s7, 0
	s_addc_u32 s3, s3, s23
	v_readfirstlane_b32 s7, v1
	s_mul_i32 s23, s11, s3
	s_delay_alu instid0(VALU_DEP_1)
	s_mul_hi_u32 s24, s11, s7
	s_mul_i32 s22, s22, s7
	s_add_i32 s23, s24, s23
	s_mul_i32 s11, s11, s7
	s_add_i32 s23, s23, s22
	s_mul_hi_u32 s24, s3, s11
	s_mul_i32 s25, s3, s11
	s_mul_hi_u32 s11, s7, s11
	s_mul_hi_u32 s26, s7, s23
	s_mul_i32 s7, s7, s23
	s_mul_hi_u32 s22, s3, s23
	s_add_u32 s7, s11, s7
	s_addc_u32 s11, 0, s26
	s_add_u32 s7, s7, s25
	s_mul_i32 s23, s3, s23
	s_addc_u32 s7, s11, s24
	s_addc_u32 s11, s22, 0
	s_add_u32 s7, s7, s23
	s_addc_u32 s11, 0, s11
	v_add_co_u32 v1, s7, v1, s7
	s_delay_alu instid0(VALU_DEP_1) | instskip(SKIP_2) | instid1(VALU_DEP_1)
	s_cmp_lg_u32 s7, 0
	s_addc_u32 s3, s3, s11
	s_ashr_i32 s22, s13, 31
	v_readfirstlane_b32 s7, v1
	s_add_u32 s24, s12, s22
	s_mov_b32 s23, s22
	s_addc_u32 s25, s13, s22
	s_delay_alu instid0(SALU_CYCLE_1) | instskip(NEXT) | instid1(SALU_CYCLE_1)
	s_xor_b64 s[24:25], s[24:25], s[22:23]
	s_mul_i32 s13, s24, s3
	s_mul_hi_u32 s26, s24, s7
	s_mul_hi_u32 s11, s24, s3
	;; [unrolled: 1-line block ×3, first 2 shown]
	s_mul_i32 s7, s25, s7
	s_add_u32 s13, s26, s13
	s_addc_u32 s11, 0, s11
	s_mul_hi_u32 s27, s25, s3
	s_add_u32 s7, s13, s7
	s_mul_i32 s3, s25, s3
	s_addc_u32 s7, s11, s28
	s_addc_u32 s11, s27, 0
	s_add_u32 s7, s7, s3
	s_addc_u32 s11, 0, s11
	s_mul_i32 s27, s18, s7
	s_mul_hi_u32 s3, s18, s7
	s_mul_i32 s26, s18, s11
	v_sub_co_u32 v1, s24, s24, s27
	s_mul_i32 s13, s19, s7
	s_add_i32 s3, s3, s26
	s_delay_alu instid0(SALU_CYCLE_1) | instskip(NEXT) | instid1(VALU_DEP_1)
	s_add_i32 s3, s3, s13
	v_sub_co_u32 v2, s26, v1, s18
	s_sub_i32 s13, s25, s3
	s_cmp_lg_u32 s24, 0
	s_subb_u32 s13, s13, s19
	s_cmp_lg_u32 s26, 0
	v_cmp_le_u32_e32 vcc_lo, s18, v2
	s_subb_u32 s13, s13, 0
	s_delay_alu instid0(SALU_CYCLE_1)
	s_cmp_ge_u32 s13, s19
	v_cndmask_b32_e64 v2, 0, -1, vcc_lo
	s_cselect_b32 s26, -1, 0
	s_cmp_eq_u32 s13, s19
	s_cselect_b32 vcc_lo, -1, 0
	s_add_u32 s13, s7, 1
	v_cndmask_b32_e32 v2, s26, v2, vcc_lo
	s_addc_u32 s26, s11, 0
	s_add_u32 s27, s7, 2
	s_addc_u32 s28, s11, 0
	s_cmp_lg_u32 s24, 0
	v_cmp_le_u32_e32 vcc_lo, s18, v1
	s_subb_u32 s3, s25, s3
	v_mov_b32_e32 v24, s27
	s_cmp_ge_u32 s3, s19
	v_cndmask_b32_e64 v1, 0, -1, vcc_lo
	s_cselect_b32 s18, -1, 0
	s_cmp_eq_u32 s3, s19
	v_cmp_ne_u32_e32 vcc_lo, 0, v2
	v_mov_b32_e32 v2, s28
	s_cselect_b32 s3, -1, 0
	s_xor_b64 s[16:17], s[22:23], s[16:17]
	v_cndmask_b32_e64 v1, s18, v1, s3
	v_cndmask_b32_e32 v24, s13, v24, vcc_lo
	v_cndmask_b32_e32 v2, s26, v2, vcc_lo
	s_delay_alu instid0(VALU_DEP_3) | instskip(NEXT) | instid1(VALU_DEP_2)
	v_cmp_ne_u32_e32 vcc_lo, 0, v1
	v_cndmask_b32_e32 v1, s11, v2, vcc_lo
	s_delay_alu instid0(VALU_DEP_4) | instskip(NEXT) | instid1(VALU_DEP_2)
	v_cndmask_b32_e32 v2, s7, v24, vcc_lo
	v_xor_b32_e32 v24, s17, v1
	s_delay_alu instid0(VALU_DEP_2) | instskip(NEXT) | instid1(VALU_DEP_1)
	v_xor_b32_e32 v2, s16, v2
	v_sub_co_u32 v1, vcc_lo, v2, s16
	s_delay_alu instid0(VALU_DEP_3)
	v_subrev_co_ci_u32_e32 v2, vcc_lo, s17, v24, vcc_lo
	s_cbranch_execnz .LBB80_33
.LBB80_32:
	v_cvt_f32_u32_e32 v1, s10
	s_sub_i32 s7, 0, s10
	s_delay_alu instid0(VALU_DEP_1) | instskip(SKIP_2) | instid1(VALU_DEP_1)
	v_rcp_iflag_f32_e32 v1, v1
	s_waitcnt_depctr 0xfff
	v_mul_f32_e32 v1, 0x4f7ffffe, v1
	v_cvt_u32_f32_e32 v1, v1
	s_delay_alu instid0(VALU_DEP_1) | instskip(NEXT) | instid1(VALU_DEP_1)
	v_readfirstlane_b32 s3, v1
	s_mul_i32 s7, s7, s3
	s_delay_alu instid0(SALU_CYCLE_1) | instskip(NEXT) | instid1(SALU_CYCLE_1)
	s_mul_hi_u32 s7, s3, s7
	s_add_i32 s3, s3, s7
	s_delay_alu instid0(SALU_CYCLE_1) | instskip(NEXT) | instid1(SALU_CYCLE_1)
	s_mul_hi_u32 s3, s12, s3
	s_mul_i32 s7, s3, s10
	s_add_i32 s11, s3, 1
	s_sub_i32 s7, s12, s7
	s_delay_alu instid0(SALU_CYCLE_1)
	s_sub_i32 s12, s7, s10
	s_cmp_ge_u32 s7, s10
	s_cselect_b32 s3, s11, s3
	s_cselect_b32 s7, s12, s7
	s_add_i32 s12, s3, 1
	s_cmp_ge_u32 s7, s10
	s_mov_b32 s11, 0
	s_cselect_b32 s10, s12, s3
	s_delay_alu instid0(SALU_CYCLE_1)
	v_dual_mov_b32 v1, s10 :: v_dual_mov_b32 v2, s11
.LBB80_33:
	s_delay_alu instid0(VALU_DEP_1) | instskip(NEXT) | instid1(VALU_DEP_2)
	v_add_co_u32 v1, vcc_lo, v1, v23
	v_add_co_ci_u32_e32 v2, vcc_lo, 0, v2, vcc_lo
	s_branch .LBB80_36
.LBB80_34:
                                        ; implicit-def: $vgpr1_vgpr2
	s_cbranch_execz .LBB80_36
; %bb.35:
	v_mul_lo_u32 v1, v23, s4
	s_delay_alu instid0(VALU_DEP_1) | instskip(SKIP_1) | instid1(VALU_DEP_2)
	v_ashrrev_i32_e32 v2, 31, v1
	v_add_co_u32 v1, vcc_lo, v1, s20
	v_add_co_ci_u32_e32 v2, vcc_lo, 0, v2, vcc_lo
.LBB80_36:
	s_mov_b32 s3, exec_lo
.LBB80_37:
	s_or_b32 exec_lo, exec_lo, s14
	s_delay_alu instid0(SALU_CYCLE_1)
	s_and_b32 vcc_lo, exec_lo, s15
	s_cbranch_vccz .LBB80_41
.LBB80_38:
	v_mov_b32_dpp v1, v21 quad_perm:[1,0,3,2] row_mask:0xf bank_mask:0xf
	s_delay_alu instid0(VALU_DEP_1) | instskip(SKIP_1) | instid1(VALU_DEP_1)
	v_cmp_gt_f32_e32 vcc_lo, v21, v1
	v_cndmask_b32_e32 v1, v1, v21, vcc_lo
	v_mov_b32_dpp v2, v1 quad_perm:[2,3,0,1] row_mask:0xf bank_mask:0xf
	s_delay_alu instid0(VALU_DEP_1) | instskip(SKIP_1) | instid1(VALU_DEP_1)
	v_cmp_gt_f32_e32 vcc_lo, v1, v2
	v_cndmask_b32_e32 v1, v2, v1, vcc_lo
	v_mov_b32_dpp v2, v1 row_xmask:7 row_mask:0xf bank_mask:0xf
	s_delay_alu instid0(VALU_DEP_1) | instskip(SKIP_1) | instid1(VALU_DEP_1)
	v_cmp_gt_f32_e32 vcc_lo, v1, v2
	v_cndmask_b32_e32 v1, v2, v1, vcc_lo
	v_mov_b32_dpp v2, v1 row_xmask:15 row_mask:0xf bank_mask:0xf
	s_delay_alu instid0(VALU_DEP_1)
	v_cmp_gt_f32_e32 vcc_lo, v1, v2
	s_and_saveexec_b32 s3, s2
	s_cbranch_execz .LBB80_40
; %bb.39:
	v_cndmask_b32_e32 v1, v2, v1, vcc_lo
	v_lshrrev_b32_e32 v2, 3, v0
	s_mov_b32 s2, 0x76543210
	s_delay_alu instid0(VALU_DEP_1) | instskip(NEXT) | instid1(VALU_DEP_3)
	v_and_b32_e32 v2, 0x7c, v2
	v_permlanex16_b32 v21, v1, s2, 0xfedcba98 op_sel:[1,1]
	s_delay_alu instid0(VALU_DEP_1)
	v_cmp_gt_f32_e32 vcc_lo, v1, v21
	v_cndmask_b32_e32 v1, v21, v1, vcc_lo
	ds_store_b32 v2, v1
.LBB80_40:
	s_or_b32 exec_lo, exec_lo, s3
	s_waitcnt lgkmcnt(0)
	s_barrier
	buffer_gl0_inv
	ds_load_b32 v1, v10
	v_cmp_eq_u32_e64 s3, 0, v0
	s_waitcnt lgkmcnt(0)
	v_mov_b32_dpp v2, v1 quad_perm:[1,0,3,2] row_mask:0xf bank_mask:0xf
	s_delay_alu instid0(VALU_DEP_1) | instskip(SKIP_1) | instid1(VALU_DEP_1)
	v_cmp_gt_f32_e32 vcc_lo, v1, v2
	v_cndmask_b32_e32 v1, v2, v1, vcc_lo
	v_mov_b32_dpp v2, v1 quad_perm:[2,3,0,1] row_mask:0xf bank_mask:0xf
	s_delay_alu instid0(VALU_DEP_1) | instskip(SKIP_1) | instid1(VALU_DEP_1)
	v_cmp_gt_f32_e32 vcc_lo, v1, v2
	v_cndmask_b32_e32 v1, v2, v1, vcc_lo
	v_mov_b32_dpp v2, v1 row_xmask:7 row_mask:0xf bank_mask:0xf
	s_delay_alu instid0(VALU_DEP_1) | instskip(SKIP_1) | instid1(VALU_DEP_1)
	v_cmp_gt_f32_e32 vcc_lo, v1, v2
	v_cndmask_b32_e32 v1, v2, v1, vcc_lo
	v_dual_mul_f32 v22, 0x3b124925, v1 :: v_dual_mov_b32 v1, s20
	v_mov_b32_e32 v2, s21
.LBB80_41:
	s_and_saveexec_b32 s2, s3
	s_cbranch_execz .LBB80_43
; %bb.42:
	s_delay_alu instid0(VALU_DEP_1) | instskip(NEXT) | instid1(VALU_DEP_1)
	v_lshlrev_b64 v[0:1], 2, v[1:2]
	v_add_co_u32 v0, vcc_lo, s8, v0
	s_delay_alu instid0(VALU_DEP_2)
	v_add_co_ci_u32_e32 v1, vcc_lo, s9, v1, vcc_lo
	global_store_b32 v[0:1], v22, off
.LBB80_43:
	s_or_b32 exec_lo, exec_lo, s2
	s_load_b64 s[0:1], s[0:1], 0x0
	;;#ASMSTART
	v_rcp_f32 v2, v22
	;;#ASMEND
	v_dual_mul_f32 v0, v19, v2 :: v_dual_mov_b32 v19, 0x43e00000
	v_dual_mul_f32 v1, v20, v2 :: v_dual_mov_b32 v10, 0xc3e00000
	v_mul_f32_e32 v17, v17, v2
	v_mul_f32_e32 v18, v18, v2
	;;#ASMSTART
	v_med3_f32 v0, v0, v10, v19
v_med3_f32 v1, v1, v10, v19
v_cvt_pk_fp8_f32 v20, v0, v1
	;;#ASMEND
	;;#ASMSTART
	v_med3_f32 v17, v17, v10, v19
v_med3_f32 v18, v18, v10, v19
v_cvt_pk_fp8_f32 v0, v17, v18
	;;#ASMEND
	v_perm_b32 v1, v0, v20, 0x5040100
	s_add_i32 s2, s5, 3
	v_mul_f32_e32 v15, v15, v2
	s_ashr_i32 s3, s2, 31
	v_mul_f32_e32 v16, v16, v2
	s_ashr_i32 s4, s6, 31
	s_lshr_b32 s3, s3, 30
	v_mul_f32_e32 v13, v13, v2
	v_mul_f32_e32 v14, v14, v2
	v_perm_b32 v0, v1, v0, 0x1060504
	;;#ASMSTART
	v_med3_f32 v15, v15, v10, v19
v_med3_f32 v16, v16, v10, v19
v_cvt_pk_fp8_f32 v1, v15, v16
	;;#ASMEND
	v_mul_f32_e32 v11, v11, v2
	v_mul_f32_e32 v12, v12, v2
	;;#ASMSTART
	v_med3_f32 v13, v13, v10, v19
v_med3_f32 v14, v14, v10, v19
v_cvt_pk_fp8_f32 v15, v13, v14
	;;#ASMEND
	v_mul_f32_e32 v7, v7, v2
	v_mul_f32_e32 v8, v8, v2
	;; [unrolled: 1-line block ×6, first 2 shown]
	;;#ASMSTART
	v_med3_f32 v11, v11, v10, v19
v_med3_f32 v12, v12, v10, v19
v_cvt_pk_fp8_f32 v2, v11, v12
	;;#ASMEND
	s_mul_hi_u32 s5, s6, s20
	s_add_i32 s2, s2, s3
	s_mul_i32 s4, s4, s20
	;;#ASMSTART
	v_med3_f32 v7, v7, v10, v19
v_med3_f32 v8, v8, v10, v19
v_cvt_pk_fp8_f32 v11, v7, v8
	;;#ASMEND
	s_mul_i32 s3, s6, s20
	;;#ASMSTART
	v_med3_f32 v5, v5, v10, v19
v_med3_f32 v6, v6, v10, v19
v_cvt_pk_fp8_f32 v7, v5, v6
	;;#ASMEND
	s_and_b32 s2, s2, -4
	s_add_i32 s5, s5, s4
	;;#ASMSTART
	v_med3_f32 v3, v3, v10, v19
v_med3_f32 v4, v4, v10, v19
v_cvt_pk_fp8_f32 v5, v3, v4
	;;#ASMEND
	s_waitcnt lgkmcnt(0)
	s_add_u32 s0, s0, s3
	v_perm_b32 v1, v1, v15, 0x1000504
	v_perm_b32 v2, v2, v11, 0x1000504
	;; [unrolled: 1-line block ×3, first 2 shown]
	s_addc_u32 s1, s1, s5
	s_mov_b32 s3, -1
	s_and_b32 s1, s1, 0xffff
	buffer_store_b128 v[0:3], v9, s[0:3], 0 offen
	;;#ASMSTART
	s_nop 0
	;;#ASMEND
.LBB80_44:
	s_nop 0
	s_sendmsg sendmsg(MSG_DEALLOC_VGPRS)
	s_endpgm
.LBB80_45:
                                        ; implicit-def: $vgpr1_vgpr2
	s_branch .LBB80_32
	.section	.rodata,"a",@progbits
	.p2align	6, 0x0
	.amdhsa_kernel _ZN5aiter24add_rmsnorm_quant_kernelItDB8_Li256ELi16ELb0ELb1ELb0ELi1EEEvPT0_PT_PfS5_S5_S5_diiiiiiib
		.amdhsa_group_segment_fixed_size 64
		.amdhsa_private_segment_fixed_size 0
		.amdhsa_kernarg_size 88
		.amdhsa_user_sgpr_count 15
		.amdhsa_user_sgpr_dispatch_ptr 0
		.amdhsa_user_sgpr_queue_ptr 0
		.amdhsa_user_sgpr_kernarg_segment_ptr 1
		.amdhsa_user_sgpr_dispatch_id 0
		.amdhsa_user_sgpr_private_segment_size 0
		.amdhsa_wavefront_size32 1
		.amdhsa_uses_dynamic_stack 0
		.amdhsa_enable_private_segment 0
		.amdhsa_system_sgpr_workgroup_id_x 1
		.amdhsa_system_sgpr_workgroup_id_y 0
		.amdhsa_system_sgpr_workgroup_id_z 0
		.amdhsa_system_sgpr_workgroup_info 0
		.amdhsa_system_vgpr_workitem_id 0
		.amdhsa_next_free_vgpr 41
		.amdhsa_next_free_sgpr 29
		.amdhsa_reserve_vcc 1
		.amdhsa_float_round_mode_32 0
		.amdhsa_float_round_mode_16_64 0
		.amdhsa_float_denorm_mode_32 3
		.amdhsa_float_denorm_mode_16_64 3
		.amdhsa_dx10_clamp 1
		.amdhsa_ieee_mode 1
		.amdhsa_fp16_overflow 0
		.amdhsa_workgroup_processor_mode 1
		.amdhsa_memory_ordered 1
		.amdhsa_forward_progress 0
		.amdhsa_shared_vgpr_count 0
		.amdhsa_exception_fp_ieee_invalid_op 0
		.amdhsa_exception_fp_denorm_src 0
		.amdhsa_exception_fp_ieee_div_zero 0
		.amdhsa_exception_fp_ieee_overflow 0
		.amdhsa_exception_fp_ieee_underflow 0
		.amdhsa_exception_fp_ieee_inexact 0
		.amdhsa_exception_int_div_zero 0
	.end_amdhsa_kernel
	.section	.text._ZN5aiter24add_rmsnorm_quant_kernelItDB8_Li256ELi16ELb0ELb1ELb0ELi1EEEvPT0_PT_PfS5_S5_S5_diiiiiiib,"axG",@progbits,_ZN5aiter24add_rmsnorm_quant_kernelItDB8_Li256ELi16ELb0ELb1ELb0ELi1EEEvPT0_PT_PfS5_S5_S5_diiiiiiib,comdat
.Lfunc_end80:
	.size	_ZN5aiter24add_rmsnorm_quant_kernelItDB8_Li256ELi16ELb0ELb1ELb0ELi1EEEvPT0_PT_PfS5_S5_S5_diiiiiiib, .Lfunc_end80-_ZN5aiter24add_rmsnorm_quant_kernelItDB8_Li256ELi16ELb0ELb1ELb0ELi1EEEvPT0_PT_PfS5_S5_S5_diiiiiiib
                                        ; -- End function
	.section	.AMDGPU.csdata,"",@progbits
; Kernel info:
; codeLenInByte = 4160
; NumSgprs: 31
; NumVgprs: 41
; ScratchSize: 0
; MemoryBound: 0
; FloatMode: 240
; IeeeMode: 1
; LDSByteSize: 64 bytes/workgroup (compile time only)
; SGPRBlocks: 3
; VGPRBlocks: 5
; NumSGPRsForWavesPerEU: 31
; NumVGPRsForWavesPerEU: 41
; Occupancy: 16
; WaveLimiterHint : 0
; COMPUTE_PGM_RSRC2:SCRATCH_EN: 0
; COMPUTE_PGM_RSRC2:USER_SGPR: 15
; COMPUTE_PGM_RSRC2:TRAP_HANDLER: 0
; COMPUTE_PGM_RSRC2:TGID_X_EN: 1
; COMPUTE_PGM_RSRC2:TGID_Y_EN: 0
; COMPUTE_PGM_RSRC2:TGID_Z_EN: 0
; COMPUTE_PGM_RSRC2:TIDIG_COMP_CNT: 0
	.section	.text._ZN5aiter24add_rmsnorm_quant_kernelIDF16_DB8_Li256ELi24ELb0ELb1ELb1ELi1EEEvPT0_PT_PfS5_S5_S5_diiiiiiib,"axG",@progbits,_ZN5aiter24add_rmsnorm_quant_kernelIDF16_DB8_Li256ELi24ELb0ELb1ELb1ELi1EEEvPT0_PT_PfS5_S5_S5_diiiiiiib,comdat
	.protected	_ZN5aiter24add_rmsnorm_quant_kernelIDF16_DB8_Li256ELi24ELb0ELb1ELb1ELi1EEEvPT0_PT_PfS5_S5_S5_diiiiiiib ; -- Begin function _ZN5aiter24add_rmsnorm_quant_kernelIDF16_DB8_Li256ELi24ELb0ELb1ELb1ELi1EEEvPT0_PT_PfS5_S5_S5_diiiiiiib
	.globl	_ZN5aiter24add_rmsnorm_quant_kernelIDF16_DB8_Li256ELi24ELb0ELb1ELb1ELi1EEEvPT0_PT_PfS5_S5_S5_diiiiiiib
	.p2align	8
	.type	_ZN5aiter24add_rmsnorm_quant_kernelIDF16_DB8_Li256ELi24ELb0ELb1ELb1ELi1EEEvPT0_PT_PfS5_S5_S5_diiiiiiib,@function
_ZN5aiter24add_rmsnorm_quant_kernelIDF16_DB8_Li256ELi24ELb0ELb1ELb1ELi1EEEvPT0_PT_PfS5_S5_S5_diiiiiiib: ; @_ZN5aiter24add_rmsnorm_quant_kernelIDF16_DB8_Li256ELi24ELb0ELb1ELb1ELi1EEEvPT0_PT_PfS5_S5_S5_diiiiiiib
; %bb.0:
	s_load_b128 s[4:7], s[0:1], 0x38
	s_mov_b32 s20, s15
	s_mov_b32 s21, 0
	s_waitcnt lgkmcnt(0)
	s_ashr_i32 s3, s4, 31
	s_mov_b32 s2, s4
	s_delay_alu instid0(SALU_CYCLE_1) | instskip(NEXT) | instid1(VALU_DEP_1)
	v_cmp_ge_i64_e64 s2, s[20:21], s[2:3]
	s_and_b32 vcc_lo, exec_lo, s2
	s_cbranch_vccnz .LBB81_44
; %bb.1:
	s_clause 0x1
	s_load_b128 s[8:11], s[0:1], 0x10
	s_load_b128 s[16:19], s[0:1], 0x28
	v_and_b32_e32 v1, 0x3e0, v0
	s_ashr_i32 s2, s6, 31
	s_mul_hi_u32 s3, s6, s20
	s_mul_i32 s7, s2, s20
	v_lshlrev_b32_e32 v2, 3, v0
	v_mul_u32_u24_e32 v1, 24, v1
	s_mul_i32 s2, s6, s20
	s_add_i32 s3, s3, s7
	s_mov_b32 s15, -1
	s_lshl_b64 s[2:3], s[2:3], 1
	v_and_or_b32 v13, 0xf8, v2, v1
	s_mov_b32 s27, s15
	v_and_b32_e32 v40, 31, v0
	s_delay_alu instid0(VALU_DEP_2)
	v_lshlrev_b32_e32 v1, 1, v13
	s_waitcnt lgkmcnt(0)
	s_add_u32 s12, s10, s2
	s_addc_u32 s2, s11, s3
	s_add_i32 s3, s5, 1
	s_and_b32 s13, s2, 0xffff
	s_lshr_b32 s6, s3, 31
	s_movk_i32 s2, 0x200
	s_add_i32 s3, s3, s6
	s_mov_b32 s24, s16
	s_lshl_b32 s3, s3, 1
	s_and_b32 s25, s17, 0xffff
	s_and_b32 s14, s3, -4
	s_movk_i32 s3, 0x400
	s_clause 0x2
	buffer_load_b128 v[17:20], v1, s[12:15], 0 offen glc slc
	buffer_load_b128 v[21:24], v1, s[12:15], s2 offen glc slc
	buffer_load_b128 v[25:28], v1, s[12:15], s3 offen glc slc
	s_mov_b32 s26, s14
	s_clause 0x2
	buffer_load_b128 v[9:12], v1, s[24:27], 0 offen
	buffer_load_b128 v[5:8], v1, s[24:27], s2 offen
	;; [unrolled: 1-line block ×3, first 2 shown]
	v_cmp_eq_u32_e64 s2, 31, v40
	s_waitcnt vmcnt(5)
	v_lshrrev_b32_e32 v14, 16, v17
	v_lshrrev_b32_e32 v29, 16, v18
	v_cvt_f32_f16_e32 v16, v18
	v_lshrrev_b32_e32 v30, 16, v19
	v_lshrrev_b32_e32 v31, 16, v20
	v_cvt_f32_f16_e32 v15, v14
	v_cvt_f32_f16_e32 v38, v29
	s_waitcnt vmcnt(4)
	v_lshrrev_b32_e32 v32, 16, v21
	v_lshrrev_b32_e32 v34, 16, v22
	;; [unrolled: 1-line block ×3, first 2 shown]
	v_mul_f32_e32 v14, v15, v15
	v_lshrrev_b32_e32 v41, 16, v24
	s_waitcnt vmcnt(3)
	v_lshrrev_b32_e32 v42, 16, v25
	v_lshrrev_b32_e32 v43, 16, v26
	;; [unrolled: 1-line block ×3, first 2 shown]
	v_fma_mix_f32 v14, v17, v17, v14 op_sel_hi:[1,1,0]
	v_cvt_f32_f16_e32 v17, v17
	v_cvt_f32_f16_e32 v37, v30
	;; [unrolled: 1-line block ×4, first 2 shown]
	v_fma_mix_f32 v14, v18, v18, v14 op_sel_hi:[1,1,0]
	v_cvt_f32_f16_e32 v34, v34
	v_cvt_f32_f16_e32 v31, v41
	;; [unrolled: 1-line block ×4, first 2 shown]
	v_fma_mix_f32 v14, v18, v18, v14 op_sel:[1,1,0] op_sel_hi:[1,1,0]
	v_cvt_f32_f16_e32 v18, v19
	s_delay_alu instid0(VALU_DEP_2) | instskip(NEXT) | instid1(VALU_DEP_1)
	v_fma_mix_f32 v14, v19, v19, v14 op_sel_hi:[1,1,0]
	v_fma_mix_f32 v14, v19, v19, v14 op_sel:[1,1,0] op_sel_hi:[1,1,0]
	v_cvt_f32_f16_e32 v19, v20
	s_delay_alu instid0(VALU_DEP_2) | instskip(NEXT) | instid1(VALU_DEP_1)
	v_fma_mix_f32 v14, v20, v20, v14 op_sel_hi:[1,1,0]
	;; [unrolled: 4-line block ×10, first 2 shown]
	v_fma_mix_f32 v14, v28, v28, v14 op_sel:[1,1,0] op_sel_hi:[1,1,0]
	v_lshrrev_b32_e32 v28, 16, v28
	s_delay_alu instid0(VALU_DEP_2) | instskip(NEXT) | instid1(VALU_DEP_2)
	v_mov_b32_dpp v33, v14 quad_perm:[1,0,3,2] row_mask:0xf bank_mask:0xf
	v_cvt_f32_f16_e32 v28, v28
	s_delay_alu instid0(VALU_DEP_2) | instskip(NEXT) | instid1(VALU_DEP_1)
	v_add_f32_e32 v14, v14, v33
	v_mov_b32_dpp v33, v14 quad_perm:[2,3,0,1] row_mask:0xf bank_mask:0xf
	s_delay_alu instid0(VALU_DEP_1) | instskip(SKIP_1) | instid1(VALU_DEP_2)
	v_add_f32_e32 v14, v14, v33
	v_cvt_f32_f16_e32 v33, v39
	v_mov_b32_dpp v29, v14 row_xmask:7 row_mask:0xf bank_mask:0xf
	s_delay_alu instid0(VALU_DEP_1) | instskip(SKIP_1) | instid1(VALU_DEP_2)
	v_add_f32_e32 v14, v14, v29
	v_cvt_f32_f16_e32 v29, v44
	v_mov_b32_dpp v39, v14 row_xmask:15 row_mask:0xf bank_mask:0xf
	s_and_saveexec_b32 s3, s2
	s_cbranch_execz .LBB81_3
; %bb.2:
	s_delay_alu instid0(VALU_DEP_1) | instskip(SKIP_2) | instid1(VALU_DEP_2)
	v_add_f32_e32 v14, v14, v39
	s_mov_b32 s6, 0x76543210
	v_lshrrev_b32_e32 v39, 3, v0
	v_permlanex16_b32 v40, v14, s6, 0xfedcba98 op_sel:[1,1]
	s_delay_alu instid0(VALU_DEP_1)
	v_dual_add_f32 v14, v14, v40 :: v_dual_and_b32 v39, 0x7c, v39
	ds_store_b32 v39, v14 offset:32
.LBB81_3:
	s_or_b32 exec_lo, exec_lo, s3
	v_and_b32_e32 v14, 7, v0
	s_waitcnt vmcnt(0) lgkmcnt(0)
	s_barrier
	buffer_gl0_inv
	v_cvt_f32_i32_e32 v41, s5
	v_lshlrev_b32_e32 v14, 2, v14
	v_cvt_f32_f16_e32 v46, v7
	v_lshrrev_b32_e32 v7, 16, v7
	v_cvt_f32_f16_e32 v48, v8
	v_lshrrev_b32_e32 v8, 16, v8
	ds_load_b32 v39, v14 offset:32
	v_cvt_f32_f16_e32 v50, v3
	v_cvt_f32_f16_e32 v7, v7
	v_lshrrev_b32_e32 v3, 16, v3
	v_cvt_f32_f16_e32 v8, v8
	v_cvt_f32_f16_e32 v49, v2
	v_lshrrev_b32_e32 v2, 16, v2
	s_clause 0x1
	s_load_b64 s[6:7], s[0:1], 0x4c
	s_load_b32 s10, s[0:1], 0x54
	v_cvt_f32_f16_e32 v3, v3
	v_cvt_f32_f16_e32 v51, v4
	v_lshrrev_b32_e32 v4, 16, v4
	v_cvt_f32_f16_e32 v2, v2
	v_mov_b32_e32 v52, 0x2edbe6ff
	s_delay_alu instid0(VALU_DEP_3) | instskip(SKIP_2) | instid1(VALU_DEP_1)
	v_cvt_f32_f16_e32 v4, v4
	s_waitcnt lgkmcnt(0)
	v_mov_b32_dpp v40, v39 quad_perm:[1,0,3,2] row_mask:0xf bank_mask:0xf
	v_add_f32_e32 v39, v39, v40
	s_cmp_lg_u32 s7, 0
	s_delay_alu instid0(VALU_DEP_1) | instskip(NEXT) | instid1(VALU_DEP_1)
	v_mov_b32_dpp v40, v39 quad_perm:[2,3,0,1] row_mask:0xf bank_mask:0xf
	v_add_f32_e32 v39, v39, v40
	s_delay_alu instid0(VALU_DEP_1) | instskip(NEXT) | instid1(VALU_DEP_1)
	v_mov_b32_dpp v40, v39 row_xmask:7 row_mask:0xf bank_mask:0xf
	v_add_f32_e32 v39, v39, v40
	s_delay_alu instid0(VALU_DEP_1) | instskip(SKIP_1) | instid1(VALU_DEP_2)
	v_div_scale_f32 v40, null, v41, v41, v39
	v_div_scale_f32 v44, vcc_lo, v39, v41, v39
	v_rcp_f32_e32 v42, v40
	s_waitcnt_depctr 0xfff
	v_fma_f32 v43, -v40, v42, 1.0
	s_delay_alu instid0(VALU_DEP_1) | instskip(NEXT) | instid1(VALU_DEP_1)
	v_fmac_f32_e32 v42, v43, v42
	v_mul_f32_e32 v43, v44, v42
	s_delay_alu instid0(VALU_DEP_1) | instskip(NEXT) | instid1(VALU_DEP_1)
	v_fma_f32 v45, -v40, v43, v44
	v_fmac_f32_e32 v43, v45, v42
	v_cvt_f32_f16_e32 v45, v6
	v_lshrrev_b32_e32 v6, 16, v6
	s_delay_alu instid0(VALU_DEP_3) | instskip(SKIP_2) | instid1(VALU_DEP_4)
	v_fma_f32 v40, -v40, v43, v44
	v_cvt_f32_f16_e32 v44, v5
	v_lshrrev_b32_e32 v5, 16, v5
	v_cvt_f32_f16_e32 v6, v6
	s_delay_alu instid0(VALU_DEP_4) | instskip(SKIP_1) | instid1(VALU_DEP_4)
	v_div_fmas_f32 v40, v40, v42, v43
	v_cvt_f32_f16_e32 v42, v11
	v_cvt_f32_f16_e32 v5, v5
	v_lshrrev_b32_e32 v11, 16, v11
	v_cvt_f32_f16_e32 v43, v12
	v_div_fixup_f32 v39, v40, v41, v39
	v_cvt_f32_f16_e32 v41, v10
	v_lshrrev_b32_e32 v10, 16, v10
	v_cvt_f32_f16_e32 v11, v11
	v_lshrrev_b32_e32 v12, 16, v12
	v_cvt_f64_f32_e32 v[39:40], v39
	s_delay_alu instid0(VALU_DEP_4) | instskip(NEXT) | instid1(VALU_DEP_3)
	v_cvt_f32_f16_e32 v10, v10
	v_cvt_f32_f16_e32 v12, v12
	s_delay_alu instid0(VALU_DEP_3) | instskip(NEXT) | instid1(VALU_DEP_1)
	v_add_f64 v[39:40], v[39:40], s[18:19]
	v_cvt_f32_f64_e32 v39, v[39:40]
	v_cvt_f32_f16_e32 v40, v9
	v_lshrrev_b32_e32 v9, 16, v9
	s_delay_alu instid0(VALU_DEP_1) | instskip(NEXT) | instid1(VALU_DEP_4)
	v_cvt_f32_f16_e32 v9, v9
	v_mul_f32_e32 v47, 0x4b800000, v39
	v_cmp_gt_f32_e32 vcc_lo, 0x800000, v39
	s_delay_alu instid0(VALU_DEP_2) | instskip(SKIP_2) | instid1(VALU_DEP_3)
	v_cndmask_b32_e32 v39, v39, v47, vcc_lo
	v_cvt_f32_f16_e32 v47, v1
	v_lshrrev_b32_e32 v1, 16, v1
	v_rsq_f32_e32 v39, v39
	s_delay_alu instid0(VALU_DEP_1) | instskip(SKIP_2) | instid1(VALU_DEP_1)
	v_cvt_f32_f16_e32 v1, v1
	s_waitcnt_depctr 0xfff
	v_mul_f32_e32 v53, 0x45800000, v39
	v_cndmask_b32_e32 v39, v39, v53, vcc_lo
	s_delay_alu instid0(VALU_DEP_1) | instskip(SKIP_1) | instid1(VALU_DEP_2)
	v_mul_f32_e32 v37, v39, v37
	v_mul_f32_e32 v56, v39, v24
	;; [unrolled: 1-line block ×8, first 2 shown]
	v_dual_mul_f32 v25, v16, v41 :: v_dual_mul_f32 v34, v39, v34
	v_mul_f32_e32 v17, v39, v17
	v_mul_f32_e32 v18, v39, v18
	;; [unrolled: 1-line block ×5, first 2 shown]
	s_delay_alu instid0(VALU_DEP_4)
	v_mul_f32_e32 v23, v18, v42
	v_dual_mul_f32 v18, v34, v6 :: v_dual_mul_f32 v29, v39, v29
	v_mul_f32_e32 v58, v39, v26
	v_dual_mul_f32 v19, v39, v19 :: v_dual_mul_f32 v26, v38, v10
	v_mul_f32_e32 v10, v56, v47
	v_mul_f32_e32 v54, v39, v22
	;; [unrolled: 1-line block ×3, first 2 shown]
	v_dual_mul_f32 v31, v39, v31 :: v_dual_mul_f32 v6, v58, v50
	v_dual_mul_f32 v33, v39, v33 :: v_dual_and_b32 v38, 0x7fffffff, v18
	s_delay_alu instid0(VALU_DEP_3) | instskip(NEXT) | instid1(VALU_DEP_3)
	v_and_b32_e32 v34, 0x7fffffff, v22
	v_dual_mul_f32 v12, v31, v8 :: v_dual_and_b32 v31, 0x7fffffff, v23
	v_mul_f32_e32 v21, v19, v43
	v_mul_f32_e32 v19, v20, v44
	;; [unrolled: 1-line block ×3, first 2 shown]
	s_delay_alu instid0(VALU_DEP_4) | instskip(SKIP_1) | instid1(VALU_DEP_4)
	v_dual_mul_f32 v5, v29, v3 :: v_dual_and_b32 v42, 0x7fffffff, v12
	v_and_b32_e32 v29, 0x7fffffff, v25
	v_and_b32_e32 v35, 0x7fffffff, v19
	s_delay_alu instid0(VALU_DEP_4)
	v_and_b32_e32 v36, 0x7fffffff, v20
	v_mul_f32_e32 v32, v39, v32
	v_mul_f32_e32 v30, v39, v30
	;; [unrolled: 1-line block ×3, first 2 shown]
	v_and_b32_e32 v43, 0x7fffffff, v10
	v_and_b32_e32 v47, 0x7fffffff, v6
	s_delay_alu instid0(VALU_DEP_4)
	v_mul_f32_e32 v8, v30, v2
	v_and_b32_e32 v30, 0x7fffffff, v26
	v_mul_f32_e32 v16, v33, v7
	v_mul_f32_e32 v59, v39, v27
	;; [unrolled: 1-line block ×7, first 2 shown]
	v_and_b32_e32 v1, 0x7fffffff, v27
	s_delay_alu instid0(VALU_DEP_4)
	v_dual_mul_f32 v17, v53, v45 :: v_dual_and_b32 v2, 0x7fffffff, v28
	;;#ASMSTART
	v_max3_f32 v1, v52, v1, v2

	;;#ASMEND
	v_mul_f32_e32 v15, v54, v46
	;;#ASMSTART
	v_max3_f32 v1, v1, v29, v30

	;;#ASMEND
	v_and_b32_e32 v32, 0x7fffffff, v24
	v_dual_mul_f32 v11, v55, v48 :: v_dual_and_b32 v48, 0x7fffffff, v5
	;;#ASMSTART
	v_max3_f32 v1, v1, v31, v32

	;;#ASMEND
	v_and_b32_e32 v33, 0x7fffffff, v21
	v_and_b32_e32 v44, 0x7fffffff, v9
	v_mul_f32_e32 v4, v39, v4
	;;#ASMSTART
	v_max3_f32 v1, v1, v33, v34

	;;#ASMEND
	;;#ASMSTART
	v_max3_f32 v1, v1, v35, v36

	;;#ASMEND
	v_and_b32_e32 v37, 0x7fffffff, v17
	v_dual_mul_f32 v3, v59, v51 :: v_dual_and_b32 v40, 0x7fffffff, v16
	v_and_b32_e32 v46, 0x7fffffff, v8
	;;#ASMSTART
	v_max3_f32 v1, v1, v37, v38

	;;#ASMEND
	v_and_b32_e32 v39, 0x7fffffff, v15
	;;#ASMSTART
	v_max3_f32 v1, v1, v39, v40

	;;#ASMEND
	;; [unrolled: 5-line block ×3, first 2 shown]
	;;#ASMSTART
	v_max3_f32 v1, v1, v43, v44

	;;#ASMEND
	v_and_b32_e32 v45, 0x7fffffff, v7
	;;#ASMSTART
	v_max3_f32 v1, v1, v45, v46

	;;#ASMEND
	v_and_b32_e32 v49, 0x7fffffff, v3
	v_and_b32_e32 v50, 0x7fffffff, v4
	;;#ASMSTART
	v_max3_f32 v1, v1, v47, v48

	;;#ASMEND
	;;#ASMSTART
	v_max3_f32 v29, v1, v49, v50

	;;#ASMEND
	s_cbranch_scc0 .LBB81_10
; %bb.4:
	s_mul_hi_i32 s3, s7, 0x2aaaaaab
	s_delay_alu instid0(SALU_CYCLE_1) | instskip(SKIP_1) | instid1(SALU_CYCLE_1)
	s_lshr_b32 s11, s3, 31
	s_ashr_i32 s3, s3, 2
	s_add_i32 s3, s3, s11
	s_delay_alu instid0(SALU_CYCLE_1)
	s_cmp_lt_i32 s3, 8
	s_cbranch_scc1 .LBB81_11
; %bb.5:
	s_cmp_lt_i32 s3, 16
	s_cbranch_scc1 .LBB81_12
; %bb.6:
	;; [unrolled: 3-line block ×3, first 2 shown]
	v_mov_b32_e32 v1, v29
	s_cmp_eq_u32 s3, 32
	s_cbranch_scc0 .LBB81_9
; %bb.8:
	s_delay_alu instid0(VALU_DEP_1) | instskip(SKIP_1) | instid1(VALU_DEP_1)
	v_mov_b32_dpp v1, v29 quad_perm:[1,0,3,2] row_mask:0xf bank_mask:0xf
	s_mov_b32 s11, 0x76543210
	v_cmp_gt_f32_e32 vcc_lo, v29, v1
	v_cndmask_b32_e32 v1, v1, v29, vcc_lo
	s_delay_alu instid0(VALU_DEP_1) | instskip(NEXT) | instid1(VALU_DEP_1)
	v_mov_b32_dpp v2, v1 quad_perm:[2,3,0,1] row_mask:0xf bank_mask:0xf
	v_cmp_gt_f32_e32 vcc_lo, v1, v2
	v_cndmask_b32_e32 v1, v2, v1, vcc_lo
	s_delay_alu instid0(VALU_DEP_1) | instskip(NEXT) | instid1(VALU_DEP_1)
	v_mov_b32_dpp v2, v1 row_xmask:7 row_mask:0xf bank_mask:0xf
	v_cmp_gt_f32_e32 vcc_lo, v1, v2
	v_cndmask_b32_e32 v1, v2, v1, vcc_lo
	s_delay_alu instid0(VALU_DEP_1) | instskip(NEXT) | instid1(VALU_DEP_1)
	v_mov_b32_dpp v2, v1 row_xmask:15 row_mask:0xf bank_mask:0xf
	v_cmp_gt_f32_e32 vcc_lo, v1, v2
	v_cndmask_b32_e32 v1, v2, v1, vcc_lo
	s_delay_alu instid0(VALU_DEP_1) | instskip(NEXT) | instid1(VALU_DEP_1)
	v_permlanex16_b32 v2, v1, s11, 0xfedcba98 op_sel:[1,1]
	v_cmp_gt_f32_e32 vcc_lo, v1, v2
	v_cndmask_b32_e32 v1, v2, v1, vcc_lo
.LBB81_9:
	s_mov_b32 s11, 0
	s_branch .LBB81_14
.LBB81_10:
	s_mov_b32 s3, 0
                                        ; implicit-def: $vgpr30
                                        ; implicit-def: $vgpr1_vgpr2
	s_and_b32 vcc_lo, exec_lo, s15
	s_cbranch_vccnz .LBB81_38
	s_branch .LBB81_41
.LBB81_11:
                                        ; implicit-def: $vgpr1
	s_branch .LBB81_21
.LBB81_12:
                                        ; implicit-def: $vgpr1
	s_branch .LBB81_18
.LBB81_13:
	s_mov_b32 s11, -1
                                        ; implicit-def: $vgpr1
.LBB81_14:
	s_delay_alu instid0(SALU_CYCLE_1)
	s_and_not1_b32 vcc_lo, exec_lo, s11
	s_cbranch_vccnz .LBB81_17
; %bb.15:
	v_mov_b32_e32 v1, v29
	s_cmp_eq_u32 s3, 16
	s_cbranch_scc0 .LBB81_17
; %bb.16:
	s_delay_alu instid0(VALU_DEP_1) | instskip(NEXT) | instid1(VALU_DEP_1)
	v_mov_b32_dpp v1, v29 quad_perm:[1,0,3,2] row_mask:0xf bank_mask:0xf
	v_cmp_gt_f32_e32 vcc_lo, v29, v1
	v_cndmask_b32_e32 v1, v1, v29, vcc_lo
	s_delay_alu instid0(VALU_DEP_1) | instskip(NEXT) | instid1(VALU_DEP_1)
	v_mov_b32_dpp v2, v1 quad_perm:[2,3,0,1] row_mask:0xf bank_mask:0xf
	v_cmp_gt_f32_e32 vcc_lo, v1, v2
	v_cndmask_b32_e32 v1, v2, v1, vcc_lo
	s_delay_alu instid0(VALU_DEP_1) | instskip(NEXT) | instid1(VALU_DEP_1)
	v_mov_b32_dpp v2, v1 row_half_mirror row_mask:0xf bank_mask:0xf
	v_cmp_gt_f32_e32 vcc_lo, v1, v2
	v_cndmask_b32_e32 v1, v2, v1, vcc_lo
	s_delay_alu instid0(VALU_DEP_1) | instskip(NEXT) | instid1(VALU_DEP_1)
	v_mov_b32_dpp v2, v1 row_mirror row_mask:0xf bank_mask:0xf
	v_cmp_gt_f32_e32 vcc_lo, v1, v2
	v_cndmask_b32_e32 v1, v2, v1, vcc_lo
.LBB81_17:
	s_cbranch_execnz .LBB81_20
.LBB81_18:
	v_mov_b32_e32 v1, v29
	s_cmp_eq_u32 s3, 8
	s_cbranch_scc0 .LBB81_20
; %bb.19:
	s_delay_alu instid0(VALU_DEP_1) | instskip(NEXT) | instid1(VALU_DEP_1)
	v_mov_b32_dpp v1, v29 quad_perm:[1,0,3,2] row_mask:0xf bank_mask:0xf
	v_cmp_gt_f32_e32 vcc_lo, v29, v1
	v_cndmask_b32_e32 v1, v1, v29, vcc_lo
	s_delay_alu instid0(VALU_DEP_1) | instskip(NEXT) | instid1(VALU_DEP_1)
	v_mov_b32_dpp v2, v1 quad_perm:[2,3,0,1] row_mask:0xf bank_mask:0xf
	v_cmp_gt_f32_e32 vcc_lo, v1, v2
	v_cndmask_b32_e32 v1, v2, v1, vcc_lo
	s_delay_alu instid0(VALU_DEP_1) | instskip(NEXT) | instid1(VALU_DEP_1)
	v_mov_b32_dpp v2, v1 row_half_mirror row_mask:0xf bank_mask:0xf
	v_cmp_gt_f32_e32 vcc_lo, v1, v2
	v_cndmask_b32_e32 v1, v2, v1, vcc_lo
.LBB81_20:
	s_cbranch_execnz .LBB81_28
.LBB81_21:
	s_cmp_lt_i32 s3, 4
	s_cbranch_scc1 .LBB81_24
; %bb.22:
	v_mov_b32_e32 v1, v29
	s_cmp_eq_u32 s3, 4
	s_cbranch_scc0 .LBB81_25
; %bb.23:
	s_delay_alu instid0(VALU_DEP_1) | instskip(NEXT) | instid1(VALU_DEP_1)
	v_mov_b32_dpp v1, v29 quad_perm:[1,0,3,2] row_mask:0xf bank_mask:0xf
	v_cmp_gt_f32_e32 vcc_lo, v29, v1
	v_cndmask_b32_e32 v1, v1, v29, vcc_lo
	s_delay_alu instid0(VALU_DEP_1) | instskip(NEXT) | instid1(VALU_DEP_1)
	v_mov_b32_dpp v2, v1 quad_perm:[2,3,0,1] row_mask:0xf bank_mask:0xf
	v_cmp_gt_f32_e32 vcc_lo, v1, v2
	v_cndmask_b32_e32 v1, v2, v1, vcc_lo
	s_cbranch_execz .LBB81_26
	s_branch .LBB81_28
.LBB81_24:
                                        ; implicit-def: $vgpr1
	s_branch .LBB81_26
.LBB81_25:
	s_cbranch_execnz .LBB81_28
.LBB81_26:
	v_mov_b32_e32 v1, v29
	s_cmp_lg_u32 s3, 2
	s_cbranch_scc1 .LBB81_28
; %bb.27:
	s_delay_alu instid0(VALU_DEP_1) | instskip(NEXT) | instid1(VALU_DEP_1)
	v_mov_b32_dpp v1, v29 quad_perm:[1,0,3,2] row_mask:0xf bank_mask:0xf
	v_cmp_gt_f32_e32 vcc_lo, v29, v1
	v_cndmask_b32_e32 v1, v1, v29, vcc_lo
.LBB81_28:
	v_cvt_f32_u32_e32 v2, s3
	s_sub_i32 s11, 0, s3
	s_mov_b32 s15, 0
	s_delay_alu instid0(VALU_DEP_1) | instskip(SKIP_2) | instid1(VALU_DEP_1)
	v_rcp_iflag_f32_e32 v2, v2
	s_waitcnt_depctr 0xfff
	v_mul_f32_e32 v2, 0x4f7ffffe, v2
	v_cvt_u32_f32_e32 v2, v2
	s_delay_alu instid0(VALU_DEP_1) | instskip(NEXT) | instid1(VALU_DEP_1)
	v_mul_lo_u32 v30, s11, v2
	v_mul_hi_u32 v30, v2, v30
	s_delay_alu instid0(VALU_DEP_1) | instskip(NEXT) | instid1(VALU_DEP_1)
	v_add_nc_u32_e32 v2, v2, v30
	v_mul_hi_u32 v2, v0, v2
	s_delay_alu instid0(VALU_DEP_1) | instskip(NEXT) | instid1(VALU_DEP_1)
	v_mul_lo_u32 v30, v2, s3
	v_sub_nc_u32_e32 v30, v0, v30
	s_delay_alu instid0(VALU_DEP_1) | instskip(SKIP_1) | instid1(VALU_DEP_2)
	v_subrev_nc_u32_e32 v32, s3, v30
	v_cmp_le_u32_e32 vcc_lo, s3, v30
	v_dual_cndmask_b32 v30, v30, v32 :: v_dual_add_nc_u32 v31, 1, v2
	s_delay_alu instid0(VALU_DEP_1) | instskip(NEXT) | instid1(VALU_DEP_2)
	v_cndmask_b32_e32 v2, v2, v31, vcc_lo
	v_cmp_le_u32_e32 vcc_lo, s3, v30
	s_delay_alu instid0(VALU_DEP_2) | instskip(SKIP_1) | instid1(VALU_DEP_2)
	v_add_nc_u32_e32 v31, 1, v2
	v_mul_u32_u24_e32 v30, 24, v0
	v_cndmask_b32_e32 v31, v2, v31, vcc_lo
	s_delay_alu instid0(VALU_DEP_2) | instskip(SKIP_1) | instid1(VALU_DEP_3)
	v_cmp_gt_u32_e32 vcc_lo, s5, v30
	v_mul_f32_e32 v30, 0x3b124925, v1
	v_mul_lo_u32 v2, v31, s3
	s_delay_alu instid0(VALU_DEP_1) | instskip(NEXT) | instid1(VALU_DEP_1)
	v_sub_nc_u32_e32 v2, v0, v2
	v_cmp_eq_u32_e64 s3, 0, v2
                                        ; implicit-def: $vgpr1_vgpr2
	s_delay_alu instid0(VALU_DEP_1) | instskip(SKIP_2) | instid1(SALU_CYCLE_1)
	s_and_b32 s11, s3, vcc_lo
	s_mov_b32 s3, 0
	s_and_saveexec_b32 s12, s11
	s_xor_b32 s14, exec_lo, s12
	s_cbranch_execz .LBB81_37
; %bb.29:
	s_bitcmp0_b32 s10, 0
	s_mov_b32 s16, 0
	s_cbranch_scc0 .LBB81_34
; %bb.30:
	s_ashr_i32 s3, s5, 31
	s_mul_hi_u32 s10, s5, s20
	s_mul_i32 s3, s3, s20
	s_mul_i32 s12, s5, s20
	s_add_i32 s13, s10, s3
	s_ashr_i32 s11, s7, 31
	s_mov_b32 s10, s7
	s_delay_alu instid0(SALU_CYCLE_1) | instskip(NEXT) | instid1(SALU_CYCLE_1)
	s_or_b64 s[18:19], s[12:13], s[10:11]
	s_mov_b32 s17, s19
	s_delay_alu instid0(SALU_CYCLE_1)
	s_cmp_lg_u64 s[16:17], 0
	s_cbranch_scc0 .LBB81_45
; %bb.31:
	s_add_u32 s18, s10, s11
	s_mov_b32 s16, s11
	s_mov_b32 s17, s11
	s_addc_u32 s19, s11, s11
	s_delay_alu instid0(SALU_CYCLE_1) | instskip(NEXT) | instid1(SALU_CYCLE_1)
	s_xor_b64 s[18:19], s[18:19], s[16:17]
	v_cvt_f32_u32_e32 v1, s18
	v_cvt_f32_u32_e32 v2, s19
	s_sub_u32 s11, 0, s18
	s_subb_u32 s22, 0, s19
	s_delay_alu instid0(VALU_DEP_1) | instskip(NEXT) | instid1(VALU_DEP_1)
	v_fmamk_f32 v1, v2, 0x4f800000, v1
	v_rcp_f32_e32 v1, v1
	s_waitcnt_depctr 0xfff
	v_mul_f32_e32 v1, 0x5f7ffffc, v1
	s_delay_alu instid0(VALU_DEP_1) | instskip(NEXT) | instid1(VALU_DEP_1)
	v_mul_f32_e32 v2, 0x2f800000, v1
	v_trunc_f32_e32 v2, v2
	s_delay_alu instid0(VALU_DEP_1) | instskip(SKIP_1) | instid1(VALU_DEP_2)
	v_fmamk_f32 v1, v2, 0xcf800000, v1
	v_cvt_u32_f32_e32 v2, v2
	v_cvt_u32_f32_e32 v1, v1
	s_delay_alu instid0(VALU_DEP_2) | instskip(NEXT) | instid1(VALU_DEP_2)
	v_readfirstlane_b32 s3, v2
	v_readfirstlane_b32 s7, v1
	s_delay_alu instid0(VALU_DEP_2) | instskip(NEXT) | instid1(VALU_DEP_1)
	s_mul_i32 s23, s11, s3
	s_mul_hi_u32 s25, s11, s7
	s_mul_i32 s24, s22, s7
	s_add_i32 s23, s25, s23
	s_mul_i32 s26, s11, s7
	s_add_i32 s23, s23, s24
	s_mul_hi_u32 s25, s7, s26
	s_mul_hi_u32 s27, s3, s26
	s_mul_i32 s24, s3, s26
	s_mul_hi_u32 s26, s7, s23
	s_mul_i32 s7, s7, s23
	s_mul_hi_u32 s28, s3, s23
	s_add_u32 s7, s25, s7
	s_addc_u32 s25, 0, s26
	s_add_u32 s7, s7, s24
	s_mul_i32 s23, s3, s23
	s_addc_u32 s7, s25, s27
	s_addc_u32 s24, s28, 0
	s_add_u32 s7, s7, s23
	s_addc_u32 s23, 0, s24
	v_add_co_u32 v1, s7, v1, s7
	s_delay_alu instid0(VALU_DEP_1) | instskip(SKIP_1) | instid1(VALU_DEP_1)
	s_cmp_lg_u32 s7, 0
	s_addc_u32 s3, s3, s23
	v_readfirstlane_b32 s7, v1
	s_mul_i32 s23, s11, s3
	s_delay_alu instid0(VALU_DEP_1)
	s_mul_hi_u32 s24, s11, s7
	s_mul_i32 s22, s22, s7
	s_add_i32 s23, s24, s23
	s_mul_i32 s11, s11, s7
	s_add_i32 s23, s23, s22
	s_mul_hi_u32 s24, s3, s11
	s_mul_i32 s25, s3, s11
	s_mul_hi_u32 s11, s7, s11
	s_mul_hi_u32 s26, s7, s23
	s_mul_i32 s7, s7, s23
	s_mul_hi_u32 s22, s3, s23
	s_add_u32 s7, s11, s7
	s_addc_u32 s11, 0, s26
	s_add_u32 s7, s7, s25
	s_mul_i32 s23, s3, s23
	s_addc_u32 s7, s11, s24
	s_addc_u32 s11, s22, 0
	s_add_u32 s7, s7, s23
	s_addc_u32 s11, 0, s11
	v_add_co_u32 v1, s7, v1, s7
	s_delay_alu instid0(VALU_DEP_1) | instskip(SKIP_2) | instid1(VALU_DEP_1)
	s_cmp_lg_u32 s7, 0
	s_addc_u32 s3, s3, s11
	s_ashr_i32 s22, s13, 31
	v_readfirstlane_b32 s7, v1
	s_add_u32 s24, s12, s22
	s_mov_b32 s23, s22
	s_addc_u32 s25, s13, s22
	s_delay_alu instid0(SALU_CYCLE_1) | instskip(NEXT) | instid1(SALU_CYCLE_1)
	s_xor_b64 s[24:25], s[24:25], s[22:23]
	s_mul_i32 s13, s24, s3
	s_mul_hi_u32 s26, s24, s7
	s_mul_hi_u32 s11, s24, s3
	;; [unrolled: 1-line block ×3, first 2 shown]
	s_mul_i32 s7, s25, s7
	s_add_u32 s13, s26, s13
	s_addc_u32 s11, 0, s11
	s_mul_hi_u32 s27, s25, s3
	s_add_u32 s7, s13, s7
	s_mul_i32 s3, s25, s3
	s_addc_u32 s7, s11, s28
	s_addc_u32 s11, s27, 0
	s_add_u32 s7, s7, s3
	s_addc_u32 s11, 0, s11
	s_mul_i32 s27, s18, s7
	s_mul_hi_u32 s3, s18, s7
	s_mul_i32 s26, s18, s11
	v_sub_co_u32 v1, s24, s24, s27
	s_mul_i32 s13, s19, s7
	s_add_i32 s3, s3, s26
	s_delay_alu instid0(SALU_CYCLE_1) | instskip(NEXT) | instid1(VALU_DEP_1)
	s_add_i32 s3, s3, s13
	v_sub_co_u32 v2, s26, v1, s18
	s_sub_i32 s13, s25, s3
	s_cmp_lg_u32 s24, 0
	s_subb_u32 s13, s13, s19
	s_cmp_lg_u32 s26, 0
	v_cmp_le_u32_e32 vcc_lo, s18, v2
	s_subb_u32 s13, s13, 0
	s_delay_alu instid0(SALU_CYCLE_1)
	s_cmp_ge_u32 s13, s19
	v_cndmask_b32_e64 v2, 0, -1, vcc_lo
	s_cselect_b32 s26, -1, 0
	s_cmp_eq_u32 s13, s19
	s_cselect_b32 vcc_lo, -1, 0
	s_add_u32 s13, s7, 1
	v_cndmask_b32_e32 v2, s26, v2, vcc_lo
	s_addc_u32 s26, s11, 0
	s_add_u32 s27, s7, 2
	s_addc_u32 s28, s11, 0
	s_cmp_lg_u32 s24, 0
	v_cmp_le_u32_e32 vcc_lo, s18, v1
	s_subb_u32 s3, s25, s3
	v_mov_b32_e32 v32, s27
	s_cmp_ge_u32 s3, s19
	v_cndmask_b32_e64 v1, 0, -1, vcc_lo
	s_cselect_b32 s18, -1, 0
	s_cmp_eq_u32 s3, s19
	v_cmp_ne_u32_e32 vcc_lo, 0, v2
	v_mov_b32_e32 v2, s28
	s_cselect_b32 s3, -1, 0
	s_xor_b64 s[16:17], s[22:23], s[16:17]
	v_cndmask_b32_e64 v1, s18, v1, s3
	v_cndmask_b32_e32 v32, s13, v32, vcc_lo
	v_cndmask_b32_e32 v2, s26, v2, vcc_lo
	s_delay_alu instid0(VALU_DEP_3) | instskip(NEXT) | instid1(VALU_DEP_2)
	v_cmp_ne_u32_e32 vcc_lo, 0, v1
	v_cndmask_b32_e32 v1, s11, v2, vcc_lo
	s_delay_alu instid0(VALU_DEP_4) | instskip(NEXT) | instid1(VALU_DEP_2)
	v_cndmask_b32_e32 v2, s7, v32, vcc_lo
	v_xor_b32_e32 v32, s17, v1
	s_delay_alu instid0(VALU_DEP_2) | instskip(NEXT) | instid1(VALU_DEP_1)
	v_xor_b32_e32 v2, s16, v2
	v_sub_co_u32 v1, vcc_lo, v2, s16
	s_delay_alu instid0(VALU_DEP_3)
	v_subrev_co_ci_u32_e32 v2, vcc_lo, s17, v32, vcc_lo
	s_cbranch_execnz .LBB81_33
.LBB81_32:
	v_cvt_f32_u32_e32 v1, s10
	s_sub_i32 s7, 0, s10
	s_delay_alu instid0(VALU_DEP_1) | instskip(SKIP_2) | instid1(VALU_DEP_1)
	v_rcp_iflag_f32_e32 v1, v1
	s_waitcnt_depctr 0xfff
	v_mul_f32_e32 v1, 0x4f7ffffe, v1
	v_cvt_u32_f32_e32 v1, v1
	s_delay_alu instid0(VALU_DEP_1) | instskip(NEXT) | instid1(VALU_DEP_1)
	v_readfirstlane_b32 s3, v1
	s_mul_i32 s7, s7, s3
	s_delay_alu instid0(SALU_CYCLE_1) | instskip(NEXT) | instid1(SALU_CYCLE_1)
	s_mul_hi_u32 s7, s3, s7
	s_add_i32 s3, s3, s7
	s_delay_alu instid0(SALU_CYCLE_1) | instskip(NEXT) | instid1(SALU_CYCLE_1)
	s_mul_hi_u32 s3, s12, s3
	s_mul_i32 s7, s3, s10
	s_add_i32 s11, s3, 1
	s_sub_i32 s7, s12, s7
	s_delay_alu instid0(SALU_CYCLE_1)
	s_sub_i32 s12, s7, s10
	s_cmp_ge_u32 s7, s10
	s_cselect_b32 s3, s11, s3
	s_cselect_b32 s7, s12, s7
	s_add_i32 s12, s3, 1
	s_cmp_ge_u32 s7, s10
	s_mov_b32 s11, 0
	s_cselect_b32 s10, s12, s3
	s_delay_alu instid0(SALU_CYCLE_1)
	v_dual_mov_b32 v1, s10 :: v_dual_mov_b32 v2, s11
.LBB81_33:
	s_delay_alu instid0(VALU_DEP_1) | instskip(NEXT) | instid1(VALU_DEP_2)
	v_add_co_u32 v1, vcc_lo, v1, v31
	v_add_co_ci_u32_e32 v2, vcc_lo, 0, v2, vcc_lo
	s_branch .LBB81_36
.LBB81_34:
                                        ; implicit-def: $vgpr1_vgpr2
	s_cbranch_execz .LBB81_36
; %bb.35:
	v_mul_lo_u32 v1, v31, s4
	s_delay_alu instid0(VALU_DEP_1) | instskip(SKIP_1) | instid1(VALU_DEP_2)
	v_ashrrev_i32_e32 v2, 31, v1
	v_add_co_u32 v1, vcc_lo, v1, s20
	v_add_co_ci_u32_e32 v2, vcc_lo, 0, v2, vcc_lo
.LBB81_36:
	s_mov_b32 s3, exec_lo
.LBB81_37:
	s_or_b32 exec_lo, exec_lo, s14
	s_delay_alu instid0(SALU_CYCLE_1)
	s_and_b32 vcc_lo, exec_lo, s15
	s_cbranch_vccz .LBB81_41
.LBB81_38:
	v_mov_b32_dpp v1, v29 quad_perm:[1,0,3,2] row_mask:0xf bank_mask:0xf
	s_delay_alu instid0(VALU_DEP_1) | instskip(SKIP_1) | instid1(VALU_DEP_1)
	v_cmp_gt_f32_e32 vcc_lo, v29, v1
	v_cndmask_b32_e32 v1, v1, v29, vcc_lo
	v_mov_b32_dpp v2, v1 quad_perm:[2,3,0,1] row_mask:0xf bank_mask:0xf
	s_delay_alu instid0(VALU_DEP_1) | instskip(SKIP_1) | instid1(VALU_DEP_1)
	v_cmp_gt_f32_e32 vcc_lo, v1, v2
	v_cndmask_b32_e32 v1, v2, v1, vcc_lo
	v_mov_b32_dpp v2, v1 row_xmask:7 row_mask:0xf bank_mask:0xf
	s_delay_alu instid0(VALU_DEP_1) | instskip(SKIP_1) | instid1(VALU_DEP_1)
	v_cmp_gt_f32_e32 vcc_lo, v1, v2
	v_cndmask_b32_e32 v1, v2, v1, vcc_lo
	v_mov_b32_dpp v2, v1 row_xmask:15 row_mask:0xf bank_mask:0xf
	s_delay_alu instid0(VALU_DEP_1)
	v_cmp_gt_f32_e32 vcc_lo, v1, v2
	s_and_saveexec_b32 s3, s2
	s_cbranch_execz .LBB81_40
; %bb.39:
	v_cndmask_b32_e32 v1, v2, v1, vcc_lo
	v_lshrrev_b32_e32 v2, 3, v0
	s_mov_b32 s2, 0x76543210
	s_delay_alu instid0(VALU_DEP_1) | instskip(NEXT) | instid1(VALU_DEP_3)
	v_and_b32_e32 v2, 0x7c, v2
	v_permlanex16_b32 v29, v1, s2, 0xfedcba98 op_sel:[1,1]
	s_delay_alu instid0(VALU_DEP_1)
	v_cmp_gt_f32_e32 vcc_lo, v1, v29
	v_cndmask_b32_e32 v1, v29, v1, vcc_lo
	ds_store_b32 v2, v1
.LBB81_40:
	s_or_b32 exec_lo, exec_lo, s3
	s_waitcnt lgkmcnt(0)
	s_barrier
	buffer_gl0_inv
	ds_load_b32 v1, v14
	v_cmp_eq_u32_e64 s3, 0, v0
	s_waitcnt lgkmcnt(0)
	v_mov_b32_dpp v2, v1 quad_perm:[1,0,3,2] row_mask:0xf bank_mask:0xf
	s_delay_alu instid0(VALU_DEP_1) | instskip(SKIP_1) | instid1(VALU_DEP_1)
	v_cmp_gt_f32_e32 vcc_lo, v1, v2
	v_cndmask_b32_e32 v1, v2, v1, vcc_lo
	v_mov_b32_dpp v2, v1 quad_perm:[2,3,0,1] row_mask:0xf bank_mask:0xf
	s_delay_alu instid0(VALU_DEP_1) | instskip(SKIP_1) | instid1(VALU_DEP_1)
	v_cmp_gt_f32_e32 vcc_lo, v1, v2
	v_cndmask_b32_e32 v1, v2, v1, vcc_lo
	v_mov_b32_dpp v2, v1 row_xmask:7 row_mask:0xf bank_mask:0xf
	s_delay_alu instid0(VALU_DEP_1) | instskip(SKIP_1) | instid1(VALU_DEP_1)
	v_cmp_gt_f32_e32 vcc_lo, v1, v2
	v_cndmask_b32_e32 v1, v2, v1, vcc_lo
	v_dual_mul_f32 v30, 0x3b124925, v1 :: v_dual_mov_b32 v1, s20
	v_mov_b32_e32 v2, s21
.LBB81_41:
	s_and_saveexec_b32 s2, s3
	s_cbranch_execz .LBB81_43
; %bb.42:
	s_delay_alu instid0(VALU_DEP_1) | instskip(NEXT) | instid1(VALU_DEP_1)
	v_lshlrev_b64 v[0:1], 2, v[1:2]
	v_add_co_u32 v0, vcc_lo, s8, v0
	s_delay_alu instid0(VALU_DEP_2)
	v_add_co_ci_u32_e32 v1, vcc_lo, s9, v1, vcc_lo
	global_store_b32 v[0:1], v30, off
.LBB81_43:
	s_or_b32 exec_lo, exec_lo, s2
	;;#ASMSTART
	v_rcp_f32 v2, v30
	;;#ASMEND
	v_dual_mul_f32 v0, v27, v2 :: v_dual_mov_b32 v27, 0x43e00000
	v_dual_mul_f32 v1, v28, v2 :: v_dual_mov_b32 v14, 0xc3e00000
	v_mul_f32_e32 v25, v25, v2
	v_mul_f32_e32 v26, v26, v2
	;;#ASMSTART
	v_med3_f32 v0, v0, v14, v27
v_med3_f32 v1, v1, v14, v27
v_cvt_pk_fp8_f32 v28, v0, v1
	;;#ASMEND
	;;#ASMSTART
	v_med3_f32 v25, v25, v14, v27
v_med3_f32 v26, v26, v14, v27
v_cvt_pk_fp8_f32 v0, v25, v26
	;;#ASMEND
	v_perm_b32 v1, v0, v28, 0x5040100
	s_load_b64 s[0:1], s[0:1], 0x0
	v_and_b32_e32 v0, 0xffffff00, v0
	s_add_i32 s2, s5, 3
	v_mul_f32_e32 v24, v24, v2
	v_lshrrev_b32_e32 v25, 16, v1
	s_ashr_i32 s3, s2, 31
	v_mul_f32_e32 v21, v21, v2
	s_lshr_b32 s3, s3, 30
	s_delay_alu instid0(VALU_DEP_2)
	v_dual_mul_f32 v22, v22, v2 :: v_dual_and_b32 v25, 0xff, v25
	s_add_i32 s2, s2, s3
	s_ashr_i32 s3, s6, 31
	s_mul_hi_u32 s4, s6, s20
	s_mul_i32 s3, s3, s20
	v_or_b32_e32 v0, v25, v0
	v_mul_f32_e32 v23, v23, v2
	s_add_i32 s4, s4, s3
	s_mul_i32 s3, s6, s20
	s_and_b32 s2, s2, -4
	v_lshlrev_b32_e32 v0, 16, v0
	;;#ASMSTART
	v_med3_f32 v23, v23, v14, v27
v_med3_f32 v24, v24, v14, v27
v_cvt_pk_fp8_f32 v25, v23, v24
	;;#ASMEND
	;;#ASMSTART
	v_med3_f32 v21, v21, v14, v27
v_med3_f32 v22, v22, v14, v27
v_cvt_pk_fp8_f32 v23, v21, v22
	;;#ASMEND
	v_lshlrev_b32_e32 v21, 16, v23
	s_waitcnt lgkmcnt(0)
	s_add_u32 s0, s0, s3
	v_and_or_b32 v0, 0xffff, v1, v0
	s_addc_u32 s1, s1, s4
	s_mov_b32 s3, -1
	v_and_or_b32 v1, 0xffff, v25, v21
	s_and_b32 s1, s1, 0xffff
	v_mul_f32_e32 v19, v19, v2
	v_mul_f32_e32 v20, v20, v2
	;; [unrolled: 1-line block ×4, first 2 shown]
	buffer_store_b64 v[0:1], v13, s[0:3], 0 offen
	;;#ASMSTART
	s_nop 0
	;;#ASMEND
	;;#ASMSTART
	v_med3_f32 v19, v19, v14, v27
v_med3_f32 v20, v20, v14, v27
v_cvt_pk_fp8_f32 v0, v19, v20
	;;#ASMEND
	;;#ASMSTART
	v_med3_f32 v17, v17, v14, v27
v_med3_f32 v18, v18, v14, v27
v_cvt_pk_fp8_f32 v1, v17, v18
	;;#ASMEND
	v_perm_b32 v0, v1, v0, 0x5040100
	v_and_b32_e32 v1, 0xffffff00, v1
	v_mul_f32_e32 v15, v15, v2
	v_mul_f32_e32 v16, v16, v2
	;; [unrolled: 1-line block ×3, first 2 shown]
	v_lshrrev_b32_e32 v17, 16, v0
	v_mul_f32_e32 v12, v12, v2
	s_movk_i32 s4, 0x100
	v_mul_f32_e32 v10, v10, v2
	v_mul_f32_e32 v9, v9, v2
	v_and_b32_e32 v17, 0xff, v17
	v_mul_f32_e32 v7, v7, v2
	v_mul_f32_e32 v8, v8, v2
	;; [unrolled: 1-line block ×4, first 2 shown]
	v_or_b32_e32 v1, v17, v1
	;;#ASMSTART
	v_med3_f32 v15, v15, v14, v27
v_med3_f32 v16, v16, v14, v27
v_cvt_pk_fp8_f32 v17, v15, v16
	;;#ASMEND
	;;#ASMSTART
	v_med3_f32 v11, v11, v14, v27
v_med3_f32 v12, v12, v14, v27
v_cvt_pk_fp8_f32 v15, v11, v12
	;;#ASMEND
	v_lshlrev_b32_e32 v11, 16, v15
	s_delay_alu instid0(VALU_DEP_2) | instskip(SKIP_1) | instid1(VALU_DEP_3)
	v_dual_mul_f32 v3, v3, v2 :: v_dual_lshlrev_b32 v12, 16, v1
	v_mul_f32_e32 v2, v4, v2
	v_and_or_b32 v1, 0xffff, v17, v11
	s_delay_alu instid0(VALU_DEP_3)
	v_and_or_b32 v0, 0xffff, v0, v12
	buffer_store_b64 v[0:1], v13, s[0:3], s4 offen
	;;#ASMSTART
	s_nop 0
	;;#ASMEND
	;;#ASMSTART
	v_med3_f32 v10, v10, v14, v27
v_med3_f32 v9, v9, v14, v27
v_cvt_pk_fp8_f32 v0, v10, v9
	;;#ASMEND
	;;#ASMSTART
	v_med3_f32 v7, v7, v14, v27
v_med3_f32 v8, v8, v14, v27
v_cvt_pk_fp8_f32 v1, v7, v8
	;;#ASMEND
	v_perm_b32 v0, v1, v0, 0x5040100
	v_and_b32_e32 v1, 0xffffff00, v1
	;;#ASMSTART
	v_med3_f32 v6, v6, v14, v27
v_med3_f32 v5, v5, v14, v27
v_cvt_pk_fp8_f32 v4, v6, v5
	;;#ASMEND
	;;#ASMSTART
	v_med3_f32 v3, v3, v14, v27
v_med3_f32 v2, v2, v14, v27
v_cvt_pk_fp8_f32 v5, v3, v2
	;;#ASMEND
	v_lshlrev_b32_e32 v2, 16, v5
	v_lshrrev_b32_e32 v7, 16, v0
	s_movk_i32 s4, 0x200
	s_delay_alu instid0(VALU_DEP_1) | instskip(NEXT) | instid1(VALU_DEP_1)
	v_and_b32_e32 v7, 0xff, v7
	v_or_b32_e32 v1, v7, v1
	s_delay_alu instid0(VALU_DEP_1) | instskip(SKIP_1) | instid1(VALU_DEP_2)
	v_lshlrev_b32_e32 v3, 16, v1
	v_and_or_b32 v1, 0xffff, v4, v2
	v_and_or_b32 v0, 0xffff, v0, v3
	buffer_store_b64 v[0:1], v13, s[0:3], s4 offen
	;;#ASMSTART
	s_nop 0
	;;#ASMEND
.LBB81_44:
	s_nop 0
	s_sendmsg sendmsg(MSG_DEALLOC_VGPRS)
	s_endpgm
.LBB81_45:
                                        ; implicit-def: $vgpr1_vgpr2
	s_branch .LBB81_32
	.section	.rodata,"a",@progbits
	.p2align	6, 0x0
	.amdhsa_kernel _ZN5aiter24add_rmsnorm_quant_kernelIDF16_DB8_Li256ELi24ELb0ELb1ELb1ELi1EEEvPT0_PT_PfS5_S5_S5_diiiiiiib
		.amdhsa_group_segment_fixed_size 64
		.amdhsa_private_segment_fixed_size 0
		.amdhsa_kernarg_size 88
		.amdhsa_user_sgpr_count 15
		.amdhsa_user_sgpr_dispatch_ptr 0
		.amdhsa_user_sgpr_queue_ptr 0
		.amdhsa_user_sgpr_kernarg_segment_ptr 1
		.amdhsa_user_sgpr_dispatch_id 0
		.amdhsa_user_sgpr_private_segment_size 0
		.amdhsa_wavefront_size32 1
		.amdhsa_uses_dynamic_stack 0
		.amdhsa_enable_private_segment 0
		.amdhsa_system_sgpr_workgroup_id_x 1
		.amdhsa_system_sgpr_workgroup_id_y 0
		.amdhsa_system_sgpr_workgroup_id_z 0
		.amdhsa_system_sgpr_workgroup_info 0
		.amdhsa_system_vgpr_workitem_id 0
		.amdhsa_next_free_vgpr 60
		.amdhsa_next_free_sgpr 29
		.amdhsa_reserve_vcc 1
		.amdhsa_float_round_mode_32 0
		.amdhsa_float_round_mode_16_64 0
		.amdhsa_float_denorm_mode_32 3
		.amdhsa_float_denorm_mode_16_64 3
		.amdhsa_dx10_clamp 1
		.amdhsa_ieee_mode 1
		.amdhsa_fp16_overflow 0
		.amdhsa_workgroup_processor_mode 1
		.amdhsa_memory_ordered 1
		.amdhsa_forward_progress 0
		.amdhsa_shared_vgpr_count 0
		.amdhsa_exception_fp_ieee_invalid_op 0
		.amdhsa_exception_fp_denorm_src 0
		.amdhsa_exception_fp_ieee_div_zero 0
		.amdhsa_exception_fp_ieee_overflow 0
		.amdhsa_exception_fp_ieee_underflow 0
		.amdhsa_exception_fp_ieee_inexact 0
		.amdhsa_exception_int_div_zero 0
	.end_amdhsa_kernel
	.section	.text._ZN5aiter24add_rmsnorm_quant_kernelIDF16_DB8_Li256ELi24ELb0ELb1ELb1ELi1EEEvPT0_PT_PfS5_S5_S5_diiiiiiib,"axG",@progbits,_ZN5aiter24add_rmsnorm_quant_kernelIDF16_DB8_Li256ELi24ELb0ELb1ELb1ELi1EEEvPT0_PT_PfS5_S5_S5_diiiiiiib,comdat
.Lfunc_end81:
	.size	_ZN5aiter24add_rmsnorm_quant_kernelIDF16_DB8_Li256ELi24ELb0ELb1ELb1ELi1EEEvPT0_PT_PfS5_S5_S5_diiiiiiib, .Lfunc_end81-_ZN5aiter24add_rmsnorm_quant_kernelIDF16_DB8_Li256ELi24ELb0ELb1ELb1ELi1EEEvPT0_PT_PfS5_S5_S5_diiiiiiib
                                        ; -- End function
	.section	.AMDGPU.csdata,"",@progbits
; Kernel info:
; codeLenInByte = 5048
; NumSgprs: 31
; NumVgprs: 60
; ScratchSize: 0
; MemoryBound: 0
; FloatMode: 240
; IeeeMode: 1
; LDSByteSize: 64 bytes/workgroup (compile time only)
; SGPRBlocks: 3
; VGPRBlocks: 7
; NumSGPRsForWavesPerEU: 31
; NumVGPRsForWavesPerEU: 60
; Occupancy: 16
; WaveLimiterHint : 0
; COMPUTE_PGM_RSRC2:SCRATCH_EN: 0
; COMPUTE_PGM_RSRC2:USER_SGPR: 15
; COMPUTE_PGM_RSRC2:TRAP_HANDLER: 0
; COMPUTE_PGM_RSRC2:TGID_X_EN: 1
; COMPUTE_PGM_RSRC2:TGID_Y_EN: 0
; COMPUTE_PGM_RSRC2:TGID_Z_EN: 0
; COMPUTE_PGM_RSRC2:TIDIG_COMP_CNT: 0
	.section	.text._ZN5aiter24add_rmsnorm_quant_kernelItDB8_Li256ELi24ELb0ELb1ELb1ELi1EEEvPT0_PT_PfS5_S5_S5_diiiiiiib,"axG",@progbits,_ZN5aiter24add_rmsnorm_quant_kernelItDB8_Li256ELi24ELb0ELb1ELb1ELi1EEEvPT0_PT_PfS5_S5_S5_diiiiiiib,comdat
	.protected	_ZN5aiter24add_rmsnorm_quant_kernelItDB8_Li256ELi24ELb0ELb1ELb1ELi1EEEvPT0_PT_PfS5_S5_S5_diiiiiiib ; -- Begin function _ZN5aiter24add_rmsnorm_quant_kernelItDB8_Li256ELi24ELb0ELb1ELb1ELi1EEEvPT0_PT_PfS5_S5_S5_diiiiiiib
	.globl	_ZN5aiter24add_rmsnorm_quant_kernelItDB8_Li256ELi24ELb0ELb1ELb1ELi1EEEvPT0_PT_PfS5_S5_S5_diiiiiiib
	.p2align	8
	.type	_ZN5aiter24add_rmsnorm_quant_kernelItDB8_Li256ELi24ELb0ELb1ELb1ELi1EEEvPT0_PT_PfS5_S5_S5_diiiiiiib,@function
_ZN5aiter24add_rmsnorm_quant_kernelItDB8_Li256ELi24ELb0ELb1ELb1ELi1EEEvPT0_PT_PfS5_S5_S5_diiiiiiib: ; @_ZN5aiter24add_rmsnorm_quant_kernelItDB8_Li256ELi24ELb0ELb1ELb1ELi1EEEvPT0_PT_PfS5_S5_S5_diiiiiiib
; %bb.0:
	s_load_b128 s[4:7], s[0:1], 0x38
	s_mov_b32 s20, s15
	s_mov_b32 s21, 0
	s_waitcnt lgkmcnt(0)
	s_ashr_i32 s3, s4, 31
	s_mov_b32 s2, s4
	s_delay_alu instid0(SALU_CYCLE_1) | instskip(NEXT) | instid1(VALU_DEP_1)
	v_cmp_ge_i64_e64 s2, s[20:21], s[2:3]
	s_and_b32 vcc_lo, exec_lo, s2
	s_cbranch_vccnz .LBB82_44
; %bb.1:
	s_clause 0x1
	s_load_b128 s[8:11], s[0:1], 0x10
	s_load_b128 s[16:19], s[0:1], 0x28
	v_and_b32_e32 v1, 0x3e0, v0
	s_ashr_i32 s2, s6, 31
	s_mul_hi_u32 s3, s6, s20
	s_mul_i32 s7, s2, s20
	v_lshlrev_b32_e32 v2, 3, v0
	v_mul_u32_u24_e32 v1, 24, v1
	s_mul_i32 s2, s6, s20
	s_add_i32 s3, s3, s7
	s_mov_b32 s15, -1
	s_lshl_b64 s[2:3], s[2:3], 1
	v_and_or_b32 v13, 0xf8, v2, v1
	s_mov_b32 s27, s15
	v_and_b32_e32 v40, 31, v0
	s_delay_alu instid0(VALU_DEP_2)
	v_lshlrev_b32_e32 v1, 1, v13
	s_waitcnt lgkmcnt(0)
	s_add_u32 s12, s10, s2
	s_addc_u32 s2, s11, s3
	s_add_i32 s3, s5, 1
	s_and_b32 s13, s2, 0xffff
	s_lshr_b32 s6, s3, 31
	s_movk_i32 s2, 0x200
	s_add_i32 s3, s3, s6
	s_mov_b32 s24, s16
	s_lshl_b32 s3, s3, 1
	s_and_b32 s25, s17, 0xffff
	s_and_b32 s14, s3, -4
	s_movk_i32 s3, 0x400
	s_clause 0x2
	buffer_load_b128 v[18:21], v1, s[12:15], 0 offen glc slc
	buffer_load_b128 v[26:29], v1, s[12:15], s2 offen glc slc
	;; [unrolled: 1-line block ×3, first 2 shown]
	s_mov_b32 s26, s14
	s_waitcnt vmcnt(2)
	v_lshrrev_b32_e32 v14, 16, v18
	v_lshrrev_b32_e32 v22, 16, v21
	s_waitcnt vmcnt(1)
	v_lshrrev_b32_e32 v24, 16, v26
	v_lshrrev_b32_e32 v30, 16, v29
	s_waitcnt vmcnt(0)
	v_lshrrev_b32_e32 v32, 16, v34
	v_cvt_f32_u32_e32 v15, v14
	v_cvt_f32_u32_e32 v22, v22
	;; [unrolled: 1-line block ×5, first 2 shown]
	v_mul_f32_e32 v39, v15, v15
	v_and_b32_e32 v14, 0xffff, v19
	v_lshrrev_b32_e32 v38, 16, v37
	s_delay_alu instid0(VALU_DEP_2) | instskip(SKIP_2) | instid1(VALU_DEP_4)
	v_cvt_f32_u32_e32 v17, v14
	v_and_b32_e32 v16, 0xffff, v18
	v_lshrrev_b32_e32 v18, 16, v19
	v_cvt_f32_u32_e32 v38, v38
	s_delay_alu instid0(VALU_DEP_3) | instskip(NEXT) | instid1(VALU_DEP_3)
	v_cvt_f32_u32_e32 v16, v16
	v_cvt_f32_u32_e32 v18, v18
	s_delay_alu instid0(VALU_DEP_2) | instskip(NEXT) | instid1(VALU_DEP_1)
	v_fmac_f32_e32 v39, v16, v16
	v_dual_fmac_f32 v39, v17, v17 :: v_dual_and_b32 v14, 0xffff, v20
	v_lshrrev_b32_e32 v20, 16, v20
	s_delay_alu instid0(VALU_DEP_2) | instskip(NEXT) | instid1(VALU_DEP_3)
	v_fmac_f32_e32 v39, v18, v18
	v_cvt_f32_u32_e32 v19, v14
	v_and_b32_e32 v14, 0xffff, v21
	s_delay_alu instid0(VALU_DEP_4) | instskip(NEXT) | instid1(VALU_DEP_3)
	v_cvt_f32_u32_e32 v20, v20
	v_fmac_f32_e32 v39, v19, v19
	s_delay_alu instid0(VALU_DEP_3) | instskip(SKIP_2) | instid1(VALU_DEP_4)
	v_cvt_f32_u32_e32 v21, v14
	v_and_b32_e32 v14, 0xffff, v26
	v_lshrrev_b32_e32 v26, 16, v27
	v_fmac_f32_e32 v39, v20, v20
	s_delay_alu instid0(VALU_DEP_3) | instskip(SKIP_1) | instid1(VALU_DEP_4)
	v_cvt_f32_u32_e32 v23, v14
	v_and_b32_e32 v14, 0xffff, v27
	v_cvt_f32_u32_e32 v26, v26
	s_delay_alu instid0(VALU_DEP_4) | instskip(NEXT) | instid1(VALU_DEP_3)
	v_fmac_f32_e32 v39, v21, v21
	v_cvt_f32_u32_e32 v25, v14
	s_delay_alu instid0(VALU_DEP_2) | instskip(SKIP_1) | instid1(VALU_DEP_2)
	v_dual_fmac_f32 v39, v22, v22 :: v_dual_and_b32 v14, 0xffff, v28
	v_lshrrev_b32_e32 v28, 16, v28
	v_cvt_f32_u32_e32 v27, v14
	s_delay_alu instid0(VALU_DEP_3) | instskip(NEXT) | instid1(VALU_DEP_3)
	v_dual_fmac_f32 v39, v23, v23 :: v_dual_and_b32 v14, 0xffff, v29
	v_cvt_f32_u32_e32 v28, v28
	s_delay_alu instid0(VALU_DEP_2) | instskip(NEXT) | instid1(VALU_DEP_3)
	v_fmac_f32_e32 v39, v24, v24
	v_cvt_f32_u32_e32 v29, v14
	v_and_b32_e32 v14, 0xffff, v34
	v_lshrrev_b32_e32 v34, 16, v35
	s_delay_alu instid0(VALU_DEP_4) | instskip(NEXT) | instid1(VALU_DEP_3)
	v_fmac_f32_e32 v39, v25, v25
	v_cvt_f32_u32_e32 v31, v14
	v_and_b32_e32 v14, 0xffff, v35
	s_delay_alu instid0(VALU_DEP_4) | instskip(NEXT) | instid1(VALU_DEP_4)
	v_cvt_f32_u32_e32 v34, v34
	v_fmac_f32_e32 v39, v26, v26
	s_delay_alu instid0(VALU_DEP_3) | instskip(NEXT) | instid1(VALU_DEP_2)
	v_cvt_f32_u32_e32 v33, v14
	v_dual_fmac_f32 v39, v27, v27 :: v_dual_and_b32 v14, 0xffff, v36
	v_lshrrev_b32_e32 v36, 16, v36
	s_delay_alu instid0(VALU_DEP_2) | instskip(NEXT) | instid1(VALU_DEP_3)
	v_cvt_f32_u32_e32 v35, v14
	v_dual_fmac_f32 v39, v28, v28 :: v_dual_and_b32 v14, 0xffff, v37
	s_delay_alu instid0(VALU_DEP_3) | instskip(NEXT) | instid1(VALU_DEP_2)
	v_cvt_f32_u32_e32 v36, v36
	v_cvt_f32_u32_e32 v37, v14
	s_delay_alu instid0(VALU_DEP_3) | instskip(NEXT) | instid1(VALU_DEP_1)
	v_fmac_f32_e32 v39, v29, v29
	v_fmac_f32_e32 v39, v30, v30
	s_delay_alu instid0(VALU_DEP_1) | instskip(NEXT) | instid1(VALU_DEP_1)
	v_fmac_f32_e32 v39, v31, v31
	v_fmac_f32_e32 v39, v32, v32
	s_delay_alu instid0(VALU_DEP_1) | instskip(NEXT) | instid1(VALU_DEP_1)
	;; [unrolled: 3-line block ×5, first 2 shown]
	v_mov_b32_dpp v14, v39 quad_perm:[1,0,3,2] row_mask:0xf bank_mask:0xf
	v_add_f32_e32 v14, v39, v14
	s_delay_alu instid0(VALU_DEP_1) | instskip(NEXT) | instid1(VALU_DEP_1)
	v_mov_b32_dpp v39, v14 quad_perm:[2,3,0,1] row_mask:0xf bank_mask:0xf
	v_add_f32_e32 v14, v14, v39
	s_clause 0x2
	buffer_load_b128 v[9:12], v1, s[24:27], 0 offen
	buffer_load_b128 v[5:8], v1, s[24:27], s2 offen
	;; [unrolled: 1-line block ×3, first 2 shown]
	v_cmp_eq_u32_e64 s2, 31, v40
	v_mov_b32_dpp v39, v14 row_xmask:7 row_mask:0xf bank_mask:0xf
	s_delay_alu instid0(VALU_DEP_1) | instskip(NEXT) | instid1(VALU_DEP_1)
	v_add_f32_e32 v14, v14, v39
	v_mov_b32_dpp v39, v14 row_xmask:15 row_mask:0xf bank_mask:0xf
	s_delay_alu instid0(VALU_DEP_4)
	s_and_saveexec_b32 s3, s2
	s_cbranch_execz .LBB82_3
; %bb.2:
	s_delay_alu instid0(VALU_DEP_1) | instskip(SKIP_2) | instid1(VALU_DEP_2)
	v_add_f32_e32 v14, v14, v39
	s_mov_b32 s6, 0x76543210
	v_lshrrev_b32_e32 v39, 3, v0
	v_permlanex16_b32 v40, v14, s6, 0xfedcba98 op_sel:[1,1]
	s_delay_alu instid0(VALU_DEP_1)
	v_dual_add_f32 v14, v14, v40 :: v_dual_and_b32 v39, 0x7c, v39
	ds_store_b32 v39, v14 offset:32
.LBB82_3:
	s_or_b32 exec_lo, exec_lo, s3
	v_and_b32_e32 v14, 7, v0
	s_waitcnt vmcnt(0) lgkmcnt(0)
	s_barrier
	buffer_gl0_inv
	v_cvt_f32_i32_e32 v41, s5
	v_lshlrev_b32_e32 v14, 2, v14
	ds_load_b32 v39, v14 offset:32
	s_clause 0x1
	s_load_b64 s[6:7], s[0:1], 0x4c
	s_load_b32 s10, s[0:1], 0x54
	s_waitcnt lgkmcnt(0)
	s_cmp_lg_u32 s7, 0
	v_mov_b32_dpp v40, v39 quad_perm:[1,0,3,2] row_mask:0xf bank_mask:0xf
	s_delay_alu instid0(VALU_DEP_1) | instskip(NEXT) | instid1(VALU_DEP_1)
	v_add_f32_e32 v39, v39, v40
	v_mov_b32_dpp v40, v39 quad_perm:[2,3,0,1] row_mask:0xf bank_mask:0xf
	s_delay_alu instid0(VALU_DEP_1) | instskip(NEXT) | instid1(VALU_DEP_1)
	v_add_f32_e32 v39, v39, v40
	v_mov_b32_dpp v40, v39 row_xmask:7 row_mask:0xf bank_mask:0xf
	s_delay_alu instid0(VALU_DEP_1) | instskip(NEXT) | instid1(VALU_DEP_1)
	v_add_f32_e32 v39, v39, v40
	v_div_scale_f32 v40, null, v41, v41, v39
	v_div_scale_f32 v44, vcc_lo, v39, v41, v39
	s_delay_alu instid0(VALU_DEP_2) | instskip(SKIP_2) | instid1(VALU_DEP_1)
	v_rcp_f32_e32 v42, v40
	s_waitcnt_depctr 0xfff
	v_fma_f32 v43, -v40, v42, 1.0
	v_fmac_f32_e32 v42, v43, v42
	s_delay_alu instid0(VALU_DEP_1) | instskip(NEXT) | instid1(VALU_DEP_1)
	v_mul_f32_e32 v43, v44, v42
	v_fma_f32 v45, -v40, v43, v44
	s_delay_alu instid0(VALU_DEP_1) | instskip(NEXT) | instid1(VALU_DEP_1)
	v_fmac_f32_e32 v43, v45, v42
	v_fma_f32 v40, -v40, v43, v44
	v_and_b32_e32 v44, 0xffff, v5
	v_lshrrev_b32_e32 v5, 16, v5
	s_delay_alu instid0(VALU_DEP_3)
	v_div_fmas_f32 v40, v40, v42, v43
	v_and_b32_e32 v42, 0xffff, v11
	v_lshrrev_b32_e32 v11, 16, v11
	v_and_b32_e32 v43, 0xffff, v12
	v_lshrrev_b32_e32 v12, 16, v12
	v_div_fixup_f32 v39, v40, v41, v39
	v_cvt_f32_u32_e32 v42, v42
	v_cvt_f32_u32_e32 v11, v11
	;; [unrolled: 1-line block ×4, first 2 shown]
	v_cvt_f64_f32_e32 v[39:40], v39
	v_cvt_f32_u32_e32 v5, v5
	v_cvt_f32_u32_e32 v44, v44
	s_delay_alu instid0(VALU_DEP_3) | instskip(NEXT) | instid1(VALU_DEP_1)
	v_add_f64 v[39:40], v[39:40], s[18:19]
	v_cvt_f32_f64_e32 v39, v[39:40]
	v_and_b32_e32 v40, 0xffff, v9
	v_lshrrev_b32_e32 v9, 16, v9
	s_delay_alu instid0(VALU_DEP_2) | instskip(NEXT) | instid1(VALU_DEP_2)
	v_cvt_f32_u32_e32 v40, v40
	v_cvt_f32_u32_e32 v9, v9
	v_mul_f32_e32 v53, 0x4b800000, v39
	v_cmp_gt_f32_e32 vcc_lo, 0x800000, v39
	v_and_b32_e32 v46, 0xffff, v7
	v_lshrrev_b32_e32 v7, 16, v7
	s_delay_alu instid0(VALU_DEP_4) | instskip(NEXT) | instid1(VALU_DEP_3)
	v_cndmask_b32_e32 v39, v39, v53, vcc_lo
	v_cvt_f32_u32_e32 v46, v46
	s_delay_alu instid0(VALU_DEP_3) | instskip(NEXT) | instid1(VALU_DEP_3)
	v_cvt_f32_u32_e32 v7, v7
	v_rsq_f32_e32 v39, v39
	s_waitcnt_depctr 0xfff
	v_mul_f32_e32 v53, 0x45800000, v39
	v_and_b32_e32 v50, 0xffff, v3
	v_lshrrev_b32_e32 v3, 16, v3
	s_delay_alu instid0(VALU_DEP_3)
	v_cndmask_b32_e32 v39, v39, v53, vcc_lo
	v_and_b32_e32 v41, 0xffff, v10
	v_lshrrev_b32_e32 v10, 16, v10
	v_and_b32_e32 v47, 0xffff, v8
	v_lshrrev_b32_e32 v8, 16, v8
	v_mul_f32_e32 v18, v39, v18
	v_dual_mul_f32 v15, v39, v15 :: v_dual_and_b32 v48, 0xffff, v1
	v_lshrrev_b32_e32 v1, 16, v1
	v_dual_mul_f32 v16, v39, v16 :: v_dual_and_b32 v45, 0xffff, v6
	v_mul_f32_e32 v20, v39, v20
	v_lshrrev_b32_e32 v6, 16, v6
	v_dual_mul_f32 v54, v39, v24 :: v_dual_and_b32 v49, 0xffff, v2
	v_lshrrev_b32_e32 v2, 16, v2
	v_mul_f32_e32 v58, v39, v28
	v_dual_mov_b32 v52, 0x2edbe6ff :: v_dual_mul_f32 v17, v39, v17
	v_cvt_f32_u32_e32 v41, v41
	v_cvt_f32_u32_e32 v10, v10
	v_mul_f32_e32 v19, v39, v19
	v_dual_mul_f32 v22, v39, v22 :: v_dual_and_b32 v51, 0xffff, v4
	v_lshrrev_b32_e32 v4, 16, v4
	v_dual_mul_f32 v21, v39, v21 :: v_dual_mul_f32 v24, v20, v11
	v_cvt_f32_u32_e32 v47, v47
	v_cvt_f32_u32_e32 v8, v8
	;; [unrolled: 1-line block ×4, first 2 shown]
	v_dual_mul_f32 v53, v39, v23 :: v_dual_mul_f32 v22, v22, v12
	v_dual_mul_f32 v57, v39, v27 :: v_dual_mul_f32 v20, v54, v5
	v_mul_f32_e32 v29, v39, v29
	v_dual_mul_f32 v30, v39, v30 :: v_dual_mul_f32 v27, v16, v40
	v_mul_f32_e32 v31, v39, v31
	v_mul_f32_e32 v32, v39, v32
	v_cvt_f32_u32_e32 v45, v45
	v_cvt_f32_u32_e32 v6, v6
	;; [unrolled: 1-line block ×3, first 2 shown]
	v_mul_f32_e32 v56, v39, v26
	v_mul_f32_e32 v55, v39, v25
	v_dual_mul_f32 v34, v39, v34 :: v_dual_mul_f32 v21, v21, v43
	v_mul_f32_e32 v16, v58, v7
	v_dual_mul_f32 v28, v15, v9 :: v_dual_mul_f32 v11, v29, v47
	v_dual_mul_f32 v25, v17, v41 :: v_dual_mul_f32 v26, v18, v10
	v_mul_f32_e32 v23, v19, v42
	v_cvt_f32_u32_e32 v49, v49
	v_cvt_f32_u32_e32 v3, v3
	;; [unrolled: 1-line block ×3, first 2 shown]
	v_mul_f32_e32 v33, v39, v33
	v_dual_mul_f32 v36, v39, v36 :: v_dual_mul_f32 v15, v57, v46
	v_dual_mul_f32 v38, v39, v38 :: v_dual_mul_f32 v19, v53, v44
	v_cvt_f32_u32_e32 v50, v50
	v_cvt_f32_u32_e32 v51, v51
	s_delay_alu instid0(VALU_DEP_3)
	v_dual_mul_f32 v35, v39, v35 :: v_dual_mul_f32 v4, v38, v4
	v_dual_mul_f32 v37, v39, v37 :: v_dual_mul_f32 v12, v30, v8
	;; [unrolled: 1-line block ×3, first 2 shown]
	v_dual_mul_f32 v18, v56, v6 :: v_dual_and_b32 v1, 0x7fffffff, v27
	v_dual_mul_f32 v17, v55, v45 :: v_dual_and_b32 v30, 0x7fffffff, v26
	v_mul_f32_e32 v8, v34, v2
	v_and_b32_e32 v2, 0x7fffffff, v28
	;;#ASMSTART
	v_max3_f32 v1, v52, v1, v2

	;;#ASMEND
	v_and_b32_e32 v29, 0x7fffffff, v25
	;;#ASMSTART
	v_max3_f32 v1, v1, v29, v30

	;;#ASMEND
	v_and_b32_e32 v32, 0x7fffffff, v24
	v_and_b32_e32 v31, 0x7fffffff, v23
	;;#ASMSTART
	v_max3_f32 v1, v1, v31, v32

	;;#ASMEND
	v_dual_mul_f32 v7, v33, v49 :: v_dual_mul_f32 v6, v35, v50
	v_dual_mul_f32 v5, v36, v3 :: v_dual_and_b32 v34, 0x7fffffff, v22
	v_and_b32_e32 v33, 0x7fffffff, v21
	;;#ASMSTART
	v_max3_f32 v1, v1, v33, v34

	;;#ASMEND
	v_dual_mul_f32 v3, v37, v51 :: v_dual_and_b32 v36, 0x7fffffff, v20
	v_and_b32_e32 v35, 0x7fffffff, v19
	;;#ASMSTART
	v_max3_f32 v1, v1, v35, v36

	;;#ASMEND
	v_and_b32_e32 v37, 0x7fffffff, v17
	v_and_b32_e32 v38, 0x7fffffff, v18
	;;#ASMSTART
	v_max3_f32 v1, v1, v37, v38

	;;#ASMEND
	v_and_b32_e32 v39, 0x7fffffff, v15
	;; [unrolled: 6-line block ×6, first 2 shown]
	v_and_b32_e32 v48, 0x7fffffff, v5
	v_and_b32_e32 v49, 0x7fffffff, v3
	;; [unrolled: 1-line block ×3, first 2 shown]
	;;#ASMSTART
	v_max3_f32 v1, v1, v47, v48

	;;#ASMEND
	;;#ASMSTART
	v_max3_f32 v29, v1, v49, v50

	;;#ASMEND
	s_cbranch_scc0 .LBB82_10
; %bb.4:
	s_mul_hi_i32 s3, s7, 0x2aaaaaab
	s_delay_alu instid0(SALU_CYCLE_1) | instskip(SKIP_1) | instid1(SALU_CYCLE_1)
	s_lshr_b32 s11, s3, 31
	s_ashr_i32 s3, s3, 2
	s_add_i32 s3, s3, s11
	s_delay_alu instid0(SALU_CYCLE_1)
	s_cmp_lt_i32 s3, 8
	s_cbranch_scc1 .LBB82_11
; %bb.5:
	s_cmp_lt_i32 s3, 16
	s_cbranch_scc1 .LBB82_12
; %bb.6:
	;; [unrolled: 3-line block ×3, first 2 shown]
	v_mov_b32_e32 v1, v29
	s_cmp_eq_u32 s3, 32
	s_cbranch_scc0 .LBB82_9
; %bb.8:
	s_delay_alu instid0(VALU_DEP_1) | instskip(SKIP_1) | instid1(VALU_DEP_1)
	v_mov_b32_dpp v1, v29 quad_perm:[1,0,3,2] row_mask:0xf bank_mask:0xf
	s_mov_b32 s11, 0x76543210
	v_cmp_gt_f32_e32 vcc_lo, v29, v1
	v_cndmask_b32_e32 v1, v1, v29, vcc_lo
	s_delay_alu instid0(VALU_DEP_1) | instskip(NEXT) | instid1(VALU_DEP_1)
	v_mov_b32_dpp v2, v1 quad_perm:[2,3,0,1] row_mask:0xf bank_mask:0xf
	v_cmp_gt_f32_e32 vcc_lo, v1, v2
	v_cndmask_b32_e32 v1, v2, v1, vcc_lo
	s_delay_alu instid0(VALU_DEP_1) | instskip(NEXT) | instid1(VALU_DEP_1)
	v_mov_b32_dpp v2, v1 row_xmask:7 row_mask:0xf bank_mask:0xf
	v_cmp_gt_f32_e32 vcc_lo, v1, v2
	v_cndmask_b32_e32 v1, v2, v1, vcc_lo
	s_delay_alu instid0(VALU_DEP_1) | instskip(NEXT) | instid1(VALU_DEP_1)
	v_mov_b32_dpp v2, v1 row_xmask:15 row_mask:0xf bank_mask:0xf
	v_cmp_gt_f32_e32 vcc_lo, v1, v2
	v_cndmask_b32_e32 v1, v2, v1, vcc_lo
	s_delay_alu instid0(VALU_DEP_1) | instskip(NEXT) | instid1(VALU_DEP_1)
	v_permlanex16_b32 v2, v1, s11, 0xfedcba98 op_sel:[1,1]
	v_cmp_gt_f32_e32 vcc_lo, v1, v2
	v_cndmask_b32_e32 v1, v2, v1, vcc_lo
.LBB82_9:
	s_mov_b32 s11, 0
	s_branch .LBB82_14
.LBB82_10:
	s_mov_b32 s3, 0
                                        ; implicit-def: $vgpr30
                                        ; implicit-def: $vgpr1_vgpr2
	s_and_b32 vcc_lo, exec_lo, s15
	s_cbranch_vccnz .LBB82_38
	s_branch .LBB82_41
.LBB82_11:
                                        ; implicit-def: $vgpr1
	s_branch .LBB82_21
.LBB82_12:
                                        ; implicit-def: $vgpr1
	s_branch .LBB82_18
.LBB82_13:
	s_mov_b32 s11, -1
                                        ; implicit-def: $vgpr1
.LBB82_14:
	s_delay_alu instid0(SALU_CYCLE_1)
	s_and_not1_b32 vcc_lo, exec_lo, s11
	s_cbranch_vccnz .LBB82_17
; %bb.15:
	v_mov_b32_e32 v1, v29
	s_cmp_eq_u32 s3, 16
	s_cbranch_scc0 .LBB82_17
; %bb.16:
	s_delay_alu instid0(VALU_DEP_1) | instskip(NEXT) | instid1(VALU_DEP_1)
	v_mov_b32_dpp v1, v29 quad_perm:[1,0,3,2] row_mask:0xf bank_mask:0xf
	v_cmp_gt_f32_e32 vcc_lo, v29, v1
	v_cndmask_b32_e32 v1, v1, v29, vcc_lo
	s_delay_alu instid0(VALU_DEP_1) | instskip(NEXT) | instid1(VALU_DEP_1)
	v_mov_b32_dpp v2, v1 quad_perm:[2,3,0,1] row_mask:0xf bank_mask:0xf
	v_cmp_gt_f32_e32 vcc_lo, v1, v2
	v_cndmask_b32_e32 v1, v2, v1, vcc_lo
	s_delay_alu instid0(VALU_DEP_1) | instskip(NEXT) | instid1(VALU_DEP_1)
	v_mov_b32_dpp v2, v1 row_half_mirror row_mask:0xf bank_mask:0xf
	v_cmp_gt_f32_e32 vcc_lo, v1, v2
	v_cndmask_b32_e32 v1, v2, v1, vcc_lo
	s_delay_alu instid0(VALU_DEP_1) | instskip(NEXT) | instid1(VALU_DEP_1)
	v_mov_b32_dpp v2, v1 row_mirror row_mask:0xf bank_mask:0xf
	v_cmp_gt_f32_e32 vcc_lo, v1, v2
	v_cndmask_b32_e32 v1, v2, v1, vcc_lo
.LBB82_17:
	s_cbranch_execnz .LBB82_20
.LBB82_18:
	v_mov_b32_e32 v1, v29
	s_cmp_eq_u32 s3, 8
	s_cbranch_scc0 .LBB82_20
; %bb.19:
	s_delay_alu instid0(VALU_DEP_1) | instskip(NEXT) | instid1(VALU_DEP_1)
	v_mov_b32_dpp v1, v29 quad_perm:[1,0,3,2] row_mask:0xf bank_mask:0xf
	v_cmp_gt_f32_e32 vcc_lo, v29, v1
	v_cndmask_b32_e32 v1, v1, v29, vcc_lo
	s_delay_alu instid0(VALU_DEP_1) | instskip(NEXT) | instid1(VALU_DEP_1)
	v_mov_b32_dpp v2, v1 quad_perm:[2,3,0,1] row_mask:0xf bank_mask:0xf
	v_cmp_gt_f32_e32 vcc_lo, v1, v2
	v_cndmask_b32_e32 v1, v2, v1, vcc_lo
	s_delay_alu instid0(VALU_DEP_1) | instskip(NEXT) | instid1(VALU_DEP_1)
	v_mov_b32_dpp v2, v1 row_half_mirror row_mask:0xf bank_mask:0xf
	v_cmp_gt_f32_e32 vcc_lo, v1, v2
	v_cndmask_b32_e32 v1, v2, v1, vcc_lo
.LBB82_20:
	s_cbranch_execnz .LBB82_28
.LBB82_21:
	s_cmp_lt_i32 s3, 4
	s_cbranch_scc1 .LBB82_24
; %bb.22:
	v_mov_b32_e32 v1, v29
	s_cmp_eq_u32 s3, 4
	s_cbranch_scc0 .LBB82_25
; %bb.23:
	s_delay_alu instid0(VALU_DEP_1) | instskip(NEXT) | instid1(VALU_DEP_1)
	v_mov_b32_dpp v1, v29 quad_perm:[1,0,3,2] row_mask:0xf bank_mask:0xf
	v_cmp_gt_f32_e32 vcc_lo, v29, v1
	v_cndmask_b32_e32 v1, v1, v29, vcc_lo
	s_delay_alu instid0(VALU_DEP_1) | instskip(NEXT) | instid1(VALU_DEP_1)
	v_mov_b32_dpp v2, v1 quad_perm:[2,3,0,1] row_mask:0xf bank_mask:0xf
	v_cmp_gt_f32_e32 vcc_lo, v1, v2
	v_cndmask_b32_e32 v1, v2, v1, vcc_lo
	s_cbranch_execz .LBB82_26
	s_branch .LBB82_28
.LBB82_24:
                                        ; implicit-def: $vgpr1
	s_branch .LBB82_26
.LBB82_25:
	s_cbranch_execnz .LBB82_28
.LBB82_26:
	v_mov_b32_e32 v1, v29
	s_cmp_lg_u32 s3, 2
	s_cbranch_scc1 .LBB82_28
; %bb.27:
	s_delay_alu instid0(VALU_DEP_1) | instskip(NEXT) | instid1(VALU_DEP_1)
	v_mov_b32_dpp v1, v29 quad_perm:[1,0,3,2] row_mask:0xf bank_mask:0xf
	v_cmp_gt_f32_e32 vcc_lo, v29, v1
	v_cndmask_b32_e32 v1, v1, v29, vcc_lo
.LBB82_28:
	v_cvt_f32_u32_e32 v2, s3
	s_sub_i32 s11, 0, s3
	s_mov_b32 s15, 0
	s_delay_alu instid0(VALU_DEP_1) | instskip(SKIP_2) | instid1(VALU_DEP_1)
	v_rcp_iflag_f32_e32 v2, v2
	s_waitcnt_depctr 0xfff
	v_mul_f32_e32 v2, 0x4f7ffffe, v2
	v_cvt_u32_f32_e32 v2, v2
	s_delay_alu instid0(VALU_DEP_1) | instskip(NEXT) | instid1(VALU_DEP_1)
	v_mul_lo_u32 v30, s11, v2
	v_mul_hi_u32 v30, v2, v30
	s_delay_alu instid0(VALU_DEP_1) | instskip(NEXT) | instid1(VALU_DEP_1)
	v_add_nc_u32_e32 v2, v2, v30
	v_mul_hi_u32 v2, v0, v2
	s_delay_alu instid0(VALU_DEP_1) | instskip(NEXT) | instid1(VALU_DEP_1)
	v_mul_lo_u32 v30, v2, s3
	v_sub_nc_u32_e32 v30, v0, v30
	s_delay_alu instid0(VALU_DEP_1) | instskip(SKIP_1) | instid1(VALU_DEP_2)
	v_subrev_nc_u32_e32 v32, s3, v30
	v_cmp_le_u32_e32 vcc_lo, s3, v30
	v_dual_cndmask_b32 v30, v30, v32 :: v_dual_add_nc_u32 v31, 1, v2
	s_delay_alu instid0(VALU_DEP_1) | instskip(NEXT) | instid1(VALU_DEP_2)
	v_cndmask_b32_e32 v2, v2, v31, vcc_lo
	v_cmp_le_u32_e32 vcc_lo, s3, v30
	s_delay_alu instid0(VALU_DEP_2) | instskip(SKIP_1) | instid1(VALU_DEP_2)
	v_add_nc_u32_e32 v31, 1, v2
	v_mul_u32_u24_e32 v30, 24, v0
	v_cndmask_b32_e32 v31, v2, v31, vcc_lo
	s_delay_alu instid0(VALU_DEP_2) | instskip(SKIP_1) | instid1(VALU_DEP_3)
	v_cmp_gt_u32_e32 vcc_lo, s5, v30
	v_mul_f32_e32 v30, 0x3b124925, v1
	v_mul_lo_u32 v2, v31, s3
	s_delay_alu instid0(VALU_DEP_1) | instskip(NEXT) | instid1(VALU_DEP_1)
	v_sub_nc_u32_e32 v2, v0, v2
	v_cmp_eq_u32_e64 s3, 0, v2
                                        ; implicit-def: $vgpr1_vgpr2
	s_delay_alu instid0(VALU_DEP_1) | instskip(SKIP_2) | instid1(SALU_CYCLE_1)
	s_and_b32 s11, s3, vcc_lo
	s_mov_b32 s3, 0
	s_and_saveexec_b32 s12, s11
	s_xor_b32 s14, exec_lo, s12
	s_cbranch_execz .LBB82_37
; %bb.29:
	s_bitcmp0_b32 s10, 0
	s_mov_b32 s16, 0
	s_cbranch_scc0 .LBB82_34
; %bb.30:
	s_ashr_i32 s3, s5, 31
	s_mul_hi_u32 s10, s5, s20
	s_mul_i32 s3, s3, s20
	s_mul_i32 s12, s5, s20
	s_add_i32 s13, s10, s3
	s_ashr_i32 s11, s7, 31
	s_mov_b32 s10, s7
	s_delay_alu instid0(SALU_CYCLE_1) | instskip(NEXT) | instid1(SALU_CYCLE_1)
	s_or_b64 s[18:19], s[12:13], s[10:11]
	s_mov_b32 s17, s19
	s_delay_alu instid0(SALU_CYCLE_1)
	s_cmp_lg_u64 s[16:17], 0
	s_cbranch_scc0 .LBB82_45
; %bb.31:
	s_add_u32 s18, s10, s11
	s_mov_b32 s16, s11
	s_mov_b32 s17, s11
	s_addc_u32 s19, s11, s11
	s_delay_alu instid0(SALU_CYCLE_1) | instskip(NEXT) | instid1(SALU_CYCLE_1)
	s_xor_b64 s[18:19], s[18:19], s[16:17]
	v_cvt_f32_u32_e32 v1, s18
	v_cvt_f32_u32_e32 v2, s19
	s_sub_u32 s11, 0, s18
	s_subb_u32 s22, 0, s19
	s_delay_alu instid0(VALU_DEP_1) | instskip(NEXT) | instid1(VALU_DEP_1)
	v_fmamk_f32 v1, v2, 0x4f800000, v1
	v_rcp_f32_e32 v1, v1
	s_waitcnt_depctr 0xfff
	v_mul_f32_e32 v1, 0x5f7ffffc, v1
	s_delay_alu instid0(VALU_DEP_1) | instskip(NEXT) | instid1(VALU_DEP_1)
	v_mul_f32_e32 v2, 0x2f800000, v1
	v_trunc_f32_e32 v2, v2
	s_delay_alu instid0(VALU_DEP_1) | instskip(SKIP_1) | instid1(VALU_DEP_2)
	v_fmamk_f32 v1, v2, 0xcf800000, v1
	v_cvt_u32_f32_e32 v2, v2
	v_cvt_u32_f32_e32 v1, v1
	s_delay_alu instid0(VALU_DEP_2) | instskip(NEXT) | instid1(VALU_DEP_2)
	v_readfirstlane_b32 s3, v2
	v_readfirstlane_b32 s7, v1
	s_delay_alu instid0(VALU_DEP_2) | instskip(NEXT) | instid1(VALU_DEP_1)
	s_mul_i32 s23, s11, s3
	s_mul_hi_u32 s25, s11, s7
	s_mul_i32 s24, s22, s7
	s_add_i32 s23, s25, s23
	s_mul_i32 s26, s11, s7
	s_add_i32 s23, s23, s24
	s_mul_hi_u32 s25, s7, s26
	s_mul_hi_u32 s27, s3, s26
	s_mul_i32 s24, s3, s26
	s_mul_hi_u32 s26, s7, s23
	s_mul_i32 s7, s7, s23
	s_mul_hi_u32 s28, s3, s23
	s_add_u32 s7, s25, s7
	s_addc_u32 s25, 0, s26
	s_add_u32 s7, s7, s24
	s_mul_i32 s23, s3, s23
	s_addc_u32 s7, s25, s27
	s_addc_u32 s24, s28, 0
	s_add_u32 s7, s7, s23
	s_addc_u32 s23, 0, s24
	v_add_co_u32 v1, s7, v1, s7
	s_delay_alu instid0(VALU_DEP_1) | instskip(SKIP_1) | instid1(VALU_DEP_1)
	s_cmp_lg_u32 s7, 0
	s_addc_u32 s3, s3, s23
	v_readfirstlane_b32 s7, v1
	s_mul_i32 s23, s11, s3
	s_delay_alu instid0(VALU_DEP_1)
	s_mul_hi_u32 s24, s11, s7
	s_mul_i32 s22, s22, s7
	s_add_i32 s23, s24, s23
	s_mul_i32 s11, s11, s7
	s_add_i32 s23, s23, s22
	s_mul_hi_u32 s24, s3, s11
	s_mul_i32 s25, s3, s11
	s_mul_hi_u32 s11, s7, s11
	s_mul_hi_u32 s26, s7, s23
	s_mul_i32 s7, s7, s23
	s_mul_hi_u32 s22, s3, s23
	s_add_u32 s7, s11, s7
	s_addc_u32 s11, 0, s26
	s_add_u32 s7, s7, s25
	s_mul_i32 s23, s3, s23
	s_addc_u32 s7, s11, s24
	s_addc_u32 s11, s22, 0
	s_add_u32 s7, s7, s23
	s_addc_u32 s11, 0, s11
	v_add_co_u32 v1, s7, v1, s7
	s_delay_alu instid0(VALU_DEP_1) | instskip(SKIP_2) | instid1(VALU_DEP_1)
	s_cmp_lg_u32 s7, 0
	s_addc_u32 s3, s3, s11
	s_ashr_i32 s22, s13, 31
	v_readfirstlane_b32 s7, v1
	s_add_u32 s24, s12, s22
	s_mov_b32 s23, s22
	s_addc_u32 s25, s13, s22
	s_delay_alu instid0(SALU_CYCLE_1) | instskip(NEXT) | instid1(SALU_CYCLE_1)
	s_xor_b64 s[24:25], s[24:25], s[22:23]
	s_mul_i32 s13, s24, s3
	s_mul_hi_u32 s26, s24, s7
	s_mul_hi_u32 s11, s24, s3
	;; [unrolled: 1-line block ×3, first 2 shown]
	s_mul_i32 s7, s25, s7
	s_add_u32 s13, s26, s13
	s_addc_u32 s11, 0, s11
	s_mul_hi_u32 s27, s25, s3
	s_add_u32 s7, s13, s7
	s_mul_i32 s3, s25, s3
	s_addc_u32 s7, s11, s28
	s_addc_u32 s11, s27, 0
	s_add_u32 s7, s7, s3
	s_addc_u32 s11, 0, s11
	s_mul_i32 s27, s18, s7
	s_mul_hi_u32 s3, s18, s7
	s_mul_i32 s26, s18, s11
	v_sub_co_u32 v1, s24, s24, s27
	s_mul_i32 s13, s19, s7
	s_add_i32 s3, s3, s26
	s_delay_alu instid0(SALU_CYCLE_1) | instskip(NEXT) | instid1(VALU_DEP_1)
	s_add_i32 s3, s3, s13
	v_sub_co_u32 v2, s26, v1, s18
	s_sub_i32 s13, s25, s3
	s_cmp_lg_u32 s24, 0
	s_subb_u32 s13, s13, s19
	s_cmp_lg_u32 s26, 0
	v_cmp_le_u32_e32 vcc_lo, s18, v2
	s_subb_u32 s13, s13, 0
	s_delay_alu instid0(SALU_CYCLE_1)
	s_cmp_ge_u32 s13, s19
	v_cndmask_b32_e64 v2, 0, -1, vcc_lo
	s_cselect_b32 s26, -1, 0
	s_cmp_eq_u32 s13, s19
	s_cselect_b32 vcc_lo, -1, 0
	s_add_u32 s13, s7, 1
	v_cndmask_b32_e32 v2, s26, v2, vcc_lo
	s_addc_u32 s26, s11, 0
	s_add_u32 s27, s7, 2
	s_addc_u32 s28, s11, 0
	s_cmp_lg_u32 s24, 0
	v_cmp_le_u32_e32 vcc_lo, s18, v1
	s_subb_u32 s3, s25, s3
	v_mov_b32_e32 v32, s27
	s_cmp_ge_u32 s3, s19
	v_cndmask_b32_e64 v1, 0, -1, vcc_lo
	s_cselect_b32 s18, -1, 0
	s_cmp_eq_u32 s3, s19
	v_cmp_ne_u32_e32 vcc_lo, 0, v2
	v_mov_b32_e32 v2, s28
	s_cselect_b32 s3, -1, 0
	s_xor_b64 s[16:17], s[22:23], s[16:17]
	v_cndmask_b32_e64 v1, s18, v1, s3
	v_cndmask_b32_e32 v32, s13, v32, vcc_lo
	v_cndmask_b32_e32 v2, s26, v2, vcc_lo
	s_delay_alu instid0(VALU_DEP_3) | instskip(NEXT) | instid1(VALU_DEP_2)
	v_cmp_ne_u32_e32 vcc_lo, 0, v1
	v_cndmask_b32_e32 v1, s11, v2, vcc_lo
	s_delay_alu instid0(VALU_DEP_4) | instskip(NEXT) | instid1(VALU_DEP_2)
	v_cndmask_b32_e32 v2, s7, v32, vcc_lo
	v_xor_b32_e32 v32, s17, v1
	s_delay_alu instid0(VALU_DEP_2) | instskip(NEXT) | instid1(VALU_DEP_1)
	v_xor_b32_e32 v2, s16, v2
	v_sub_co_u32 v1, vcc_lo, v2, s16
	s_delay_alu instid0(VALU_DEP_3)
	v_subrev_co_ci_u32_e32 v2, vcc_lo, s17, v32, vcc_lo
	s_cbranch_execnz .LBB82_33
.LBB82_32:
	v_cvt_f32_u32_e32 v1, s10
	s_sub_i32 s7, 0, s10
	s_delay_alu instid0(VALU_DEP_1) | instskip(SKIP_2) | instid1(VALU_DEP_1)
	v_rcp_iflag_f32_e32 v1, v1
	s_waitcnt_depctr 0xfff
	v_mul_f32_e32 v1, 0x4f7ffffe, v1
	v_cvt_u32_f32_e32 v1, v1
	s_delay_alu instid0(VALU_DEP_1) | instskip(NEXT) | instid1(VALU_DEP_1)
	v_readfirstlane_b32 s3, v1
	s_mul_i32 s7, s7, s3
	s_delay_alu instid0(SALU_CYCLE_1) | instskip(NEXT) | instid1(SALU_CYCLE_1)
	s_mul_hi_u32 s7, s3, s7
	s_add_i32 s3, s3, s7
	s_delay_alu instid0(SALU_CYCLE_1) | instskip(NEXT) | instid1(SALU_CYCLE_1)
	s_mul_hi_u32 s3, s12, s3
	s_mul_i32 s7, s3, s10
	s_add_i32 s11, s3, 1
	s_sub_i32 s7, s12, s7
	s_delay_alu instid0(SALU_CYCLE_1)
	s_sub_i32 s12, s7, s10
	s_cmp_ge_u32 s7, s10
	s_cselect_b32 s3, s11, s3
	s_cselect_b32 s7, s12, s7
	s_add_i32 s12, s3, 1
	s_cmp_ge_u32 s7, s10
	s_mov_b32 s11, 0
	s_cselect_b32 s10, s12, s3
	s_delay_alu instid0(SALU_CYCLE_1)
	v_dual_mov_b32 v1, s10 :: v_dual_mov_b32 v2, s11
.LBB82_33:
	s_delay_alu instid0(VALU_DEP_1) | instskip(NEXT) | instid1(VALU_DEP_2)
	v_add_co_u32 v1, vcc_lo, v1, v31
	v_add_co_ci_u32_e32 v2, vcc_lo, 0, v2, vcc_lo
	s_branch .LBB82_36
.LBB82_34:
                                        ; implicit-def: $vgpr1_vgpr2
	s_cbranch_execz .LBB82_36
; %bb.35:
	v_mul_lo_u32 v1, v31, s4
	s_delay_alu instid0(VALU_DEP_1) | instskip(SKIP_1) | instid1(VALU_DEP_2)
	v_ashrrev_i32_e32 v2, 31, v1
	v_add_co_u32 v1, vcc_lo, v1, s20
	v_add_co_ci_u32_e32 v2, vcc_lo, 0, v2, vcc_lo
.LBB82_36:
	s_mov_b32 s3, exec_lo
.LBB82_37:
	s_or_b32 exec_lo, exec_lo, s14
	s_delay_alu instid0(SALU_CYCLE_1)
	s_and_b32 vcc_lo, exec_lo, s15
	s_cbranch_vccz .LBB82_41
.LBB82_38:
	v_mov_b32_dpp v1, v29 quad_perm:[1,0,3,2] row_mask:0xf bank_mask:0xf
	s_delay_alu instid0(VALU_DEP_1) | instskip(SKIP_1) | instid1(VALU_DEP_1)
	v_cmp_gt_f32_e32 vcc_lo, v29, v1
	v_cndmask_b32_e32 v1, v1, v29, vcc_lo
	v_mov_b32_dpp v2, v1 quad_perm:[2,3,0,1] row_mask:0xf bank_mask:0xf
	s_delay_alu instid0(VALU_DEP_1) | instskip(SKIP_1) | instid1(VALU_DEP_1)
	v_cmp_gt_f32_e32 vcc_lo, v1, v2
	v_cndmask_b32_e32 v1, v2, v1, vcc_lo
	v_mov_b32_dpp v2, v1 row_xmask:7 row_mask:0xf bank_mask:0xf
	s_delay_alu instid0(VALU_DEP_1) | instskip(SKIP_1) | instid1(VALU_DEP_1)
	v_cmp_gt_f32_e32 vcc_lo, v1, v2
	v_cndmask_b32_e32 v1, v2, v1, vcc_lo
	v_mov_b32_dpp v2, v1 row_xmask:15 row_mask:0xf bank_mask:0xf
	s_delay_alu instid0(VALU_DEP_1)
	v_cmp_gt_f32_e32 vcc_lo, v1, v2
	s_and_saveexec_b32 s3, s2
	s_cbranch_execz .LBB82_40
; %bb.39:
	v_cndmask_b32_e32 v1, v2, v1, vcc_lo
	v_lshrrev_b32_e32 v2, 3, v0
	s_mov_b32 s2, 0x76543210
	s_delay_alu instid0(VALU_DEP_1) | instskip(NEXT) | instid1(VALU_DEP_3)
	v_and_b32_e32 v2, 0x7c, v2
	v_permlanex16_b32 v29, v1, s2, 0xfedcba98 op_sel:[1,1]
	s_delay_alu instid0(VALU_DEP_1)
	v_cmp_gt_f32_e32 vcc_lo, v1, v29
	v_cndmask_b32_e32 v1, v29, v1, vcc_lo
	ds_store_b32 v2, v1
.LBB82_40:
	s_or_b32 exec_lo, exec_lo, s3
	s_waitcnt lgkmcnt(0)
	s_barrier
	buffer_gl0_inv
	ds_load_b32 v1, v14
	v_cmp_eq_u32_e64 s3, 0, v0
	s_waitcnt lgkmcnt(0)
	v_mov_b32_dpp v2, v1 quad_perm:[1,0,3,2] row_mask:0xf bank_mask:0xf
	s_delay_alu instid0(VALU_DEP_1) | instskip(SKIP_1) | instid1(VALU_DEP_1)
	v_cmp_gt_f32_e32 vcc_lo, v1, v2
	v_cndmask_b32_e32 v1, v2, v1, vcc_lo
	v_mov_b32_dpp v2, v1 quad_perm:[2,3,0,1] row_mask:0xf bank_mask:0xf
	s_delay_alu instid0(VALU_DEP_1) | instskip(SKIP_1) | instid1(VALU_DEP_1)
	v_cmp_gt_f32_e32 vcc_lo, v1, v2
	v_cndmask_b32_e32 v1, v2, v1, vcc_lo
	v_mov_b32_dpp v2, v1 row_xmask:7 row_mask:0xf bank_mask:0xf
	s_delay_alu instid0(VALU_DEP_1) | instskip(SKIP_1) | instid1(VALU_DEP_1)
	v_cmp_gt_f32_e32 vcc_lo, v1, v2
	v_cndmask_b32_e32 v1, v2, v1, vcc_lo
	v_dual_mul_f32 v30, 0x3b124925, v1 :: v_dual_mov_b32 v1, s20
	v_mov_b32_e32 v2, s21
.LBB82_41:
	s_and_saveexec_b32 s2, s3
	s_cbranch_execz .LBB82_43
; %bb.42:
	s_delay_alu instid0(VALU_DEP_1) | instskip(NEXT) | instid1(VALU_DEP_1)
	v_lshlrev_b64 v[0:1], 2, v[1:2]
	v_add_co_u32 v0, vcc_lo, s8, v0
	s_delay_alu instid0(VALU_DEP_2)
	v_add_co_ci_u32_e32 v1, vcc_lo, s9, v1, vcc_lo
	global_store_b32 v[0:1], v30, off
.LBB82_43:
	s_or_b32 exec_lo, exec_lo, s2
	;;#ASMSTART
	v_rcp_f32 v2, v30
	;;#ASMEND
	v_dual_mul_f32 v0, v27, v2 :: v_dual_mov_b32 v27, 0x43e00000
	v_dual_mul_f32 v1, v28, v2 :: v_dual_mov_b32 v14, 0xc3e00000
	v_mul_f32_e32 v25, v25, v2
	v_mul_f32_e32 v26, v26, v2
	;;#ASMSTART
	v_med3_f32 v0, v0, v14, v27
v_med3_f32 v1, v1, v14, v27
v_cvt_pk_fp8_f32 v28, v0, v1
	;;#ASMEND
	;;#ASMSTART
	v_med3_f32 v25, v25, v14, v27
v_med3_f32 v26, v26, v14, v27
v_cvt_pk_fp8_f32 v0, v25, v26
	;;#ASMEND
	v_perm_b32 v1, v0, v28, 0x5040100
	s_load_b64 s[0:1], s[0:1], 0x0
	v_and_b32_e32 v0, 0xffffff00, v0
	s_add_i32 s2, s5, 3
	v_mul_f32_e32 v24, v24, v2
	v_lshrrev_b32_e32 v25, 16, v1
	s_ashr_i32 s3, s2, 31
	v_mul_f32_e32 v21, v21, v2
	s_lshr_b32 s3, s3, 30
	s_delay_alu instid0(VALU_DEP_2)
	v_dual_mul_f32 v22, v22, v2 :: v_dual_and_b32 v25, 0xff, v25
	s_add_i32 s2, s2, s3
	s_ashr_i32 s3, s6, 31
	s_mul_hi_u32 s4, s6, s20
	s_mul_i32 s3, s3, s20
	v_or_b32_e32 v0, v25, v0
	v_mul_f32_e32 v23, v23, v2
	s_add_i32 s4, s4, s3
	s_mul_i32 s3, s6, s20
	s_and_b32 s2, s2, -4
	v_lshlrev_b32_e32 v0, 16, v0
	;;#ASMSTART
	v_med3_f32 v23, v23, v14, v27
v_med3_f32 v24, v24, v14, v27
v_cvt_pk_fp8_f32 v25, v23, v24
	;;#ASMEND
	;;#ASMSTART
	v_med3_f32 v21, v21, v14, v27
v_med3_f32 v22, v22, v14, v27
v_cvt_pk_fp8_f32 v23, v21, v22
	;;#ASMEND
	v_lshlrev_b32_e32 v21, 16, v23
	s_waitcnt lgkmcnt(0)
	s_add_u32 s0, s0, s3
	v_and_or_b32 v0, 0xffff, v1, v0
	s_addc_u32 s1, s1, s4
	s_mov_b32 s3, -1
	v_and_or_b32 v1, 0xffff, v25, v21
	s_and_b32 s1, s1, 0xffff
	v_mul_f32_e32 v19, v19, v2
	v_mul_f32_e32 v20, v20, v2
	;; [unrolled: 1-line block ×4, first 2 shown]
	buffer_store_b64 v[0:1], v13, s[0:3], 0 offen
	;;#ASMSTART
	s_nop 0
	;;#ASMEND
	;;#ASMSTART
	v_med3_f32 v19, v19, v14, v27
v_med3_f32 v20, v20, v14, v27
v_cvt_pk_fp8_f32 v0, v19, v20
	;;#ASMEND
	;;#ASMSTART
	v_med3_f32 v17, v17, v14, v27
v_med3_f32 v18, v18, v14, v27
v_cvt_pk_fp8_f32 v1, v17, v18
	;;#ASMEND
	v_perm_b32 v0, v1, v0, 0x5040100
	v_and_b32_e32 v1, 0xffffff00, v1
	v_mul_f32_e32 v15, v15, v2
	v_mul_f32_e32 v16, v16, v2
	;; [unrolled: 1-line block ×3, first 2 shown]
	v_lshrrev_b32_e32 v17, 16, v0
	v_mul_f32_e32 v12, v12, v2
	s_movk_i32 s4, 0x100
	v_mul_f32_e32 v10, v10, v2
	v_mul_f32_e32 v9, v9, v2
	v_and_b32_e32 v17, 0xff, v17
	v_mul_f32_e32 v7, v7, v2
	v_mul_f32_e32 v8, v8, v2
	;; [unrolled: 1-line block ×4, first 2 shown]
	v_or_b32_e32 v1, v17, v1
	;;#ASMSTART
	v_med3_f32 v15, v15, v14, v27
v_med3_f32 v16, v16, v14, v27
v_cvt_pk_fp8_f32 v17, v15, v16
	;;#ASMEND
	;;#ASMSTART
	v_med3_f32 v11, v11, v14, v27
v_med3_f32 v12, v12, v14, v27
v_cvt_pk_fp8_f32 v15, v11, v12
	;;#ASMEND
	v_lshlrev_b32_e32 v11, 16, v15
	s_delay_alu instid0(VALU_DEP_2) | instskip(SKIP_1) | instid1(VALU_DEP_3)
	v_dual_mul_f32 v3, v3, v2 :: v_dual_lshlrev_b32 v12, 16, v1
	v_mul_f32_e32 v2, v4, v2
	v_and_or_b32 v1, 0xffff, v17, v11
	s_delay_alu instid0(VALU_DEP_3)
	v_and_or_b32 v0, 0xffff, v0, v12
	buffer_store_b64 v[0:1], v13, s[0:3], s4 offen
	;;#ASMSTART
	s_nop 0
	;;#ASMEND
	;;#ASMSTART
	v_med3_f32 v10, v10, v14, v27
v_med3_f32 v9, v9, v14, v27
v_cvt_pk_fp8_f32 v0, v10, v9
	;;#ASMEND
	;;#ASMSTART
	v_med3_f32 v7, v7, v14, v27
v_med3_f32 v8, v8, v14, v27
v_cvt_pk_fp8_f32 v1, v7, v8
	;;#ASMEND
	v_perm_b32 v0, v1, v0, 0x5040100
	v_and_b32_e32 v1, 0xffffff00, v1
	;;#ASMSTART
	v_med3_f32 v6, v6, v14, v27
v_med3_f32 v5, v5, v14, v27
v_cvt_pk_fp8_f32 v4, v6, v5
	;;#ASMEND
	;;#ASMSTART
	v_med3_f32 v3, v3, v14, v27
v_med3_f32 v2, v2, v14, v27
v_cvt_pk_fp8_f32 v5, v3, v2
	;;#ASMEND
	v_lshlrev_b32_e32 v2, 16, v5
	v_lshrrev_b32_e32 v7, 16, v0
	s_movk_i32 s4, 0x200
	s_delay_alu instid0(VALU_DEP_1) | instskip(NEXT) | instid1(VALU_DEP_1)
	v_and_b32_e32 v7, 0xff, v7
	v_or_b32_e32 v1, v7, v1
	s_delay_alu instid0(VALU_DEP_1) | instskip(SKIP_1) | instid1(VALU_DEP_2)
	v_lshlrev_b32_e32 v3, 16, v1
	v_and_or_b32 v1, 0xffff, v4, v2
	v_and_or_b32 v0, 0xffff, v0, v3
	buffer_store_b64 v[0:1], v13, s[0:3], s4 offen
	;;#ASMSTART
	s_nop 0
	;;#ASMEND
.LBB82_44:
	s_nop 0
	s_sendmsg sendmsg(MSG_DEALLOC_VGPRS)
	s_endpgm
.LBB82_45:
                                        ; implicit-def: $vgpr1_vgpr2
	s_branch .LBB82_32
	.section	.rodata,"a",@progbits
	.p2align	6, 0x0
	.amdhsa_kernel _ZN5aiter24add_rmsnorm_quant_kernelItDB8_Li256ELi24ELb0ELb1ELb1ELi1EEEvPT0_PT_PfS5_S5_S5_diiiiiiib
		.amdhsa_group_segment_fixed_size 64
		.amdhsa_private_segment_fixed_size 0
		.amdhsa_kernarg_size 88
		.amdhsa_user_sgpr_count 15
		.amdhsa_user_sgpr_dispatch_ptr 0
		.amdhsa_user_sgpr_queue_ptr 0
		.amdhsa_user_sgpr_kernarg_segment_ptr 1
		.amdhsa_user_sgpr_dispatch_id 0
		.amdhsa_user_sgpr_private_segment_size 0
		.amdhsa_wavefront_size32 1
		.amdhsa_uses_dynamic_stack 0
		.amdhsa_enable_private_segment 0
		.amdhsa_system_sgpr_workgroup_id_x 1
		.amdhsa_system_sgpr_workgroup_id_y 0
		.amdhsa_system_sgpr_workgroup_id_z 0
		.amdhsa_system_sgpr_workgroup_info 0
		.amdhsa_system_vgpr_workitem_id 0
		.amdhsa_next_free_vgpr 59
		.amdhsa_next_free_sgpr 29
		.amdhsa_reserve_vcc 1
		.amdhsa_float_round_mode_32 0
		.amdhsa_float_round_mode_16_64 0
		.amdhsa_float_denorm_mode_32 3
		.amdhsa_float_denorm_mode_16_64 3
		.amdhsa_dx10_clamp 1
		.amdhsa_ieee_mode 1
		.amdhsa_fp16_overflow 0
		.amdhsa_workgroup_processor_mode 1
		.amdhsa_memory_ordered 1
		.amdhsa_forward_progress 0
		.amdhsa_shared_vgpr_count 0
		.amdhsa_exception_fp_ieee_invalid_op 0
		.amdhsa_exception_fp_denorm_src 0
		.amdhsa_exception_fp_ieee_div_zero 0
		.amdhsa_exception_fp_ieee_overflow 0
		.amdhsa_exception_fp_ieee_underflow 0
		.amdhsa_exception_fp_ieee_inexact 0
		.amdhsa_exception_int_div_zero 0
	.end_amdhsa_kernel
	.section	.text._ZN5aiter24add_rmsnorm_quant_kernelItDB8_Li256ELi24ELb0ELb1ELb1ELi1EEEvPT0_PT_PfS5_S5_S5_diiiiiiib,"axG",@progbits,_ZN5aiter24add_rmsnorm_quant_kernelItDB8_Li256ELi24ELb0ELb1ELb1ELi1EEEvPT0_PT_PfS5_S5_S5_diiiiiiib,comdat
.Lfunc_end82:
	.size	_ZN5aiter24add_rmsnorm_quant_kernelItDB8_Li256ELi24ELb0ELb1ELb1ELi1EEEvPT0_PT_PfS5_S5_S5_diiiiiiib, .Lfunc_end82-_ZN5aiter24add_rmsnorm_quant_kernelItDB8_Li256ELi24ELb0ELb1ELb1ELi1EEEvPT0_PT_PfS5_S5_S5_diiiiiiib
                                        ; -- End function
	.section	.AMDGPU.csdata,"",@progbits
; Kernel info:
; codeLenInByte = 5164
; NumSgprs: 31
; NumVgprs: 59
; ScratchSize: 0
; MemoryBound: 0
; FloatMode: 240
; IeeeMode: 1
; LDSByteSize: 64 bytes/workgroup (compile time only)
; SGPRBlocks: 3
; VGPRBlocks: 7
; NumSGPRsForWavesPerEU: 31
; NumVGPRsForWavesPerEU: 59
; Occupancy: 16
; WaveLimiterHint : 0
; COMPUTE_PGM_RSRC2:SCRATCH_EN: 0
; COMPUTE_PGM_RSRC2:USER_SGPR: 15
; COMPUTE_PGM_RSRC2:TRAP_HANDLER: 0
; COMPUTE_PGM_RSRC2:TGID_X_EN: 1
; COMPUTE_PGM_RSRC2:TGID_Y_EN: 0
; COMPUTE_PGM_RSRC2:TGID_Z_EN: 0
; COMPUTE_PGM_RSRC2:TIDIG_COMP_CNT: 0
	.section	.text._ZN5aiter24add_rmsnorm_quant_kernelIDF16_DB8_Li256ELi24ELb0ELb1ELb0ELi1EEEvPT0_PT_PfS5_S5_S5_diiiiiiib,"axG",@progbits,_ZN5aiter24add_rmsnorm_quant_kernelIDF16_DB8_Li256ELi24ELb0ELb1ELb0ELi1EEEvPT0_PT_PfS5_S5_S5_diiiiiiib,comdat
	.protected	_ZN5aiter24add_rmsnorm_quant_kernelIDF16_DB8_Li256ELi24ELb0ELb1ELb0ELi1EEEvPT0_PT_PfS5_S5_S5_diiiiiiib ; -- Begin function _ZN5aiter24add_rmsnorm_quant_kernelIDF16_DB8_Li256ELi24ELb0ELb1ELb0ELi1EEEvPT0_PT_PfS5_S5_S5_diiiiiiib
	.globl	_ZN5aiter24add_rmsnorm_quant_kernelIDF16_DB8_Li256ELi24ELb0ELb1ELb0ELi1EEEvPT0_PT_PfS5_S5_S5_diiiiiiib
	.p2align	8
	.type	_ZN5aiter24add_rmsnorm_quant_kernelIDF16_DB8_Li256ELi24ELb0ELb1ELb0ELi1EEEvPT0_PT_PfS5_S5_S5_diiiiiiib,@function
_ZN5aiter24add_rmsnorm_quant_kernelIDF16_DB8_Li256ELi24ELb0ELb1ELb0ELi1EEEvPT0_PT_PfS5_S5_S5_diiiiiiib: ; @_ZN5aiter24add_rmsnorm_quant_kernelIDF16_DB8_Li256ELi24ELb0ELb1ELb0ELi1EEEvPT0_PT_PfS5_S5_S5_diiiiiiib
; %bb.0:
	s_load_b128 s[4:7], s[0:1], 0x38
	s_mov_b32 s20, s15
	s_mov_b32 s21, 0
	s_waitcnt lgkmcnt(0)
	s_ashr_i32 s3, s4, 31
	s_mov_b32 s2, s4
	s_delay_alu instid0(SALU_CYCLE_1) | instskip(NEXT) | instid1(VALU_DEP_1)
	v_cmp_ge_i64_e64 s2, s[20:21], s[2:3]
	s_and_b32 vcc_lo, exec_lo, s2
	s_cbranch_vccnz .LBB83_44
; %bb.1:
	s_clause 0x1
	s_load_b128 s[8:11], s[0:1], 0x10
	s_load_b128 s[16:19], s[0:1], 0x28
	s_ashr_i32 s2, s6, 31
	s_mul_hi_u32 s3, s6, s20
	s_mul_i32 s7, s2, s20
	s_mul_i32 s2, s6, s20
	s_add_i32 s3, s3, s7
	v_mul_u32_u24_e32 v1, 48, v0
	s_lshl_b64 s[2:3], s[2:3], 1
	s_mov_b32 s15, -1
	v_and_b32_e32 v39, 31, v0
	s_mov_b32 s27, s15
	s_waitcnt lgkmcnt(0)
	s_add_u32 s12, s10, s2
	s_addc_u32 s2, s11, s3
	s_add_i32 s3, s5, 1
	s_and_b32 s13, s2, 0xffff
	s_lshr_b32 s6, s3, 31
	s_mov_b32 s24, s16
	s_add_i32 s3, s3, s6
	s_and_b32 s25, s17, 0xffff
	s_lshl_b32 s3, s3, 1
	v_cmp_eq_u32_e64 s2, 31, v39
	s_and_b32 s14, s3, -4
	s_clause 0x2
	buffer_load_b128 v[17:20], v1, s[12:15], 0 offen
	buffer_load_b128 v[21:24], v1, s[12:15], 16 offen
	;; [unrolled: 1-line block ×3, first 2 shown]
	s_mov_b32 s26, s14
	s_clause 0x2
	buffer_load_b128 v[9:12], v1, s[24:27], 0 offen
	buffer_load_b128 v[5:8], v1, s[24:27], 16 offen
	;; [unrolled: 1-line block ×3, first 2 shown]
	s_waitcnt vmcnt(5)
	v_lshrrev_b32_e32 v13, 16, v17
	v_lshrrev_b32_e32 v14, 16, v18
	v_cvt_f32_f16_e32 v16, v18
	v_lshrrev_b32_e32 v29, 16, v19
	v_lshrrev_b32_e32 v30, 16, v20
	v_cvt_f32_f16_e32 v15, v13
	v_cvt_f32_f16_e32 v38, v14
	s_waitcnt vmcnt(4)
	v_lshrrev_b32_e32 v31, 16, v21
	v_lshrrev_b32_e32 v33, 16, v22
	;; [unrolled: 1-line block ×3, first 2 shown]
	v_mul_f32_e32 v13, v15, v15
	s_waitcnt vmcnt(3)
	v_lshrrev_b32_e32 v41, 16, v25
	v_lshrrev_b32_e32 v42, 16, v26
	;; [unrolled: 1-line block ×3, first 2 shown]
	v_cvt_f32_f16_e32 v37, v29
	v_fma_mix_f32 v13, v17, v17, v13 op_sel_hi:[1,1,0]
	v_cvt_f32_f16_e32 v17, v17
	v_cvt_f32_f16_e32 v35, v30
	v_cvt_f32_f16_e32 v36, v31
	v_cvt_f32_f16_e32 v30, v42
	v_fma_mix_f32 v13, v18, v18, v13 op_sel_hi:[1,1,0]
	v_cvt_f32_f16_e32 v29, v43
	s_delay_alu instid0(VALU_DEP_2) | instskip(SKIP_1) | instid1(VALU_DEP_2)
	v_fma_mix_f32 v13, v18, v18, v13 op_sel:[1,1,0] op_sel_hi:[1,1,0]
	v_cvt_f32_f16_e32 v18, v19
	v_fma_mix_f32 v13, v19, v19, v13 op_sel_hi:[1,1,0]
	s_delay_alu instid0(VALU_DEP_1) | instskip(SKIP_1) | instid1(VALU_DEP_2)
	v_fma_mix_f32 v13, v19, v19, v13 op_sel:[1,1,0] op_sel_hi:[1,1,0]
	v_cvt_f32_f16_e32 v19, v20
	v_fma_mix_f32 v13, v20, v20, v13 op_sel_hi:[1,1,0]
	s_delay_alu instid0(VALU_DEP_1) | instskip(SKIP_1) | instid1(VALU_DEP_2)
	;; [unrolled: 4-line block ×5, first 2 shown]
	v_fma_mix_f32 v13, v23, v23, v13 op_sel:[1,1,0] op_sel_hi:[1,1,0]
	v_cvt_f32_f16_e32 v23, v24
	v_fma_mix_f32 v13, v24, v24, v13 op_sel_hi:[1,1,0]
	s_delay_alu instid0(VALU_DEP_1) | instskip(NEXT) | instid1(VALU_DEP_1)
	v_fma_mix_f32 v13, v24, v24, v13 op_sel:[1,1,0] op_sel_hi:[1,1,0]
	v_fma_mix_f32 v13, v25, v25, v13 op_sel_hi:[1,1,0]
	s_delay_alu instid0(VALU_DEP_1) | instskip(NEXT) | instid1(VALU_DEP_1)
	v_fma_mix_f32 v13, v25, v25, v13 op_sel:[1,1,0] op_sel_hi:[1,1,0]
	;; [unrolled: 3-line block ×5, first 2 shown]
	v_mov_b32_dpp v32, v13 quad_perm:[1,0,3,2] row_mask:0xf bank_mask:0xf
	s_delay_alu instid0(VALU_DEP_1)
	v_add_f32_e32 v13, v13, v32
	v_lshrrev_b32_e32 v32, 16, v24
	v_cvt_f32_f16_e32 v24, v25
	v_cvt_f32_f16_e32 v25, v26
	;; [unrolled: 1-line block ×3, first 2 shown]
	v_mov_b32_dpp v34, v13 quad_perm:[2,3,0,1] row_mask:0xf bank_mask:0xf
	v_cvt_f32_f16_e32 v27, v28
	v_lshrrev_b32_e32 v28, 16, v28
	v_cvt_f32_f16_e32 v31, v32
	v_cvt_f32_f16_e32 v32, v41
	v_add_f32_e32 v13, v13, v34
	v_cvt_f32_f16_e32 v34, v33
	v_cvt_f32_f16_e32 v33, v40
	;; [unrolled: 1-line block ×3, first 2 shown]
	s_delay_alu instid0(VALU_DEP_4) | instskip(NEXT) | instid1(VALU_DEP_1)
	v_mov_b32_dpp v14, v13 row_xmask:7 row_mask:0xf bank_mask:0xf
	v_add_f32_e32 v13, v13, v14
	s_delay_alu instid0(VALU_DEP_1)
	v_mov_b32_dpp v14, v13 row_xmask:15 row_mask:0xf bank_mask:0xf
	s_and_saveexec_b32 s3, s2
	s_cbranch_execz .LBB83_3
; %bb.2:
	s_delay_alu instid0(VALU_DEP_1) | instskip(SKIP_2) | instid1(VALU_DEP_2)
	v_add_f32_e32 v13, v13, v14
	s_mov_b32 s6, 0x76543210
	v_lshrrev_b32_e32 v14, 3, v0
	v_permlanex16_b32 v39, v13, s6, 0xfedcba98 op_sel:[1,1]
	s_delay_alu instid0(VALU_DEP_1)
	v_dual_add_f32 v13, v13, v39 :: v_dual_and_b32 v14, 0x7c, v14
	ds_store_b32 v14, v13 offset:32
.LBB83_3:
	s_or_b32 exec_lo, exec_lo, s3
	v_and_b32_e32 v13, 7, v0
	s_waitcnt vmcnt(0) lgkmcnt(0)
	s_barrier
	buffer_gl0_inv
	v_cvt_f32_i32_e32 v40, s5
	v_lshlrev_b32_e32 v14, 2, v13
	v_cvt_f32_f16_e32 v46, v7
	v_lshrrev_b32_e32 v7, 16, v7
	v_cvt_f32_f16_e32 v45, v6
	v_lshrrev_b32_e32 v6, 16, v6
	ds_load_b32 v13, v14 offset:32
	v_cvt_f32_f16_e32 v48, v8
	v_lshrrev_b32_e32 v8, 16, v8
	v_cvt_f32_f16_e32 v49, v2
	v_lshrrev_b32_e32 v2, 16, v2
	v_cvt_f32_f16_e32 v7, v7
	v_cvt_f32_f16_e32 v50, v3
	;; [unrolled: 1-line block ×5, first 2 shown]
	v_lshrrev_b32_e32 v3, 16, v3
	s_clause 0x1
	s_load_b64 s[6:7], s[0:1], 0x4c
	s_load_b32 s10, s[0:1], 0x54
	v_cvt_f32_f16_e32 v51, v4
	v_lshrrev_b32_e32 v4, 16, v4
	v_mov_b32_e32 v52, 0x2edbe6ff
	v_cvt_f32_f16_e32 v3, v3
	s_delay_alu instid0(VALU_DEP_3) | instskip(SKIP_2) | instid1(VALU_DEP_1)
	v_cvt_f32_f16_e32 v4, v4
	s_waitcnt lgkmcnt(0)
	v_mov_b32_dpp v39, v13 quad_perm:[1,0,3,2] row_mask:0xf bank_mask:0xf
	v_add_f32_e32 v13, v13, v39
	s_delay_alu instid0(VALU_DEP_1) | instskip(SKIP_1) | instid1(VALU_DEP_1)
	v_mov_b32_dpp v39, v13 quad_perm:[2,3,0,1] row_mask:0xf bank_mask:0xf
	s_cmp_lg_u32 s7, 0
	v_add_f32_e32 v13, v13, v39
	s_delay_alu instid0(VALU_DEP_1) | instskip(NEXT) | instid1(VALU_DEP_1)
	v_mov_b32_dpp v39, v13 row_xmask:7 row_mask:0xf bank_mask:0xf
	v_add_f32_e32 v13, v13, v39
	s_delay_alu instid0(VALU_DEP_1) | instskip(SKIP_1) | instid1(VALU_DEP_2)
	v_div_scale_f32 v39, null, v40, v40, v13
	v_div_scale_f32 v43, vcc_lo, v13, v40, v13
	v_rcp_f32_e32 v41, v39
	s_waitcnt_depctr 0xfff
	v_fma_f32 v42, -v39, v41, 1.0
	s_delay_alu instid0(VALU_DEP_1) | instskip(NEXT) | instid1(VALU_DEP_1)
	v_fmac_f32_e32 v41, v42, v41
	v_mul_f32_e32 v42, v43, v41
	s_delay_alu instid0(VALU_DEP_1) | instskip(NEXT) | instid1(VALU_DEP_1)
	v_fma_f32 v44, -v39, v42, v43
	v_fmac_f32_e32 v42, v44, v41
	v_cvt_f32_f16_e32 v44, v5
	v_lshrrev_b32_e32 v5, 16, v5
	s_delay_alu instid0(VALU_DEP_3) | instskip(SKIP_2) | instid1(VALU_DEP_4)
	v_fma_f32 v39, -v39, v42, v43
	v_cvt_f32_f16_e32 v43, v12
	v_lshrrev_b32_e32 v12, 16, v12
	v_cvt_f32_f16_e32 v5, v5
	s_delay_alu instid0(VALU_DEP_4)
	v_div_fmas_f32 v39, v39, v41, v42
	v_cvt_f32_f16_e32 v41, v10
	v_lshrrev_b32_e32 v10, 16, v10
	v_cvt_f32_f16_e32 v42, v11
	v_lshrrev_b32_e32 v11, 16, v11
	v_div_fixup_f32 v13, v39, v40, v13
	v_cvt_f32_f16_e32 v12, v12
	v_cvt_f32_f16_e32 v10, v10
	s_delay_alu instid0(VALU_DEP_4) | instskip(NEXT) | instid1(VALU_DEP_4)
	v_cvt_f32_f16_e32 v11, v11
	v_cvt_f64_f32_e32 v[39:40], v13
	v_mul_u32_u24_e32 v13, 24, v0
	s_delay_alu instid0(VALU_DEP_2) | instskip(NEXT) | instid1(VALU_DEP_1)
	v_add_f64 v[39:40], v[39:40], s[18:19]
	v_cvt_f32_f64_e32 v39, v[39:40]
	v_cvt_f32_f16_e32 v40, v9
	v_lshrrev_b32_e32 v9, 16, v9
	s_delay_alu instid0(VALU_DEP_1) | instskip(NEXT) | instid1(VALU_DEP_4)
	v_cvt_f32_f16_e32 v9, v9
	v_mul_f32_e32 v47, 0x4b800000, v39
	v_cmp_gt_f32_e32 vcc_lo, 0x800000, v39
	s_delay_alu instid0(VALU_DEP_2) | instskip(SKIP_2) | instid1(VALU_DEP_3)
	v_cndmask_b32_e32 v39, v39, v47, vcc_lo
	v_cvt_f32_f16_e32 v47, v1
	v_lshrrev_b32_e32 v1, 16, v1
	v_rsq_f32_e32 v39, v39
	s_delay_alu instid0(VALU_DEP_1) | instskip(SKIP_2) | instid1(VALU_DEP_1)
	v_cvt_f32_f16_e32 v1, v1
	s_waitcnt_depctr 0xfff
	v_mul_f32_e32 v53, 0x45800000, v39
	v_cndmask_b32_e32 v39, v39, v53, vcc_lo
	s_delay_alu instid0(VALU_DEP_1) | instskip(SKIP_1) | instid1(VALU_DEP_2)
	v_mul_f32_e32 v37, v39, v37
	v_mul_f32_e32 v56, v39, v24
	;; [unrolled: 1-line block ×17, first 2 shown]
	v_dual_mul_f32 v25, v16, v41 :: v_dual_mul_f32 v54, v39, v22
	v_dual_mul_f32 v26, v38, v10 :: v_dual_mul_f32 v55, v39, v23
	v_mul_f32_e32 v23, v18, v42
	v_dual_mul_f32 v15, v39, v15 :: v_dual_mul_f32 v18, v34, v6
	v_mul_f32_e32 v59, v39, v27
	;; [unrolled: 2-line block ×3, first 2 shown]
	v_mul_f32_e32 v12, v31, v8
	v_dual_mul_f32 v8, v30, v2 :: v_dual_mul_f32 v21, v19, v43
	v_mul_f32_e32 v19, v20, v44
	v_mul_f32_e32 v20, v36, v5
	;; [unrolled: 1-line block ×6, first 2 shown]
	v_and_b32_e32 v36, 0x7fffffff, v20
	v_dual_mul_f32 v28, v15, v9 :: v_dual_mul_f32 v15, v54, v46
	s_delay_alu instid0(VALU_DEP_4) | instskip(SKIP_2) | instid1(VALU_DEP_4)
	v_mul_f32_e32 v5, v29, v3
	v_mul_f32_e32 v9, v32, v1
	v_and_b32_e32 v1, 0x7fffffff, v27
	v_and_b32_e32 v2, 0x7fffffff, v28
	v_mul_f32_e32 v16, v33, v7
	v_dual_mul_f32 v10, v56, v47 :: v_dual_mul_f32 v17, v53, v45
	;;#ASMSTART
	v_max3_f32 v1, v52, v1, v2

	;;#ASMEND
	v_and_b32_e32 v29, 0x7fffffff, v25
	v_and_b32_e32 v30, 0x7fffffff, v26
	;;#ASMSTART
	v_max3_f32 v1, v1, v29, v30

	;;#ASMEND
	v_dual_mul_f32 v11, v55, v48 :: v_dual_and_b32 v48, 0x7fffffff, v5
	v_and_b32_e32 v31, 0x7fffffff, v23
	v_and_b32_e32 v32, 0x7fffffff, v24
	;; [unrolled: 1-line block ×3, first 2 shown]
	v_mul_f32_e32 v4, v39, v4
	;;#ASMSTART
	v_max3_f32 v1, v1, v31, v32

	;;#ASMEND
	v_and_b32_e32 v34, 0x7fffffff, v22
	v_and_b32_e32 v40, 0x7fffffff, v16
	;; [unrolled: 1-line block ×3, first 2 shown]
	;;#ASMSTART
	v_max3_f32 v1, v1, v33, v34

	;;#ASMEND
	v_mul_f32_e32 v7, v57, v49
	v_and_b32_e32 v35, 0x7fffffff, v19
	;;#ASMSTART
	v_max3_f32 v1, v1, v35, v36

	;;#ASMEND
	v_and_b32_e32 v37, 0x7fffffff, v17
	v_dual_mul_f32 v3, v59, v51 :: v_dual_and_b32 v38, 0x7fffffff, v18
	v_and_b32_e32 v42, 0x7fffffff, v12
	;;#ASMSTART
	v_max3_f32 v1, v1, v37, v38

	;;#ASMEND
	v_and_b32_e32 v39, 0x7fffffff, v15
	;;#ASMSTART
	v_max3_f32 v1, v1, v39, v40

	;;#ASMEND
	v_and_b32_e32 v41, 0x7fffffff, v11
	;;#ASMSTART
	v_max3_f32 v1, v1, v41, v42

	;;#ASMEND
	v_and_b32_e32 v43, 0x7fffffff, v10
	;;#ASMSTART
	v_max3_f32 v1, v1, v43, v44

	;;#ASMEND
	v_and_b32_e32 v45, 0x7fffffff, v7
	v_and_b32_e32 v46, 0x7fffffff, v8
	;;#ASMSTART
	v_max3_f32 v1, v1, v45, v46

	;;#ASMEND
	v_and_b32_e32 v47, 0x7fffffff, v6
	v_and_b32_e32 v49, 0x7fffffff, v3
	;; [unrolled: 1-line block ×3, first 2 shown]
	;;#ASMSTART
	v_max3_f32 v1, v1, v47, v48

	;;#ASMEND
	;;#ASMSTART
	v_max3_f32 v29, v1, v49, v50

	;;#ASMEND
	s_cbranch_scc0 .LBB83_10
; %bb.4:
	s_mul_hi_i32 s3, s7, 0x2aaaaaab
	s_delay_alu instid0(SALU_CYCLE_1) | instskip(SKIP_1) | instid1(SALU_CYCLE_1)
	s_lshr_b32 s11, s3, 31
	s_ashr_i32 s3, s3, 2
	s_add_i32 s3, s3, s11
	s_delay_alu instid0(SALU_CYCLE_1)
	s_cmp_lt_i32 s3, 8
	s_cbranch_scc1 .LBB83_11
; %bb.5:
	s_cmp_lt_i32 s3, 16
	s_cbranch_scc1 .LBB83_12
; %bb.6:
	;; [unrolled: 3-line block ×3, first 2 shown]
	v_mov_b32_e32 v1, v29
	s_cmp_eq_u32 s3, 32
	s_cbranch_scc0 .LBB83_9
; %bb.8:
	s_delay_alu instid0(VALU_DEP_1) | instskip(SKIP_1) | instid1(VALU_DEP_1)
	v_mov_b32_dpp v1, v29 quad_perm:[1,0,3,2] row_mask:0xf bank_mask:0xf
	s_mov_b32 s11, 0x76543210
	v_cmp_gt_f32_e32 vcc_lo, v29, v1
	v_cndmask_b32_e32 v1, v1, v29, vcc_lo
	s_delay_alu instid0(VALU_DEP_1) | instskip(NEXT) | instid1(VALU_DEP_1)
	v_mov_b32_dpp v2, v1 quad_perm:[2,3,0,1] row_mask:0xf bank_mask:0xf
	v_cmp_gt_f32_e32 vcc_lo, v1, v2
	v_cndmask_b32_e32 v1, v2, v1, vcc_lo
	s_delay_alu instid0(VALU_DEP_1) | instskip(NEXT) | instid1(VALU_DEP_1)
	v_mov_b32_dpp v2, v1 row_xmask:7 row_mask:0xf bank_mask:0xf
	v_cmp_gt_f32_e32 vcc_lo, v1, v2
	v_cndmask_b32_e32 v1, v2, v1, vcc_lo
	s_delay_alu instid0(VALU_DEP_1) | instskip(NEXT) | instid1(VALU_DEP_1)
	v_mov_b32_dpp v2, v1 row_xmask:15 row_mask:0xf bank_mask:0xf
	v_cmp_gt_f32_e32 vcc_lo, v1, v2
	v_cndmask_b32_e32 v1, v2, v1, vcc_lo
	s_delay_alu instid0(VALU_DEP_1) | instskip(NEXT) | instid1(VALU_DEP_1)
	v_permlanex16_b32 v2, v1, s11, 0xfedcba98 op_sel:[1,1]
	v_cmp_gt_f32_e32 vcc_lo, v1, v2
	v_cndmask_b32_e32 v1, v2, v1, vcc_lo
.LBB83_9:
	s_mov_b32 s11, 0
	s_branch .LBB83_14
.LBB83_10:
	s_mov_b32 s3, 0
                                        ; implicit-def: $vgpr30
                                        ; implicit-def: $vgpr1_vgpr2
	s_and_b32 vcc_lo, exec_lo, s15
	s_cbranch_vccnz .LBB83_38
	s_branch .LBB83_41
.LBB83_11:
                                        ; implicit-def: $vgpr1
	s_branch .LBB83_21
.LBB83_12:
                                        ; implicit-def: $vgpr1
	s_branch .LBB83_18
.LBB83_13:
	s_mov_b32 s11, -1
                                        ; implicit-def: $vgpr1
.LBB83_14:
	s_delay_alu instid0(SALU_CYCLE_1)
	s_and_not1_b32 vcc_lo, exec_lo, s11
	s_cbranch_vccnz .LBB83_17
; %bb.15:
	v_mov_b32_e32 v1, v29
	s_cmp_eq_u32 s3, 16
	s_cbranch_scc0 .LBB83_17
; %bb.16:
	s_delay_alu instid0(VALU_DEP_1) | instskip(NEXT) | instid1(VALU_DEP_1)
	v_mov_b32_dpp v1, v29 quad_perm:[1,0,3,2] row_mask:0xf bank_mask:0xf
	v_cmp_gt_f32_e32 vcc_lo, v29, v1
	v_cndmask_b32_e32 v1, v1, v29, vcc_lo
	s_delay_alu instid0(VALU_DEP_1) | instskip(NEXT) | instid1(VALU_DEP_1)
	v_mov_b32_dpp v2, v1 quad_perm:[2,3,0,1] row_mask:0xf bank_mask:0xf
	v_cmp_gt_f32_e32 vcc_lo, v1, v2
	v_cndmask_b32_e32 v1, v2, v1, vcc_lo
	s_delay_alu instid0(VALU_DEP_1) | instskip(NEXT) | instid1(VALU_DEP_1)
	v_mov_b32_dpp v2, v1 row_half_mirror row_mask:0xf bank_mask:0xf
	v_cmp_gt_f32_e32 vcc_lo, v1, v2
	v_cndmask_b32_e32 v1, v2, v1, vcc_lo
	s_delay_alu instid0(VALU_DEP_1) | instskip(NEXT) | instid1(VALU_DEP_1)
	v_mov_b32_dpp v2, v1 row_mirror row_mask:0xf bank_mask:0xf
	v_cmp_gt_f32_e32 vcc_lo, v1, v2
	v_cndmask_b32_e32 v1, v2, v1, vcc_lo
.LBB83_17:
	s_cbranch_execnz .LBB83_20
.LBB83_18:
	v_mov_b32_e32 v1, v29
	s_cmp_eq_u32 s3, 8
	s_cbranch_scc0 .LBB83_20
; %bb.19:
	s_delay_alu instid0(VALU_DEP_1) | instskip(NEXT) | instid1(VALU_DEP_1)
	v_mov_b32_dpp v1, v29 quad_perm:[1,0,3,2] row_mask:0xf bank_mask:0xf
	v_cmp_gt_f32_e32 vcc_lo, v29, v1
	v_cndmask_b32_e32 v1, v1, v29, vcc_lo
	s_delay_alu instid0(VALU_DEP_1) | instskip(NEXT) | instid1(VALU_DEP_1)
	v_mov_b32_dpp v2, v1 quad_perm:[2,3,0,1] row_mask:0xf bank_mask:0xf
	v_cmp_gt_f32_e32 vcc_lo, v1, v2
	v_cndmask_b32_e32 v1, v2, v1, vcc_lo
	s_delay_alu instid0(VALU_DEP_1) | instskip(NEXT) | instid1(VALU_DEP_1)
	v_mov_b32_dpp v2, v1 row_half_mirror row_mask:0xf bank_mask:0xf
	v_cmp_gt_f32_e32 vcc_lo, v1, v2
	v_cndmask_b32_e32 v1, v2, v1, vcc_lo
.LBB83_20:
	s_cbranch_execnz .LBB83_28
.LBB83_21:
	s_cmp_lt_i32 s3, 4
	s_cbranch_scc1 .LBB83_24
; %bb.22:
	v_mov_b32_e32 v1, v29
	s_cmp_eq_u32 s3, 4
	s_cbranch_scc0 .LBB83_25
; %bb.23:
	s_delay_alu instid0(VALU_DEP_1) | instskip(NEXT) | instid1(VALU_DEP_1)
	v_mov_b32_dpp v1, v29 quad_perm:[1,0,3,2] row_mask:0xf bank_mask:0xf
	v_cmp_gt_f32_e32 vcc_lo, v29, v1
	v_cndmask_b32_e32 v1, v1, v29, vcc_lo
	s_delay_alu instid0(VALU_DEP_1) | instskip(NEXT) | instid1(VALU_DEP_1)
	v_mov_b32_dpp v2, v1 quad_perm:[2,3,0,1] row_mask:0xf bank_mask:0xf
	v_cmp_gt_f32_e32 vcc_lo, v1, v2
	v_cndmask_b32_e32 v1, v2, v1, vcc_lo
	s_cbranch_execz .LBB83_26
	s_branch .LBB83_28
.LBB83_24:
                                        ; implicit-def: $vgpr1
	s_branch .LBB83_26
.LBB83_25:
	s_cbranch_execnz .LBB83_28
.LBB83_26:
	v_mov_b32_e32 v1, v29
	s_cmp_lg_u32 s3, 2
	s_cbranch_scc1 .LBB83_28
; %bb.27:
	s_delay_alu instid0(VALU_DEP_1) | instskip(NEXT) | instid1(VALU_DEP_1)
	v_mov_b32_dpp v1, v29 quad_perm:[1,0,3,2] row_mask:0xf bank_mask:0xf
	v_cmp_gt_f32_e32 vcc_lo, v29, v1
	v_cndmask_b32_e32 v1, v1, v29, vcc_lo
.LBB83_28:
	v_cvt_f32_u32_e32 v2, s3
	s_sub_i32 s11, 0, s3
	s_mov_b32 s15, 0
	s_delay_alu instid0(VALU_DEP_1) | instskip(SKIP_2) | instid1(VALU_DEP_1)
	v_rcp_iflag_f32_e32 v2, v2
	s_waitcnt_depctr 0xfff
	v_mul_f32_e32 v2, 0x4f7ffffe, v2
	v_cvt_u32_f32_e32 v2, v2
	s_delay_alu instid0(VALU_DEP_1) | instskip(NEXT) | instid1(VALU_DEP_1)
	v_mul_lo_u32 v30, s11, v2
	v_mul_hi_u32 v30, v2, v30
	s_delay_alu instid0(VALU_DEP_1) | instskip(NEXT) | instid1(VALU_DEP_1)
	v_add_nc_u32_e32 v2, v2, v30
	v_mul_hi_u32 v2, v0, v2
	s_delay_alu instid0(VALU_DEP_1) | instskip(NEXT) | instid1(VALU_DEP_1)
	v_mul_lo_u32 v30, v2, s3
	v_sub_nc_u32_e32 v30, v0, v30
	s_delay_alu instid0(VALU_DEP_1) | instskip(SKIP_1) | instid1(VALU_DEP_2)
	v_subrev_nc_u32_e32 v32, s3, v30
	v_cmp_le_u32_e32 vcc_lo, s3, v30
	v_dual_cndmask_b32 v30, v30, v32 :: v_dual_add_nc_u32 v31, 1, v2
	s_delay_alu instid0(VALU_DEP_1) | instskip(NEXT) | instid1(VALU_DEP_2)
	v_cndmask_b32_e32 v2, v2, v31, vcc_lo
	v_cmp_le_u32_e32 vcc_lo, s3, v30
	s_delay_alu instid0(VALU_DEP_2) | instskip(NEXT) | instid1(VALU_DEP_1)
	v_dual_mul_f32 v30, 0x3b124925, v1 :: v_dual_add_nc_u32 v31, 1, v2
	v_cndmask_b32_e32 v31, v2, v31, vcc_lo
	v_cmp_gt_u32_e32 vcc_lo, s5, v13
	s_delay_alu instid0(VALU_DEP_2) | instskip(NEXT) | instid1(VALU_DEP_1)
	v_mul_lo_u32 v2, v31, s3
	v_sub_nc_u32_e32 v2, v0, v2
	s_delay_alu instid0(VALU_DEP_1) | instskip(NEXT) | instid1(VALU_DEP_1)
	v_cmp_eq_u32_e64 s3, 0, v2
                                        ; implicit-def: $vgpr1_vgpr2
	s_and_b32 s11, s3, vcc_lo
	s_mov_b32 s3, 0
	s_and_saveexec_b32 s12, s11
	s_delay_alu instid0(SALU_CYCLE_1)
	s_xor_b32 s14, exec_lo, s12
	s_cbranch_execz .LBB83_37
; %bb.29:
	s_bitcmp0_b32 s10, 0
	s_mov_b32 s16, 0
	s_cbranch_scc0 .LBB83_34
; %bb.30:
	s_ashr_i32 s3, s5, 31
	s_mul_hi_u32 s10, s5, s20
	s_mul_i32 s3, s3, s20
	s_mul_i32 s12, s5, s20
	s_add_i32 s13, s10, s3
	s_ashr_i32 s11, s7, 31
	s_mov_b32 s10, s7
	s_delay_alu instid0(SALU_CYCLE_1) | instskip(NEXT) | instid1(SALU_CYCLE_1)
	s_or_b64 s[18:19], s[12:13], s[10:11]
	s_mov_b32 s17, s19
	s_delay_alu instid0(SALU_CYCLE_1)
	s_cmp_lg_u64 s[16:17], 0
	s_cbranch_scc0 .LBB83_45
; %bb.31:
	s_add_u32 s18, s10, s11
	s_mov_b32 s16, s11
	s_mov_b32 s17, s11
	s_addc_u32 s19, s11, s11
	s_delay_alu instid0(SALU_CYCLE_1) | instskip(NEXT) | instid1(SALU_CYCLE_1)
	s_xor_b64 s[18:19], s[18:19], s[16:17]
	v_cvt_f32_u32_e32 v1, s18
	v_cvt_f32_u32_e32 v2, s19
	s_sub_u32 s11, 0, s18
	s_subb_u32 s22, 0, s19
	s_delay_alu instid0(VALU_DEP_1) | instskip(NEXT) | instid1(VALU_DEP_1)
	v_fmamk_f32 v1, v2, 0x4f800000, v1
	v_rcp_f32_e32 v1, v1
	s_waitcnt_depctr 0xfff
	v_mul_f32_e32 v1, 0x5f7ffffc, v1
	s_delay_alu instid0(VALU_DEP_1) | instskip(NEXT) | instid1(VALU_DEP_1)
	v_mul_f32_e32 v2, 0x2f800000, v1
	v_trunc_f32_e32 v2, v2
	s_delay_alu instid0(VALU_DEP_1) | instskip(SKIP_1) | instid1(VALU_DEP_2)
	v_fmamk_f32 v1, v2, 0xcf800000, v1
	v_cvt_u32_f32_e32 v2, v2
	v_cvt_u32_f32_e32 v1, v1
	s_delay_alu instid0(VALU_DEP_2) | instskip(NEXT) | instid1(VALU_DEP_2)
	v_readfirstlane_b32 s3, v2
	v_readfirstlane_b32 s7, v1
	s_delay_alu instid0(VALU_DEP_2) | instskip(NEXT) | instid1(VALU_DEP_1)
	s_mul_i32 s23, s11, s3
	s_mul_hi_u32 s25, s11, s7
	s_mul_i32 s24, s22, s7
	s_add_i32 s23, s25, s23
	s_mul_i32 s26, s11, s7
	s_add_i32 s23, s23, s24
	s_mul_hi_u32 s25, s7, s26
	s_mul_hi_u32 s27, s3, s26
	s_mul_i32 s24, s3, s26
	s_mul_hi_u32 s26, s7, s23
	s_mul_i32 s7, s7, s23
	s_mul_hi_u32 s28, s3, s23
	s_add_u32 s7, s25, s7
	s_addc_u32 s25, 0, s26
	s_add_u32 s7, s7, s24
	s_mul_i32 s23, s3, s23
	s_addc_u32 s7, s25, s27
	s_addc_u32 s24, s28, 0
	s_add_u32 s7, s7, s23
	s_addc_u32 s23, 0, s24
	v_add_co_u32 v1, s7, v1, s7
	s_delay_alu instid0(VALU_DEP_1) | instskip(SKIP_1) | instid1(VALU_DEP_1)
	s_cmp_lg_u32 s7, 0
	s_addc_u32 s3, s3, s23
	v_readfirstlane_b32 s7, v1
	s_mul_i32 s23, s11, s3
	s_delay_alu instid0(VALU_DEP_1)
	s_mul_hi_u32 s24, s11, s7
	s_mul_i32 s22, s22, s7
	s_add_i32 s23, s24, s23
	s_mul_i32 s11, s11, s7
	s_add_i32 s23, s23, s22
	s_mul_hi_u32 s24, s3, s11
	s_mul_i32 s25, s3, s11
	s_mul_hi_u32 s11, s7, s11
	s_mul_hi_u32 s26, s7, s23
	s_mul_i32 s7, s7, s23
	s_mul_hi_u32 s22, s3, s23
	s_add_u32 s7, s11, s7
	s_addc_u32 s11, 0, s26
	s_add_u32 s7, s7, s25
	s_mul_i32 s23, s3, s23
	s_addc_u32 s7, s11, s24
	s_addc_u32 s11, s22, 0
	s_add_u32 s7, s7, s23
	s_addc_u32 s11, 0, s11
	v_add_co_u32 v1, s7, v1, s7
	s_delay_alu instid0(VALU_DEP_1) | instskip(SKIP_2) | instid1(VALU_DEP_1)
	s_cmp_lg_u32 s7, 0
	s_addc_u32 s3, s3, s11
	s_ashr_i32 s22, s13, 31
	v_readfirstlane_b32 s7, v1
	s_add_u32 s24, s12, s22
	s_mov_b32 s23, s22
	s_addc_u32 s25, s13, s22
	s_delay_alu instid0(SALU_CYCLE_1) | instskip(NEXT) | instid1(SALU_CYCLE_1)
	s_xor_b64 s[24:25], s[24:25], s[22:23]
	s_mul_i32 s13, s24, s3
	s_mul_hi_u32 s26, s24, s7
	s_mul_hi_u32 s11, s24, s3
	;; [unrolled: 1-line block ×3, first 2 shown]
	s_mul_i32 s7, s25, s7
	s_add_u32 s13, s26, s13
	s_addc_u32 s11, 0, s11
	s_mul_hi_u32 s27, s25, s3
	s_add_u32 s7, s13, s7
	s_mul_i32 s3, s25, s3
	s_addc_u32 s7, s11, s28
	s_addc_u32 s11, s27, 0
	s_add_u32 s7, s7, s3
	s_addc_u32 s11, 0, s11
	s_mul_i32 s27, s18, s7
	s_mul_hi_u32 s3, s18, s7
	s_mul_i32 s26, s18, s11
	v_sub_co_u32 v1, s24, s24, s27
	s_mul_i32 s13, s19, s7
	s_add_i32 s3, s3, s26
	s_delay_alu instid0(SALU_CYCLE_1) | instskip(NEXT) | instid1(VALU_DEP_1)
	s_add_i32 s3, s3, s13
	v_sub_co_u32 v2, s26, v1, s18
	s_sub_i32 s13, s25, s3
	s_cmp_lg_u32 s24, 0
	s_subb_u32 s13, s13, s19
	s_cmp_lg_u32 s26, 0
	v_cmp_le_u32_e32 vcc_lo, s18, v2
	s_subb_u32 s13, s13, 0
	s_delay_alu instid0(SALU_CYCLE_1)
	s_cmp_ge_u32 s13, s19
	v_cndmask_b32_e64 v2, 0, -1, vcc_lo
	s_cselect_b32 s26, -1, 0
	s_cmp_eq_u32 s13, s19
	s_cselect_b32 vcc_lo, -1, 0
	s_add_u32 s13, s7, 1
	v_cndmask_b32_e32 v2, s26, v2, vcc_lo
	s_addc_u32 s26, s11, 0
	s_add_u32 s27, s7, 2
	s_addc_u32 s28, s11, 0
	s_cmp_lg_u32 s24, 0
	v_cmp_le_u32_e32 vcc_lo, s18, v1
	s_subb_u32 s3, s25, s3
	v_mov_b32_e32 v32, s27
	s_cmp_ge_u32 s3, s19
	v_cndmask_b32_e64 v1, 0, -1, vcc_lo
	s_cselect_b32 s18, -1, 0
	s_cmp_eq_u32 s3, s19
	v_cmp_ne_u32_e32 vcc_lo, 0, v2
	v_mov_b32_e32 v2, s28
	s_cselect_b32 s3, -1, 0
	s_xor_b64 s[16:17], s[22:23], s[16:17]
	v_cndmask_b32_e64 v1, s18, v1, s3
	v_cndmask_b32_e32 v32, s13, v32, vcc_lo
	v_cndmask_b32_e32 v2, s26, v2, vcc_lo
	s_delay_alu instid0(VALU_DEP_3) | instskip(NEXT) | instid1(VALU_DEP_2)
	v_cmp_ne_u32_e32 vcc_lo, 0, v1
	v_cndmask_b32_e32 v1, s11, v2, vcc_lo
	s_delay_alu instid0(VALU_DEP_4) | instskip(NEXT) | instid1(VALU_DEP_2)
	v_cndmask_b32_e32 v2, s7, v32, vcc_lo
	v_xor_b32_e32 v32, s17, v1
	s_delay_alu instid0(VALU_DEP_2) | instskip(NEXT) | instid1(VALU_DEP_1)
	v_xor_b32_e32 v2, s16, v2
	v_sub_co_u32 v1, vcc_lo, v2, s16
	s_delay_alu instid0(VALU_DEP_3)
	v_subrev_co_ci_u32_e32 v2, vcc_lo, s17, v32, vcc_lo
	s_cbranch_execnz .LBB83_33
.LBB83_32:
	v_cvt_f32_u32_e32 v1, s10
	s_sub_i32 s7, 0, s10
	s_delay_alu instid0(VALU_DEP_1) | instskip(SKIP_2) | instid1(VALU_DEP_1)
	v_rcp_iflag_f32_e32 v1, v1
	s_waitcnt_depctr 0xfff
	v_mul_f32_e32 v1, 0x4f7ffffe, v1
	v_cvt_u32_f32_e32 v1, v1
	s_delay_alu instid0(VALU_DEP_1) | instskip(NEXT) | instid1(VALU_DEP_1)
	v_readfirstlane_b32 s3, v1
	s_mul_i32 s7, s7, s3
	s_delay_alu instid0(SALU_CYCLE_1) | instskip(NEXT) | instid1(SALU_CYCLE_1)
	s_mul_hi_u32 s7, s3, s7
	s_add_i32 s3, s3, s7
	s_delay_alu instid0(SALU_CYCLE_1) | instskip(NEXT) | instid1(SALU_CYCLE_1)
	s_mul_hi_u32 s3, s12, s3
	s_mul_i32 s7, s3, s10
	s_add_i32 s11, s3, 1
	s_sub_i32 s7, s12, s7
	s_delay_alu instid0(SALU_CYCLE_1)
	s_sub_i32 s12, s7, s10
	s_cmp_ge_u32 s7, s10
	s_cselect_b32 s3, s11, s3
	s_cselect_b32 s7, s12, s7
	s_add_i32 s12, s3, 1
	s_cmp_ge_u32 s7, s10
	s_mov_b32 s11, 0
	s_cselect_b32 s10, s12, s3
	s_delay_alu instid0(SALU_CYCLE_1)
	v_dual_mov_b32 v1, s10 :: v_dual_mov_b32 v2, s11
.LBB83_33:
	s_delay_alu instid0(VALU_DEP_1) | instskip(NEXT) | instid1(VALU_DEP_2)
	v_add_co_u32 v1, vcc_lo, v1, v31
	v_add_co_ci_u32_e32 v2, vcc_lo, 0, v2, vcc_lo
	s_branch .LBB83_36
.LBB83_34:
                                        ; implicit-def: $vgpr1_vgpr2
	s_cbranch_execz .LBB83_36
; %bb.35:
	v_mul_lo_u32 v1, v31, s4
	s_delay_alu instid0(VALU_DEP_1) | instskip(SKIP_1) | instid1(VALU_DEP_2)
	v_ashrrev_i32_e32 v2, 31, v1
	v_add_co_u32 v1, vcc_lo, v1, s20
	v_add_co_ci_u32_e32 v2, vcc_lo, 0, v2, vcc_lo
.LBB83_36:
	s_mov_b32 s3, exec_lo
.LBB83_37:
	s_or_b32 exec_lo, exec_lo, s14
	s_delay_alu instid0(SALU_CYCLE_1)
	s_and_b32 vcc_lo, exec_lo, s15
	s_cbranch_vccz .LBB83_41
.LBB83_38:
	v_mov_b32_dpp v1, v29 quad_perm:[1,0,3,2] row_mask:0xf bank_mask:0xf
	s_delay_alu instid0(VALU_DEP_1) | instskip(SKIP_1) | instid1(VALU_DEP_1)
	v_cmp_gt_f32_e32 vcc_lo, v29, v1
	v_cndmask_b32_e32 v1, v1, v29, vcc_lo
	v_mov_b32_dpp v2, v1 quad_perm:[2,3,0,1] row_mask:0xf bank_mask:0xf
	s_delay_alu instid0(VALU_DEP_1) | instskip(SKIP_1) | instid1(VALU_DEP_1)
	v_cmp_gt_f32_e32 vcc_lo, v1, v2
	v_cndmask_b32_e32 v1, v2, v1, vcc_lo
	v_mov_b32_dpp v2, v1 row_xmask:7 row_mask:0xf bank_mask:0xf
	s_delay_alu instid0(VALU_DEP_1) | instskip(SKIP_1) | instid1(VALU_DEP_1)
	v_cmp_gt_f32_e32 vcc_lo, v1, v2
	v_cndmask_b32_e32 v1, v2, v1, vcc_lo
	v_mov_b32_dpp v2, v1 row_xmask:15 row_mask:0xf bank_mask:0xf
	s_delay_alu instid0(VALU_DEP_1)
	v_cmp_gt_f32_e32 vcc_lo, v1, v2
	s_and_saveexec_b32 s3, s2
	s_cbranch_execz .LBB83_40
; %bb.39:
	v_cndmask_b32_e32 v1, v2, v1, vcc_lo
	v_lshrrev_b32_e32 v2, 3, v0
	s_mov_b32 s2, 0x76543210
	s_delay_alu instid0(VALU_DEP_1) | instskip(NEXT) | instid1(VALU_DEP_3)
	v_and_b32_e32 v2, 0x7c, v2
	v_permlanex16_b32 v29, v1, s2, 0xfedcba98 op_sel:[1,1]
	s_delay_alu instid0(VALU_DEP_1)
	v_cmp_gt_f32_e32 vcc_lo, v1, v29
	v_cndmask_b32_e32 v1, v29, v1, vcc_lo
	ds_store_b32 v2, v1
.LBB83_40:
	s_or_b32 exec_lo, exec_lo, s3
	s_waitcnt lgkmcnt(0)
	s_barrier
	buffer_gl0_inv
	ds_load_b32 v1, v14
	v_cmp_eq_u32_e64 s3, 0, v0
	s_waitcnt lgkmcnt(0)
	v_mov_b32_dpp v2, v1 quad_perm:[1,0,3,2] row_mask:0xf bank_mask:0xf
	s_delay_alu instid0(VALU_DEP_1) | instskip(SKIP_1) | instid1(VALU_DEP_1)
	v_cmp_gt_f32_e32 vcc_lo, v1, v2
	v_cndmask_b32_e32 v1, v2, v1, vcc_lo
	v_mov_b32_dpp v2, v1 quad_perm:[2,3,0,1] row_mask:0xf bank_mask:0xf
	s_delay_alu instid0(VALU_DEP_1) | instskip(SKIP_1) | instid1(VALU_DEP_1)
	v_cmp_gt_f32_e32 vcc_lo, v1, v2
	v_cndmask_b32_e32 v1, v2, v1, vcc_lo
	v_mov_b32_dpp v2, v1 row_xmask:7 row_mask:0xf bank_mask:0xf
	s_delay_alu instid0(VALU_DEP_1) | instskip(SKIP_1) | instid1(VALU_DEP_1)
	v_cmp_gt_f32_e32 vcc_lo, v1, v2
	v_cndmask_b32_e32 v1, v2, v1, vcc_lo
	v_dual_mul_f32 v30, 0x3b124925, v1 :: v_dual_mov_b32 v1, s20
	v_mov_b32_e32 v2, s21
.LBB83_41:
	s_and_saveexec_b32 s2, s3
	s_cbranch_execz .LBB83_43
; %bb.42:
	s_delay_alu instid0(VALU_DEP_1) | instskip(NEXT) | instid1(VALU_DEP_1)
	v_lshlrev_b64 v[0:1], 2, v[1:2]
	v_add_co_u32 v0, vcc_lo, s8, v0
	s_delay_alu instid0(VALU_DEP_2)
	v_add_co_ci_u32_e32 v1, vcc_lo, s9, v1, vcc_lo
	global_store_b32 v[0:1], v30, off
.LBB83_43:
	s_or_b32 exec_lo, exec_lo, s2
	;;#ASMSTART
	v_rcp_f32 v2, v30
	;;#ASMEND
	v_dual_mul_f32 v0, v27, v2 :: v_dual_mov_b32 v27, 0x43e00000
	v_dual_mul_f32 v1, v28, v2 :: v_dual_mov_b32 v14, 0xc3e00000
	v_mul_f32_e32 v25, v25, v2
	v_mul_f32_e32 v26, v26, v2
	;;#ASMSTART
	v_med3_f32 v0, v0, v14, v27
v_med3_f32 v1, v1, v14, v27
v_cvt_pk_fp8_f32 v28, v0, v1
	;;#ASMEND
	;;#ASMSTART
	v_med3_f32 v25, v25, v14, v27
v_med3_f32 v26, v26, v14, v27
v_cvt_pk_fp8_f32 v0, v25, v26
	;;#ASMEND
	v_perm_b32 v1, v0, v28, 0x5040100
	s_load_b64 s[0:1], s[0:1], 0x0
	v_and_b32_e32 v0, 0xffffff00, v0
	s_add_i32 s2, s5, 3
	v_mul_f32_e32 v24, v24, v2
	v_lshrrev_b32_e32 v25, 16, v1
	s_ashr_i32 s3, s2, 31
	v_mul_f32_e32 v21, v21, v2
	s_lshr_b32 s3, s3, 30
	s_delay_alu instid0(VALU_DEP_2)
	v_dual_mul_f32 v22, v22, v2 :: v_dual_and_b32 v25, 0xff, v25
	s_add_i32 s2, s2, s3
	s_ashr_i32 s3, s6, 31
	s_mul_hi_u32 s4, s6, s20
	s_mul_i32 s3, s3, s20
	v_or_b32_e32 v0, v25, v0
	v_mul_f32_e32 v23, v23, v2
	s_add_i32 s4, s4, s3
	s_mul_i32 s3, s6, s20
	s_and_b32 s2, s2, -4
	v_lshlrev_b32_e32 v0, 16, v0
	;;#ASMSTART
	v_med3_f32 v23, v23, v14, v27
v_med3_f32 v24, v24, v14, v27
v_cvt_pk_fp8_f32 v25, v23, v24
	;;#ASMEND
	;;#ASMSTART
	v_med3_f32 v21, v21, v14, v27
v_med3_f32 v22, v22, v14, v27
v_cvt_pk_fp8_f32 v23, v21, v22
	;;#ASMEND
	v_lshlrev_b32_e32 v21, 16, v23
	s_waitcnt lgkmcnt(0)
	s_add_u32 s0, s0, s3
	v_and_or_b32 v0, 0xffff, v1, v0
	s_addc_u32 s1, s1, s4
	s_mov_b32 s3, -1
	v_and_or_b32 v1, 0xffff, v25, v21
	s_and_b32 s1, s1, 0xffff
	v_mul_f32_e32 v19, v19, v2
	v_mul_f32_e32 v20, v20, v2
	v_mul_f32_e32 v17, v17, v2
	v_mul_f32_e32 v18, v18, v2
	buffer_store_b64 v[0:1], v13, s[0:3], 0 offen
	;;#ASMSTART
	s_nop 0
	;;#ASMEND
	;;#ASMSTART
	v_med3_f32 v19, v19, v14, v27
v_med3_f32 v20, v20, v14, v27
v_cvt_pk_fp8_f32 v0, v19, v20
	;;#ASMEND
	;;#ASMSTART
	v_med3_f32 v17, v17, v14, v27
v_med3_f32 v18, v18, v14, v27
v_cvt_pk_fp8_f32 v1, v17, v18
	;;#ASMEND
	v_perm_b32 v0, v1, v0, 0x5040100
	v_and_b32_e32 v1, 0xffffff00, v1
	v_mul_f32_e32 v15, v15, v2
	v_mul_f32_e32 v16, v16, v2
	;; [unrolled: 1-line block ×3, first 2 shown]
	v_lshrrev_b32_e32 v17, 16, v0
	v_mul_f32_e32 v12, v12, v2
	v_mul_f32_e32 v10, v10, v2
	;; [unrolled: 1-line block ×4, first 2 shown]
	v_dual_mul_f32 v8, v8, v2 :: v_dual_and_b32 v17, 0xff, v17
	v_mul_f32_e32 v6, v6, v2
	v_mul_f32_e32 v5, v5, v2
	;; [unrolled: 1-line block ×3, first 2 shown]
	s_delay_alu instid0(VALU_DEP_4) | instskip(SKIP_3) | instid1(VALU_DEP_2)
	v_or_b32_e32 v1, v17, v1
	;;#ASMSTART
	v_med3_f32 v15, v15, v14, v27
v_med3_f32 v16, v16, v14, v27
v_cvt_pk_fp8_f32 v17, v15, v16
	;;#ASMEND
	;;#ASMSTART
	v_med3_f32 v11, v11, v14, v27
v_med3_f32 v12, v12, v14, v27
v_cvt_pk_fp8_f32 v15, v11, v12
	;;#ASMEND
	v_dual_mul_f32 v2, v4, v2 :: v_dual_lshlrev_b32 v11, 16, v15
	v_lshlrev_b32_e32 v12, 16, v1
	s_delay_alu instid0(VALU_DEP_2) | instskip(NEXT) | instid1(VALU_DEP_2)
	v_and_or_b32 v1, 0xffff, v17, v11
	v_and_or_b32 v0, 0xffff, v0, v12
	buffer_store_b64 v[0:1], v13, s[0:3], 8 offen
	;;#ASMSTART
	s_nop 0
	;;#ASMEND
	;;#ASMSTART
	v_med3_f32 v10, v10, v14, v27
v_med3_f32 v9, v9, v14, v27
v_cvt_pk_fp8_f32 v0, v10, v9
	;;#ASMEND
	;;#ASMSTART
	v_med3_f32 v7, v7, v14, v27
v_med3_f32 v8, v8, v14, v27
v_cvt_pk_fp8_f32 v1, v7, v8
	;;#ASMEND
	v_perm_b32 v0, v1, v0, 0x5040100
	v_and_b32_e32 v1, 0xffffff00, v1
	;;#ASMSTART
	v_med3_f32 v6, v6, v14, v27
v_med3_f32 v5, v5, v14, v27
v_cvt_pk_fp8_f32 v4, v6, v5
	;;#ASMEND
	;;#ASMSTART
	v_med3_f32 v3, v3, v14, v27
v_med3_f32 v2, v2, v14, v27
v_cvt_pk_fp8_f32 v5, v3, v2
	;;#ASMEND
	v_lshlrev_b32_e32 v2, 16, v5
	v_lshrrev_b32_e32 v7, 16, v0
	s_delay_alu instid0(VALU_DEP_1) | instskip(NEXT) | instid1(VALU_DEP_1)
	v_and_b32_e32 v7, 0xff, v7
	v_or_b32_e32 v1, v7, v1
	s_delay_alu instid0(VALU_DEP_1) | instskip(SKIP_1) | instid1(VALU_DEP_2)
	v_lshlrev_b32_e32 v3, 16, v1
	v_and_or_b32 v1, 0xffff, v4, v2
	v_and_or_b32 v0, 0xffff, v0, v3
	buffer_store_b64 v[0:1], v13, s[0:3], 16 offen
	;;#ASMSTART
	s_nop 0
	;;#ASMEND
.LBB83_44:
	s_nop 0
	s_sendmsg sendmsg(MSG_DEALLOC_VGPRS)
	s_endpgm
.LBB83_45:
                                        ; implicit-def: $vgpr1_vgpr2
	s_branch .LBB83_32
	.section	.rodata,"a",@progbits
	.p2align	6, 0x0
	.amdhsa_kernel _ZN5aiter24add_rmsnorm_quant_kernelIDF16_DB8_Li256ELi24ELb0ELb1ELb0ELi1EEEvPT0_PT_PfS5_S5_S5_diiiiiiib
		.amdhsa_group_segment_fixed_size 64
		.amdhsa_private_segment_fixed_size 0
		.amdhsa_kernarg_size 88
		.amdhsa_user_sgpr_count 15
		.amdhsa_user_sgpr_dispatch_ptr 0
		.amdhsa_user_sgpr_queue_ptr 0
		.amdhsa_user_sgpr_kernarg_segment_ptr 1
		.amdhsa_user_sgpr_dispatch_id 0
		.amdhsa_user_sgpr_private_segment_size 0
		.amdhsa_wavefront_size32 1
		.amdhsa_uses_dynamic_stack 0
		.amdhsa_enable_private_segment 0
		.amdhsa_system_sgpr_workgroup_id_x 1
		.amdhsa_system_sgpr_workgroup_id_y 0
		.amdhsa_system_sgpr_workgroup_id_z 0
		.amdhsa_system_sgpr_workgroup_info 0
		.amdhsa_system_vgpr_workitem_id 0
		.amdhsa_next_free_vgpr 60
		.amdhsa_next_free_sgpr 29
		.amdhsa_reserve_vcc 1
		.amdhsa_float_round_mode_32 0
		.amdhsa_float_round_mode_16_64 0
		.amdhsa_float_denorm_mode_32 3
		.amdhsa_float_denorm_mode_16_64 3
		.amdhsa_dx10_clamp 1
		.amdhsa_ieee_mode 1
		.amdhsa_fp16_overflow 0
		.amdhsa_workgroup_processor_mode 1
		.amdhsa_memory_ordered 1
		.amdhsa_forward_progress 0
		.amdhsa_shared_vgpr_count 0
		.amdhsa_exception_fp_ieee_invalid_op 0
		.amdhsa_exception_fp_denorm_src 0
		.amdhsa_exception_fp_ieee_div_zero 0
		.amdhsa_exception_fp_ieee_overflow 0
		.amdhsa_exception_fp_ieee_underflow 0
		.amdhsa_exception_fp_ieee_inexact 0
		.amdhsa_exception_int_div_zero 0
	.end_amdhsa_kernel
	.section	.text._ZN5aiter24add_rmsnorm_quant_kernelIDF16_DB8_Li256ELi24ELb0ELb1ELb0ELi1EEEvPT0_PT_PfS5_S5_S5_diiiiiiib,"axG",@progbits,_ZN5aiter24add_rmsnorm_quant_kernelIDF16_DB8_Li256ELi24ELb0ELb1ELb0ELi1EEEvPT0_PT_PfS5_S5_S5_diiiiiiib,comdat
.Lfunc_end83:
	.size	_ZN5aiter24add_rmsnorm_quant_kernelIDF16_DB8_Li256ELi24ELb0ELb1ELb0ELi1EEEvPT0_PT_PfS5_S5_S5_diiiiiiib, .Lfunc_end83-_ZN5aiter24add_rmsnorm_quant_kernelIDF16_DB8_Li256ELi24ELb0ELb1ELb0ELi1EEEvPT0_PT_PfS5_S5_S5_diiiiiiib
                                        ; -- End function
	.section	.AMDGPU.csdata,"",@progbits
; Kernel info:
; codeLenInByte = 4980
; NumSgprs: 31
; NumVgprs: 60
; ScratchSize: 0
; MemoryBound: 0
; FloatMode: 240
; IeeeMode: 1
; LDSByteSize: 64 bytes/workgroup (compile time only)
; SGPRBlocks: 3
; VGPRBlocks: 7
; NumSGPRsForWavesPerEU: 31
; NumVGPRsForWavesPerEU: 60
; Occupancy: 16
; WaveLimiterHint : 0
; COMPUTE_PGM_RSRC2:SCRATCH_EN: 0
; COMPUTE_PGM_RSRC2:USER_SGPR: 15
; COMPUTE_PGM_RSRC2:TRAP_HANDLER: 0
; COMPUTE_PGM_RSRC2:TGID_X_EN: 1
; COMPUTE_PGM_RSRC2:TGID_Y_EN: 0
; COMPUTE_PGM_RSRC2:TGID_Z_EN: 0
; COMPUTE_PGM_RSRC2:TIDIG_COMP_CNT: 0
	.section	.text._ZN5aiter24add_rmsnorm_quant_kernelItDB8_Li256ELi24ELb0ELb1ELb0ELi1EEEvPT0_PT_PfS5_S5_S5_diiiiiiib,"axG",@progbits,_ZN5aiter24add_rmsnorm_quant_kernelItDB8_Li256ELi24ELb0ELb1ELb0ELi1EEEvPT0_PT_PfS5_S5_S5_diiiiiiib,comdat
	.protected	_ZN5aiter24add_rmsnorm_quant_kernelItDB8_Li256ELi24ELb0ELb1ELb0ELi1EEEvPT0_PT_PfS5_S5_S5_diiiiiiib ; -- Begin function _ZN5aiter24add_rmsnorm_quant_kernelItDB8_Li256ELi24ELb0ELb1ELb0ELi1EEEvPT0_PT_PfS5_S5_S5_diiiiiiib
	.globl	_ZN5aiter24add_rmsnorm_quant_kernelItDB8_Li256ELi24ELb0ELb1ELb0ELi1EEEvPT0_PT_PfS5_S5_S5_diiiiiiib
	.p2align	8
	.type	_ZN5aiter24add_rmsnorm_quant_kernelItDB8_Li256ELi24ELb0ELb1ELb0ELi1EEEvPT0_PT_PfS5_S5_S5_diiiiiiib,@function
_ZN5aiter24add_rmsnorm_quant_kernelItDB8_Li256ELi24ELb0ELb1ELb0ELi1EEEvPT0_PT_PfS5_S5_S5_diiiiiiib: ; @_ZN5aiter24add_rmsnorm_quant_kernelItDB8_Li256ELi24ELb0ELb1ELb0ELi1EEEvPT0_PT_PfS5_S5_S5_diiiiiiib
; %bb.0:
	s_load_b128 s[4:7], s[0:1], 0x38
	s_mov_b32 s20, s15
	s_mov_b32 s21, 0
	s_waitcnt lgkmcnt(0)
	s_ashr_i32 s3, s4, 31
	s_mov_b32 s2, s4
	s_delay_alu instid0(SALU_CYCLE_1) | instskip(NEXT) | instid1(VALU_DEP_1)
	v_cmp_ge_i64_e64 s2, s[20:21], s[2:3]
	s_and_b32 vcc_lo, exec_lo, s2
	s_cbranch_vccnz .LBB84_44
; %bb.1:
	s_clause 0x1
	s_load_b128 s[8:11], s[0:1], 0x10
	s_load_b128 s[16:19], s[0:1], 0x28
	s_ashr_i32 s2, s6, 31
	s_mul_hi_u32 s3, s6, s20
	s_mul_i32 s7, s2, s20
	s_mul_i32 s2, s6, s20
	s_add_i32 s3, s3, s7
	v_mul_u32_u24_e32 v1, 48, v0
	s_lshl_b64 s[2:3], s[2:3], 1
	s_mov_b32 s15, -1
	v_and_b32_e32 v39, 31, v0
	s_mov_b32 s27, s15
	s_waitcnt lgkmcnt(0)
	s_add_u32 s12, s10, s2
	s_addc_u32 s2, s11, s3
	s_add_i32 s3, s5, 1
	s_and_b32 s13, s2, 0xffff
	s_lshr_b32 s6, s3, 31
	s_mov_b32 s24, s16
	s_add_i32 s3, s3, s6
	s_and_b32 s25, s17, 0xffff
	s_lshl_b32 s3, s3, 1
	v_cmp_eq_u32_e64 s2, 31, v39
	s_and_b32 s14, s3, -4
	s_clause 0x2
	buffer_load_b128 v[18:21], v1, s[12:15], 0 offen
	buffer_load_b128 v[26:29], v1, s[12:15], 16 offen
	;; [unrolled: 1-line block ×3, first 2 shown]
	s_mov_b32 s26, s14
	s_clause 0x2
	buffer_load_b128 v[9:12], v1, s[24:27], 0 offen
	buffer_load_b128 v[5:8], v1, s[24:27], 16 offen
	;; [unrolled: 1-line block ×3, first 2 shown]
	s_waitcnt vmcnt(5)
	v_lshrrev_b32_e32 v13, 16, v18
	v_and_b32_e32 v14, 0xffff, v18
	v_lshrrev_b32_e32 v18, 16, v19
	v_lshrrev_b32_e32 v22, 16, v21
	s_waitcnt vmcnt(4)
	v_lshrrev_b32_e32 v24, 16, v26
	v_cvt_f32_u32_e32 v15, v13
	v_cvt_f32_u32_e32 v16, v14
	v_cvt_f32_u32_e32 v18, v18
	v_cvt_f32_u32_e32 v22, v22
	v_lshrrev_b32_e32 v30, 16, v29
	v_mul_f32_e32 v14, v15, v15
	v_and_b32_e32 v13, 0xffff, v19
	v_cvt_f32_u32_e32 v24, v24
	s_waitcnt vmcnt(3)
	v_lshrrev_b32_e32 v32, 16, v34
	v_cvt_f32_u32_e32 v30, v30
	v_fmac_f32_e32 v14, v16, v16
	v_cvt_f32_u32_e32 v17, v13
	v_and_b32_e32 v13, 0xffff, v20
	v_lshrrev_b32_e32 v20, 16, v20
	v_cvt_f32_u32_e32 v32, v32
	v_lshrrev_b32_e32 v38, 16, v37
	v_fmac_f32_e32 v14, v17, v17
	v_cvt_f32_u32_e32 v19, v13
	v_and_b32_e32 v13, 0xffff, v21
	v_cvt_f32_u32_e32 v20, v20
	v_cvt_f32_u32_e32 v38, v38
	s_delay_alu instid0(VALU_DEP_3) | instskip(SKIP_3) | instid1(VALU_DEP_3)
	v_cvt_f32_u32_e32 v21, v13
	v_and_b32_e32 v13, 0xffff, v26
	v_fmac_f32_e32 v14, v18, v18
	v_lshrrev_b32_e32 v26, 16, v27
	v_cvt_f32_u32_e32 v23, v13
	v_and_b32_e32 v13, 0xffff, v27
	s_delay_alu instid0(VALU_DEP_4) | instskip(NEXT) | instid1(VALU_DEP_4)
	v_fmac_f32_e32 v14, v19, v19
	v_cvt_f32_u32_e32 v26, v26
	s_delay_alu instid0(VALU_DEP_3) | instskip(NEXT) | instid1(VALU_DEP_3)
	v_cvt_f32_u32_e32 v25, v13
	v_fmac_f32_e32 v14, v20, v20
	v_and_b32_e32 v13, 0xffff, v28
	v_lshrrev_b32_e32 v28, 16, v28
	s_delay_alu instid0(VALU_DEP_2) | instskip(SKIP_2) | instid1(VALU_DEP_4)
	v_cvt_f32_u32_e32 v27, v13
	v_and_b32_e32 v13, 0xffff, v29
	v_fmac_f32_e32 v14, v21, v21
	v_cvt_f32_u32_e32 v28, v28
	s_delay_alu instid0(VALU_DEP_3) | instskip(SKIP_1) | instid1(VALU_DEP_4)
	v_cvt_f32_u32_e32 v29, v13
	v_and_b32_e32 v13, 0xffff, v34
	v_fmac_f32_e32 v14, v22, v22
	v_lshrrev_b32_e32 v34, 16, v35
	s_delay_alu instid0(VALU_DEP_3) | instskip(SKIP_1) | instid1(VALU_DEP_4)
	v_cvt_f32_u32_e32 v31, v13
	v_and_b32_e32 v13, 0xffff, v35
	v_fmac_f32_e32 v14, v23, v23
	s_delay_alu instid0(VALU_DEP_4) | instskip(NEXT) | instid1(VALU_DEP_3)
	v_cvt_f32_u32_e32 v34, v34
	v_cvt_f32_u32_e32 v33, v13
	v_and_b32_e32 v13, 0xffff, v36
	s_delay_alu instid0(VALU_DEP_4) | instskip(SKIP_1) | instid1(VALU_DEP_3)
	v_fmac_f32_e32 v14, v24, v24
	v_lshrrev_b32_e32 v36, 16, v36
	v_cvt_f32_u32_e32 v35, v13
	v_and_b32_e32 v13, 0xffff, v37
	s_delay_alu instid0(VALU_DEP_4) | instskip(NEXT) | instid1(VALU_DEP_4)
	v_fmac_f32_e32 v14, v25, v25
	v_cvt_f32_u32_e32 v36, v36
	s_delay_alu instid0(VALU_DEP_3) | instskip(NEXT) | instid1(VALU_DEP_3)
	v_cvt_f32_u32_e32 v37, v13
	v_fmac_f32_e32 v14, v26, v26
	s_delay_alu instid0(VALU_DEP_1) | instskip(NEXT) | instid1(VALU_DEP_1)
	v_fmac_f32_e32 v14, v27, v27
	v_fmac_f32_e32 v14, v28, v28
	s_delay_alu instid0(VALU_DEP_1) | instskip(NEXT) | instid1(VALU_DEP_1)
	v_fmac_f32_e32 v14, v29, v29
	;; [unrolled: 3-line block ×6, first 2 shown]
	v_fmac_f32_e32 v14, v38, v38
	s_delay_alu instid0(VALU_DEP_1) | instskip(NEXT) | instid1(VALU_DEP_1)
	v_mov_b32_dpp v13, v14 quad_perm:[1,0,3,2] row_mask:0xf bank_mask:0xf
	v_add_f32_e32 v13, v14, v13
	s_delay_alu instid0(VALU_DEP_1) | instskip(NEXT) | instid1(VALU_DEP_1)
	v_mov_b32_dpp v14, v13 quad_perm:[2,3,0,1] row_mask:0xf bank_mask:0xf
	v_add_f32_e32 v13, v13, v14
	s_delay_alu instid0(VALU_DEP_1) | instskip(NEXT) | instid1(VALU_DEP_1)
	v_mov_b32_dpp v14, v13 row_xmask:7 row_mask:0xf bank_mask:0xf
	v_add_f32_e32 v13, v13, v14
	s_delay_alu instid0(VALU_DEP_1)
	v_mov_b32_dpp v14, v13 row_xmask:15 row_mask:0xf bank_mask:0xf
	s_and_saveexec_b32 s3, s2
	s_cbranch_execz .LBB84_3
; %bb.2:
	s_delay_alu instid0(VALU_DEP_1) | instskip(SKIP_2) | instid1(VALU_DEP_2)
	v_add_f32_e32 v13, v13, v14
	s_mov_b32 s6, 0x76543210
	v_lshrrev_b32_e32 v14, 3, v0
	v_permlanex16_b32 v39, v13, s6, 0xfedcba98 op_sel:[1,1]
	s_delay_alu instid0(VALU_DEP_1)
	v_dual_add_f32 v13, v13, v39 :: v_dual_and_b32 v14, 0x7c, v14
	ds_store_b32 v14, v13 offset:32
.LBB84_3:
	s_or_b32 exec_lo, exec_lo, s3
	v_and_b32_e32 v13, 7, v0
	s_waitcnt vmcnt(0) lgkmcnt(0)
	s_barrier
	buffer_gl0_inv
	v_cvt_f32_i32_e32 v40, s5
	v_lshlrev_b32_e32 v14, 2, v13
	ds_load_b32 v13, v14 offset:32
	s_clause 0x1
	s_load_b64 s[6:7], s[0:1], 0x4c
	s_load_b32 s10, s[0:1], 0x54
	s_waitcnt lgkmcnt(0)
	s_cmp_lg_u32 s7, 0
	v_mov_b32_dpp v39, v13 quad_perm:[1,0,3,2] row_mask:0xf bank_mask:0xf
	s_delay_alu instid0(VALU_DEP_1) | instskip(NEXT) | instid1(VALU_DEP_1)
	v_add_f32_e32 v13, v13, v39
	v_mov_b32_dpp v39, v13 quad_perm:[2,3,0,1] row_mask:0xf bank_mask:0xf
	s_delay_alu instid0(VALU_DEP_1) | instskip(NEXT) | instid1(VALU_DEP_1)
	v_add_f32_e32 v13, v13, v39
	v_mov_b32_dpp v39, v13 row_xmask:7 row_mask:0xf bank_mask:0xf
	s_delay_alu instid0(VALU_DEP_1) | instskip(NEXT) | instid1(VALU_DEP_1)
	v_add_f32_e32 v13, v13, v39
	v_div_scale_f32 v39, null, v40, v40, v13
	v_div_scale_f32 v43, vcc_lo, v13, v40, v13
	s_delay_alu instid0(VALU_DEP_2) | instskip(SKIP_2) | instid1(VALU_DEP_1)
	v_rcp_f32_e32 v41, v39
	s_waitcnt_depctr 0xfff
	v_fma_f32 v42, -v39, v41, 1.0
	v_fmac_f32_e32 v41, v42, v41
	s_delay_alu instid0(VALU_DEP_1) | instskip(NEXT) | instid1(VALU_DEP_1)
	v_mul_f32_e32 v42, v43, v41
	v_fma_f32 v44, -v39, v42, v43
	s_delay_alu instid0(VALU_DEP_1) | instskip(NEXT) | instid1(VALU_DEP_1)
	v_fmac_f32_e32 v42, v44, v41
	v_fma_f32 v39, -v39, v42, v43
	s_delay_alu instid0(VALU_DEP_1) | instskip(SKIP_2) | instid1(VALU_DEP_3)
	v_div_fmas_f32 v39, v39, v41, v42
	v_and_b32_e32 v42, 0xffff, v11
	v_lshrrev_b32_e32 v11, 16, v11
	v_div_fixup_f32 v13, v39, v40, v13
	s_delay_alu instid0(VALU_DEP_3) | instskip(NEXT) | instid1(VALU_DEP_3)
	v_cvt_f32_u32_e32 v42, v42
	v_cvt_f32_u32_e32 v11, v11
	s_delay_alu instid0(VALU_DEP_3) | instskip(SKIP_1) | instid1(VALU_DEP_2)
	v_cvt_f64_f32_e32 v[39:40], v13
	v_mul_u32_u24_e32 v13, 24, v0
	v_add_f64 v[39:40], v[39:40], s[18:19]
	s_delay_alu instid0(VALU_DEP_1) | instskip(SKIP_2) | instid1(VALU_DEP_2)
	v_cvt_f32_f64_e32 v39, v[39:40]
	v_and_b32_e32 v40, 0xffff, v9
	v_lshrrev_b32_e32 v9, 16, v9
	v_cvt_f32_u32_e32 v40, v40
	s_delay_alu instid0(VALU_DEP_2) | instskip(SKIP_4) | instid1(VALU_DEP_4)
	v_cvt_f32_u32_e32 v9, v9
	v_mul_f32_e32 v53, 0x4b800000, v39
	v_cmp_gt_f32_e32 vcc_lo, 0x800000, v39
	v_and_b32_e32 v46, 0xffff, v7
	v_lshrrev_b32_e32 v7, 16, v7
	v_cndmask_b32_e32 v39, v39, v53, vcc_lo
	s_delay_alu instid0(VALU_DEP_3) | instskip(NEXT) | instid1(VALU_DEP_3)
	v_cvt_f32_u32_e32 v46, v46
	v_cvt_f32_u32_e32 v7, v7
	s_delay_alu instid0(VALU_DEP_3) | instskip(SKIP_4) | instid1(VALU_DEP_3)
	v_rsq_f32_e32 v39, v39
	s_waitcnt_depctr 0xfff
	v_mul_f32_e32 v53, 0x45800000, v39
	v_and_b32_e32 v50, 0xffff, v3
	v_lshrrev_b32_e32 v3, 16, v3
	v_cndmask_b32_e32 v39, v39, v53, vcc_lo
	v_and_b32_e32 v44, 0xffff, v5
	v_lshrrev_b32_e32 v5, 16, v5
	v_and_b32_e32 v41, 0xffff, v10
	v_lshrrev_b32_e32 v10, 16, v10
	v_mul_f32_e32 v16, v39, v16
	v_dual_mul_f32 v18, v39, v18 :: v_dual_and_b32 v43, 0xffff, v12
	v_lshrrev_b32_e32 v12, 16, v12
	v_dual_mul_f32 v22, v39, v22 :: v_dual_and_b32 v47, 0xffff, v8
	v_lshrrev_b32_e32 v8, 16, v8
	v_dual_mul_f32 v19, v39, v19 :: v_dual_and_b32 v48, 0xffff, v1
	v_lshrrev_b32_e32 v1, 16, v1
	v_dual_mul_f32 v54, v39, v24 :: v_dual_and_b32 v49, 0xffff, v2
	v_lshrrev_b32_e32 v2, 16, v2
	v_dual_mul_f32 v20, v39, v20 :: v_dual_and_b32 v45, 0xffff, v6
	v_lshrrev_b32_e32 v6, 16, v6
	v_cvt_f32_u32_e32 v5, v5
	v_dual_mul_f32 v15, v39, v15 :: v_dual_mov_b32 v52, 0x2edbe6ff
	v_mul_f32_e32 v17, v39, v17
	v_cvt_f32_u32_e32 v41, v41
	v_cvt_f32_u32_e32 v10, v10
	v_mul_f32_e32 v57, v39, v27
	v_cvt_f32_u32_e32 v43, v43
	v_cvt_f32_u32_e32 v12, v12
	v_mul_f32_e32 v21, v39, v21
	v_dual_mul_f32 v56, v39, v26 :: v_dual_and_b32 v51, 0xffff, v4
	v_lshrrev_b32_e32 v4, 16, v4
	v_cvt_f32_u32_e32 v44, v44
	v_cvt_f32_u32_e32 v8, v8
	;; [unrolled: 1-line block ×4, first 2 shown]
	v_dual_mul_f32 v53, v39, v23 :: v_dual_mul_f32 v22, v22, v12
	v_mul_f32_e32 v30, v39, v30
	v_mul_f32_e32 v32, v39, v32
	v_dual_mul_f32 v34, v39, v34 :: v_dual_mul_f32 v27, v16, v40
	v_cvt_f32_u32_e32 v45, v45
	v_cvt_f32_u32_e32 v6, v6
	v_dual_mul_f32 v55, v39, v25 :: v_dual_mul_f32 v24, v20, v11
	v_mul_f32_e32 v58, v39, v28
	v_mul_f32_e32 v20, v54, v5
	v_dual_mul_f32 v28, v15, v9 :: v_dual_mul_f32 v15, v57, v46
	v_cvt_f32_u32_e32 v47, v47
	v_mul_f32_e32 v29, v39, v29
	v_dual_mul_f32 v25, v17, v41 :: v_dual_mul_f32 v26, v18, v10
	v_mul_f32_e32 v18, v56, v6
	v_cvt_f32_u32_e32 v48, v48
	v_cvt_f32_u32_e32 v49, v49
	v_dual_mul_f32 v31, v39, v31 :: v_dual_mul_f32 v12, v30, v8
	v_dual_mul_f32 v33, v39, v33 :: v_dual_mul_f32 v16, v58, v7
	v_mul_f32_e32 v23, v19, v42
	v_cvt_f32_u32_e32 v3, v3
	v_dual_mul_f32 v36, v39, v36 :: v_dual_mul_f32 v21, v21, v43
	v_cvt_f32_u32_e32 v50, v50
	v_cvt_f32_u32_e32 v51, v51
	;; [unrolled: 1-line block ×3, first 2 shown]
	v_dual_mul_f32 v35, v39, v35 :: v_dual_mul_f32 v8, v34, v2
	v_dual_mul_f32 v38, v39, v38 :: v_dual_mul_f32 v19, v53, v44
	v_mul_f32_e32 v37, v39, v37
	s_delay_alu instid0(VALU_DEP_3)
	v_dual_mul_f32 v9, v32, v1 :: v_dual_mul_f32 v6, v35, v50
	v_and_b32_e32 v1, 0x7fffffff, v27
	v_dual_mul_f32 v17, v55, v45 :: v_dual_and_b32 v30, 0x7fffffff, v26
	v_and_b32_e32 v2, 0x7fffffff, v28
	;;#ASMSTART
	v_max3_f32 v1, v52, v1, v2

	;;#ASMEND
	v_dual_mul_f32 v11, v29, v47 :: v_dual_mul_f32 v10, v31, v48
	v_and_b32_e32 v29, 0x7fffffff, v25
	;;#ASMSTART
	v_max3_f32 v1, v1, v29, v30

	;;#ASMEND
	v_dual_mul_f32 v7, v33, v49 :: v_dual_and_b32 v32, 0x7fffffff, v24
	v_and_b32_e32 v31, 0x7fffffff, v23
	;;#ASMSTART
	v_max3_f32 v1, v1, v31, v32

	;;#ASMEND
	v_dual_mul_f32 v5, v36, v3 :: v_dual_and_b32 v34, 0x7fffffff, v22
	v_and_b32_e32 v33, 0x7fffffff, v21
	;;#ASMSTART
	v_max3_f32 v1, v1, v33, v34

	;;#ASMEND
	v_dual_mul_f32 v4, v38, v4 :: v_dual_mul_f32 v3, v37, v51
	v_and_b32_e32 v36, 0x7fffffff, v20
	v_and_b32_e32 v35, 0x7fffffff, v19
	;;#ASMSTART
	v_max3_f32 v1, v1, v35, v36

	;;#ASMEND
	v_and_b32_e32 v37, 0x7fffffff, v17
	v_and_b32_e32 v38, 0x7fffffff, v18
	;;#ASMSTART
	v_max3_f32 v1, v1, v37, v38

	;;#ASMEND
	;; [unrolled: 6-line block ×6, first 2 shown]
	v_and_b32_e32 v47, 0x7fffffff, v6
	v_and_b32_e32 v48, 0x7fffffff, v5
	;; [unrolled: 1-line block ×4, first 2 shown]
	;;#ASMSTART
	v_max3_f32 v1, v1, v47, v48

	;;#ASMEND
	;;#ASMSTART
	v_max3_f32 v29, v1, v49, v50

	;;#ASMEND
	s_cbranch_scc0 .LBB84_10
; %bb.4:
	s_mul_hi_i32 s3, s7, 0x2aaaaaab
	s_delay_alu instid0(SALU_CYCLE_1) | instskip(SKIP_1) | instid1(SALU_CYCLE_1)
	s_lshr_b32 s11, s3, 31
	s_ashr_i32 s3, s3, 2
	s_add_i32 s3, s3, s11
	s_delay_alu instid0(SALU_CYCLE_1)
	s_cmp_lt_i32 s3, 8
	s_cbranch_scc1 .LBB84_11
; %bb.5:
	s_cmp_lt_i32 s3, 16
	s_cbranch_scc1 .LBB84_12
; %bb.6:
	;; [unrolled: 3-line block ×3, first 2 shown]
	v_mov_b32_e32 v1, v29
	s_cmp_eq_u32 s3, 32
	s_cbranch_scc0 .LBB84_9
; %bb.8:
	s_delay_alu instid0(VALU_DEP_1) | instskip(SKIP_1) | instid1(VALU_DEP_1)
	v_mov_b32_dpp v1, v29 quad_perm:[1,0,3,2] row_mask:0xf bank_mask:0xf
	s_mov_b32 s11, 0x76543210
	v_cmp_gt_f32_e32 vcc_lo, v29, v1
	v_cndmask_b32_e32 v1, v1, v29, vcc_lo
	s_delay_alu instid0(VALU_DEP_1) | instskip(NEXT) | instid1(VALU_DEP_1)
	v_mov_b32_dpp v2, v1 quad_perm:[2,3,0,1] row_mask:0xf bank_mask:0xf
	v_cmp_gt_f32_e32 vcc_lo, v1, v2
	v_cndmask_b32_e32 v1, v2, v1, vcc_lo
	s_delay_alu instid0(VALU_DEP_1) | instskip(NEXT) | instid1(VALU_DEP_1)
	v_mov_b32_dpp v2, v1 row_xmask:7 row_mask:0xf bank_mask:0xf
	v_cmp_gt_f32_e32 vcc_lo, v1, v2
	v_cndmask_b32_e32 v1, v2, v1, vcc_lo
	s_delay_alu instid0(VALU_DEP_1) | instskip(NEXT) | instid1(VALU_DEP_1)
	v_mov_b32_dpp v2, v1 row_xmask:15 row_mask:0xf bank_mask:0xf
	v_cmp_gt_f32_e32 vcc_lo, v1, v2
	v_cndmask_b32_e32 v1, v2, v1, vcc_lo
	s_delay_alu instid0(VALU_DEP_1) | instskip(NEXT) | instid1(VALU_DEP_1)
	v_permlanex16_b32 v2, v1, s11, 0xfedcba98 op_sel:[1,1]
	v_cmp_gt_f32_e32 vcc_lo, v1, v2
	v_cndmask_b32_e32 v1, v2, v1, vcc_lo
.LBB84_9:
	s_mov_b32 s11, 0
	s_branch .LBB84_14
.LBB84_10:
	s_mov_b32 s3, 0
                                        ; implicit-def: $vgpr30
                                        ; implicit-def: $vgpr1_vgpr2
	s_and_b32 vcc_lo, exec_lo, s15
	s_cbranch_vccnz .LBB84_38
	s_branch .LBB84_41
.LBB84_11:
                                        ; implicit-def: $vgpr1
	s_branch .LBB84_21
.LBB84_12:
                                        ; implicit-def: $vgpr1
	s_branch .LBB84_18
.LBB84_13:
	s_mov_b32 s11, -1
                                        ; implicit-def: $vgpr1
.LBB84_14:
	s_delay_alu instid0(SALU_CYCLE_1)
	s_and_not1_b32 vcc_lo, exec_lo, s11
	s_cbranch_vccnz .LBB84_17
; %bb.15:
	v_mov_b32_e32 v1, v29
	s_cmp_eq_u32 s3, 16
	s_cbranch_scc0 .LBB84_17
; %bb.16:
	s_delay_alu instid0(VALU_DEP_1) | instskip(NEXT) | instid1(VALU_DEP_1)
	v_mov_b32_dpp v1, v29 quad_perm:[1,0,3,2] row_mask:0xf bank_mask:0xf
	v_cmp_gt_f32_e32 vcc_lo, v29, v1
	v_cndmask_b32_e32 v1, v1, v29, vcc_lo
	s_delay_alu instid0(VALU_DEP_1) | instskip(NEXT) | instid1(VALU_DEP_1)
	v_mov_b32_dpp v2, v1 quad_perm:[2,3,0,1] row_mask:0xf bank_mask:0xf
	v_cmp_gt_f32_e32 vcc_lo, v1, v2
	v_cndmask_b32_e32 v1, v2, v1, vcc_lo
	s_delay_alu instid0(VALU_DEP_1) | instskip(NEXT) | instid1(VALU_DEP_1)
	v_mov_b32_dpp v2, v1 row_half_mirror row_mask:0xf bank_mask:0xf
	v_cmp_gt_f32_e32 vcc_lo, v1, v2
	v_cndmask_b32_e32 v1, v2, v1, vcc_lo
	s_delay_alu instid0(VALU_DEP_1) | instskip(NEXT) | instid1(VALU_DEP_1)
	v_mov_b32_dpp v2, v1 row_mirror row_mask:0xf bank_mask:0xf
	v_cmp_gt_f32_e32 vcc_lo, v1, v2
	v_cndmask_b32_e32 v1, v2, v1, vcc_lo
.LBB84_17:
	s_cbranch_execnz .LBB84_20
.LBB84_18:
	v_mov_b32_e32 v1, v29
	s_cmp_eq_u32 s3, 8
	s_cbranch_scc0 .LBB84_20
; %bb.19:
	s_delay_alu instid0(VALU_DEP_1) | instskip(NEXT) | instid1(VALU_DEP_1)
	v_mov_b32_dpp v1, v29 quad_perm:[1,0,3,2] row_mask:0xf bank_mask:0xf
	v_cmp_gt_f32_e32 vcc_lo, v29, v1
	v_cndmask_b32_e32 v1, v1, v29, vcc_lo
	s_delay_alu instid0(VALU_DEP_1) | instskip(NEXT) | instid1(VALU_DEP_1)
	v_mov_b32_dpp v2, v1 quad_perm:[2,3,0,1] row_mask:0xf bank_mask:0xf
	v_cmp_gt_f32_e32 vcc_lo, v1, v2
	v_cndmask_b32_e32 v1, v2, v1, vcc_lo
	s_delay_alu instid0(VALU_DEP_1) | instskip(NEXT) | instid1(VALU_DEP_1)
	v_mov_b32_dpp v2, v1 row_half_mirror row_mask:0xf bank_mask:0xf
	v_cmp_gt_f32_e32 vcc_lo, v1, v2
	v_cndmask_b32_e32 v1, v2, v1, vcc_lo
.LBB84_20:
	s_cbranch_execnz .LBB84_28
.LBB84_21:
	s_cmp_lt_i32 s3, 4
	s_cbranch_scc1 .LBB84_24
; %bb.22:
	v_mov_b32_e32 v1, v29
	s_cmp_eq_u32 s3, 4
	s_cbranch_scc0 .LBB84_25
; %bb.23:
	s_delay_alu instid0(VALU_DEP_1) | instskip(NEXT) | instid1(VALU_DEP_1)
	v_mov_b32_dpp v1, v29 quad_perm:[1,0,3,2] row_mask:0xf bank_mask:0xf
	v_cmp_gt_f32_e32 vcc_lo, v29, v1
	v_cndmask_b32_e32 v1, v1, v29, vcc_lo
	s_delay_alu instid0(VALU_DEP_1) | instskip(NEXT) | instid1(VALU_DEP_1)
	v_mov_b32_dpp v2, v1 quad_perm:[2,3,0,1] row_mask:0xf bank_mask:0xf
	v_cmp_gt_f32_e32 vcc_lo, v1, v2
	v_cndmask_b32_e32 v1, v2, v1, vcc_lo
	s_cbranch_execz .LBB84_26
	s_branch .LBB84_28
.LBB84_24:
                                        ; implicit-def: $vgpr1
	s_branch .LBB84_26
.LBB84_25:
	s_cbranch_execnz .LBB84_28
.LBB84_26:
	v_mov_b32_e32 v1, v29
	s_cmp_lg_u32 s3, 2
	s_cbranch_scc1 .LBB84_28
; %bb.27:
	s_delay_alu instid0(VALU_DEP_1) | instskip(NEXT) | instid1(VALU_DEP_1)
	v_mov_b32_dpp v1, v29 quad_perm:[1,0,3,2] row_mask:0xf bank_mask:0xf
	v_cmp_gt_f32_e32 vcc_lo, v29, v1
	v_cndmask_b32_e32 v1, v1, v29, vcc_lo
.LBB84_28:
	v_cvt_f32_u32_e32 v2, s3
	s_sub_i32 s11, 0, s3
	s_mov_b32 s15, 0
	s_delay_alu instid0(VALU_DEP_1) | instskip(SKIP_2) | instid1(VALU_DEP_1)
	v_rcp_iflag_f32_e32 v2, v2
	s_waitcnt_depctr 0xfff
	v_mul_f32_e32 v2, 0x4f7ffffe, v2
	v_cvt_u32_f32_e32 v2, v2
	s_delay_alu instid0(VALU_DEP_1) | instskip(NEXT) | instid1(VALU_DEP_1)
	v_mul_lo_u32 v30, s11, v2
	v_mul_hi_u32 v30, v2, v30
	s_delay_alu instid0(VALU_DEP_1) | instskip(NEXT) | instid1(VALU_DEP_1)
	v_add_nc_u32_e32 v2, v2, v30
	v_mul_hi_u32 v2, v0, v2
	s_delay_alu instid0(VALU_DEP_1) | instskip(NEXT) | instid1(VALU_DEP_1)
	v_mul_lo_u32 v30, v2, s3
	v_sub_nc_u32_e32 v30, v0, v30
	s_delay_alu instid0(VALU_DEP_1) | instskip(SKIP_1) | instid1(VALU_DEP_2)
	v_subrev_nc_u32_e32 v32, s3, v30
	v_cmp_le_u32_e32 vcc_lo, s3, v30
	v_dual_cndmask_b32 v30, v30, v32 :: v_dual_add_nc_u32 v31, 1, v2
	s_delay_alu instid0(VALU_DEP_1) | instskip(NEXT) | instid1(VALU_DEP_2)
	v_cndmask_b32_e32 v2, v2, v31, vcc_lo
	v_cmp_le_u32_e32 vcc_lo, s3, v30
	s_delay_alu instid0(VALU_DEP_2) | instskip(NEXT) | instid1(VALU_DEP_1)
	v_dual_mul_f32 v30, 0x3b124925, v1 :: v_dual_add_nc_u32 v31, 1, v2
	v_cndmask_b32_e32 v31, v2, v31, vcc_lo
	v_cmp_gt_u32_e32 vcc_lo, s5, v13
	s_delay_alu instid0(VALU_DEP_2) | instskip(NEXT) | instid1(VALU_DEP_1)
	v_mul_lo_u32 v2, v31, s3
	v_sub_nc_u32_e32 v2, v0, v2
	s_delay_alu instid0(VALU_DEP_1) | instskip(NEXT) | instid1(VALU_DEP_1)
	v_cmp_eq_u32_e64 s3, 0, v2
                                        ; implicit-def: $vgpr1_vgpr2
	s_and_b32 s11, s3, vcc_lo
	s_mov_b32 s3, 0
	s_and_saveexec_b32 s12, s11
	s_delay_alu instid0(SALU_CYCLE_1)
	s_xor_b32 s14, exec_lo, s12
	s_cbranch_execz .LBB84_37
; %bb.29:
	s_bitcmp0_b32 s10, 0
	s_mov_b32 s16, 0
	s_cbranch_scc0 .LBB84_34
; %bb.30:
	s_ashr_i32 s3, s5, 31
	s_mul_hi_u32 s10, s5, s20
	s_mul_i32 s3, s3, s20
	s_mul_i32 s12, s5, s20
	s_add_i32 s13, s10, s3
	s_ashr_i32 s11, s7, 31
	s_mov_b32 s10, s7
	s_delay_alu instid0(SALU_CYCLE_1) | instskip(NEXT) | instid1(SALU_CYCLE_1)
	s_or_b64 s[18:19], s[12:13], s[10:11]
	s_mov_b32 s17, s19
	s_delay_alu instid0(SALU_CYCLE_1)
	s_cmp_lg_u64 s[16:17], 0
	s_cbranch_scc0 .LBB84_45
; %bb.31:
	s_add_u32 s18, s10, s11
	s_mov_b32 s16, s11
	s_mov_b32 s17, s11
	s_addc_u32 s19, s11, s11
	s_delay_alu instid0(SALU_CYCLE_1) | instskip(NEXT) | instid1(SALU_CYCLE_1)
	s_xor_b64 s[18:19], s[18:19], s[16:17]
	v_cvt_f32_u32_e32 v1, s18
	v_cvt_f32_u32_e32 v2, s19
	s_sub_u32 s11, 0, s18
	s_subb_u32 s22, 0, s19
	s_delay_alu instid0(VALU_DEP_1) | instskip(NEXT) | instid1(VALU_DEP_1)
	v_fmamk_f32 v1, v2, 0x4f800000, v1
	v_rcp_f32_e32 v1, v1
	s_waitcnt_depctr 0xfff
	v_mul_f32_e32 v1, 0x5f7ffffc, v1
	s_delay_alu instid0(VALU_DEP_1) | instskip(NEXT) | instid1(VALU_DEP_1)
	v_mul_f32_e32 v2, 0x2f800000, v1
	v_trunc_f32_e32 v2, v2
	s_delay_alu instid0(VALU_DEP_1) | instskip(SKIP_1) | instid1(VALU_DEP_2)
	v_fmamk_f32 v1, v2, 0xcf800000, v1
	v_cvt_u32_f32_e32 v2, v2
	v_cvt_u32_f32_e32 v1, v1
	s_delay_alu instid0(VALU_DEP_2) | instskip(NEXT) | instid1(VALU_DEP_2)
	v_readfirstlane_b32 s3, v2
	v_readfirstlane_b32 s7, v1
	s_delay_alu instid0(VALU_DEP_2) | instskip(NEXT) | instid1(VALU_DEP_1)
	s_mul_i32 s23, s11, s3
	s_mul_hi_u32 s25, s11, s7
	s_mul_i32 s24, s22, s7
	s_add_i32 s23, s25, s23
	s_mul_i32 s26, s11, s7
	s_add_i32 s23, s23, s24
	s_mul_hi_u32 s25, s7, s26
	s_mul_hi_u32 s27, s3, s26
	s_mul_i32 s24, s3, s26
	s_mul_hi_u32 s26, s7, s23
	s_mul_i32 s7, s7, s23
	s_mul_hi_u32 s28, s3, s23
	s_add_u32 s7, s25, s7
	s_addc_u32 s25, 0, s26
	s_add_u32 s7, s7, s24
	s_mul_i32 s23, s3, s23
	s_addc_u32 s7, s25, s27
	s_addc_u32 s24, s28, 0
	s_add_u32 s7, s7, s23
	s_addc_u32 s23, 0, s24
	v_add_co_u32 v1, s7, v1, s7
	s_delay_alu instid0(VALU_DEP_1) | instskip(SKIP_1) | instid1(VALU_DEP_1)
	s_cmp_lg_u32 s7, 0
	s_addc_u32 s3, s3, s23
	v_readfirstlane_b32 s7, v1
	s_mul_i32 s23, s11, s3
	s_delay_alu instid0(VALU_DEP_1)
	s_mul_hi_u32 s24, s11, s7
	s_mul_i32 s22, s22, s7
	s_add_i32 s23, s24, s23
	s_mul_i32 s11, s11, s7
	s_add_i32 s23, s23, s22
	s_mul_hi_u32 s24, s3, s11
	s_mul_i32 s25, s3, s11
	s_mul_hi_u32 s11, s7, s11
	s_mul_hi_u32 s26, s7, s23
	s_mul_i32 s7, s7, s23
	s_mul_hi_u32 s22, s3, s23
	s_add_u32 s7, s11, s7
	s_addc_u32 s11, 0, s26
	s_add_u32 s7, s7, s25
	s_mul_i32 s23, s3, s23
	s_addc_u32 s7, s11, s24
	s_addc_u32 s11, s22, 0
	s_add_u32 s7, s7, s23
	s_addc_u32 s11, 0, s11
	v_add_co_u32 v1, s7, v1, s7
	s_delay_alu instid0(VALU_DEP_1) | instskip(SKIP_2) | instid1(VALU_DEP_1)
	s_cmp_lg_u32 s7, 0
	s_addc_u32 s3, s3, s11
	s_ashr_i32 s22, s13, 31
	v_readfirstlane_b32 s7, v1
	s_add_u32 s24, s12, s22
	s_mov_b32 s23, s22
	s_addc_u32 s25, s13, s22
	s_delay_alu instid0(SALU_CYCLE_1) | instskip(NEXT) | instid1(SALU_CYCLE_1)
	s_xor_b64 s[24:25], s[24:25], s[22:23]
	s_mul_i32 s13, s24, s3
	s_mul_hi_u32 s26, s24, s7
	s_mul_hi_u32 s11, s24, s3
	s_mul_hi_u32 s28, s25, s7
	s_mul_i32 s7, s25, s7
	s_add_u32 s13, s26, s13
	s_addc_u32 s11, 0, s11
	s_mul_hi_u32 s27, s25, s3
	s_add_u32 s7, s13, s7
	s_mul_i32 s3, s25, s3
	s_addc_u32 s7, s11, s28
	s_addc_u32 s11, s27, 0
	s_add_u32 s7, s7, s3
	s_addc_u32 s11, 0, s11
	s_mul_i32 s27, s18, s7
	s_mul_hi_u32 s3, s18, s7
	s_mul_i32 s26, s18, s11
	v_sub_co_u32 v1, s24, s24, s27
	s_mul_i32 s13, s19, s7
	s_add_i32 s3, s3, s26
	s_delay_alu instid0(SALU_CYCLE_1) | instskip(NEXT) | instid1(VALU_DEP_1)
	s_add_i32 s3, s3, s13
	v_sub_co_u32 v2, s26, v1, s18
	s_sub_i32 s13, s25, s3
	s_cmp_lg_u32 s24, 0
	s_subb_u32 s13, s13, s19
	s_cmp_lg_u32 s26, 0
	v_cmp_le_u32_e32 vcc_lo, s18, v2
	s_subb_u32 s13, s13, 0
	s_delay_alu instid0(SALU_CYCLE_1)
	s_cmp_ge_u32 s13, s19
	v_cndmask_b32_e64 v2, 0, -1, vcc_lo
	s_cselect_b32 s26, -1, 0
	s_cmp_eq_u32 s13, s19
	s_cselect_b32 vcc_lo, -1, 0
	s_add_u32 s13, s7, 1
	v_cndmask_b32_e32 v2, s26, v2, vcc_lo
	s_addc_u32 s26, s11, 0
	s_add_u32 s27, s7, 2
	s_addc_u32 s28, s11, 0
	s_cmp_lg_u32 s24, 0
	v_cmp_le_u32_e32 vcc_lo, s18, v1
	s_subb_u32 s3, s25, s3
	v_mov_b32_e32 v32, s27
	s_cmp_ge_u32 s3, s19
	v_cndmask_b32_e64 v1, 0, -1, vcc_lo
	s_cselect_b32 s18, -1, 0
	s_cmp_eq_u32 s3, s19
	v_cmp_ne_u32_e32 vcc_lo, 0, v2
	v_mov_b32_e32 v2, s28
	s_cselect_b32 s3, -1, 0
	s_xor_b64 s[16:17], s[22:23], s[16:17]
	v_cndmask_b32_e64 v1, s18, v1, s3
	v_cndmask_b32_e32 v32, s13, v32, vcc_lo
	v_cndmask_b32_e32 v2, s26, v2, vcc_lo
	s_delay_alu instid0(VALU_DEP_3) | instskip(NEXT) | instid1(VALU_DEP_2)
	v_cmp_ne_u32_e32 vcc_lo, 0, v1
	v_cndmask_b32_e32 v1, s11, v2, vcc_lo
	s_delay_alu instid0(VALU_DEP_4) | instskip(NEXT) | instid1(VALU_DEP_2)
	v_cndmask_b32_e32 v2, s7, v32, vcc_lo
	v_xor_b32_e32 v32, s17, v1
	s_delay_alu instid0(VALU_DEP_2) | instskip(NEXT) | instid1(VALU_DEP_1)
	v_xor_b32_e32 v2, s16, v2
	v_sub_co_u32 v1, vcc_lo, v2, s16
	s_delay_alu instid0(VALU_DEP_3)
	v_subrev_co_ci_u32_e32 v2, vcc_lo, s17, v32, vcc_lo
	s_cbranch_execnz .LBB84_33
.LBB84_32:
	v_cvt_f32_u32_e32 v1, s10
	s_sub_i32 s7, 0, s10
	s_delay_alu instid0(VALU_DEP_1) | instskip(SKIP_2) | instid1(VALU_DEP_1)
	v_rcp_iflag_f32_e32 v1, v1
	s_waitcnt_depctr 0xfff
	v_mul_f32_e32 v1, 0x4f7ffffe, v1
	v_cvt_u32_f32_e32 v1, v1
	s_delay_alu instid0(VALU_DEP_1) | instskip(NEXT) | instid1(VALU_DEP_1)
	v_readfirstlane_b32 s3, v1
	s_mul_i32 s7, s7, s3
	s_delay_alu instid0(SALU_CYCLE_1) | instskip(NEXT) | instid1(SALU_CYCLE_1)
	s_mul_hi_u32 s7, s3, s7
	s_add_i32 s3, s3, s7
	s_delay_alu instid0(SALU_CYCLE_1) | instskip(NEXT) | instid1(SALU_CYCLE_1)
	s_mul_hi_u32 s3, s12, s3
	s_mul_i32 s7, s3, s10
	s_add_i32 s11, s3, 1
	s_sub_i32 s7, s12, s7
	s_delay_alu instid0(SALU_CYCLE_1)
	s_sub_i32 s12, s7, s10
	s_cmp_ge_u32 s7, s10
	s_cselect_b32 s3, s11, s3
	s_cselect_b32 s7, s12, s7
	s_add_i32 s12, s3, 1
	s_cmp_ge_u32 s7, s10
	s_mov_b32 s11, 0
	s_cselect_b32 s10, s12, s3
	s_delay_alu instid0(SALU_CYCLE_1)
	v_dual_mov_b32 v1, s10 :: v_dual_mov_b32 v2, s11
.LBB84_33:
	s_delay_alu instid0(VALU_DEP_1) | instskip(NEXT) | instid1(VALU_DEP_2)
	v_add_co_u32 v1, vcc_lo, v1, v31
	v_add_co_ci_u32_e32 v2, vcc_lo, 0, v2, vcc_lo
	s_branch .LBB84_36
.LBB84_34:
                                        ; implicit-def: $vgpr1_vgpr2
	s_cbranch_execz .LBB84_36
; %bb.35:
	v_mul_lo_u32 v1, v31, s4
	s_delay_alu instid0(VALU_DEP_1) | instskip(SKIP_1) | instid1(VALU_DEP_2)
	v_ashrrev_i32_e32 v2, 31, v1
	v_add_co_u32 v1, vcc_lo, v1, s20
	v_add_co_ci_u32_e32 v2, vcc_lo, 0, v2, vcc_lo
.LBB84_36:
	s_mov_b32 s3, exec_lo
.LBB84_37:
	s_or_b32 exec_lo, exec_lo, s14
	s_delay_alu instid0(SALU_CYCLE_1)
	s_and_b32 vcc_lo, exec_lo, s15
	s_cbranch_vccz .LBB84_41
.LBB84_38:
	v_mov_b32_dpp v1, v29 quad_perm:[1,0,3,2] row_mask:0xf bank_mask:0xf
	s_delay_alu instid0(VALU_DEP_1) | instskip(SKIP_1) | instid1(VALU_DEP_1)
	v_cmp_gt_f32_e32 vcc_lo, v29, v1
	v_cndmask_b32_e32 v1, v1, v29, vcc_lo
	v_mov_b32_dpp v2, v1 quad_perm:[2,3,0,1] row_mask:0xf bank_mask:0xf
	s_delay_alu instid0(VALU_DEP_1) | instskip(SKIP_1) | instid1(VALU_DEP_1)
	v_cmp_gt_f32_e32 vcc_lo, v1, v2
	v_cndmask_b32_e32 v1, v2, v1, vcc_lo
	v_mov_b32_dpp v2, v1 row_xmask:7 row_mask:0xf bank_mask:0xf
	s_delay_alu instid0(VALU_DEP_1) | instskip(SKIP_1) | instid1(VALU_DEP_1)
	v_cmp_gt_f32_e32 vcc_lo, v1, v2
	v_cndmask_b32_e32 v1, v2, v1, vcc_lo
	v_mov_b32_dpp v2, v1 row_xmask:15 row_mask:0xf bank_mask:0xf
	s_delay_alu instid0(VALU_DEP_1)
	v_cmp_gt_f32_e32 vcc_lo, v1, v2
	s_and_saveexec_b32 s3, s2
	s_cbranch_execz .LBB84_40
; %bb.39:
	v_cndmask_b32_e32 v1, v2, v1, vcc_lo
	v_lshrrev_b32_e32 v2, 3, v0
	s_mov_b32 s2, 0x76543210
	s_delay_alu instid0(VALU_DEP_1) | instskip(NEXT) | instid1(VALU_DEP_3)
	v_and_b32_e32 v2, 0x7c, v2
	v_permlanex16_b32 v29, v1, s2, 0xfedcba98 op_sel:[1,1]
	s_delay_alu instid0(VALU_DEP_1)
	v_cmp_gt_f32_e32 vcc_lo, v1, v29
	v_cndmask_b32_e32 v1, v29, v1, vcc_lo
	ds_store_b32 v2, v1
.LBB84_40:
	s_or_b32 exec_lo, exec_lo, s3
	s_waitcnt lgkmcnt(0)
	s_barrier
	buffer_gl0_inv
	ds_load_b32 v1, v14
	v_cmp_eq_u32_e64 s3, 0, v0
	s_waitcnt lgkmcnt(0)
	v_mov_b32_dpp v2, v1 quad_perm:[1,0,3,2] row_mask:0xf bank_mask:0xf
	s_delay_alu instid0(VALU_DEP_1) | instskip(SKIP_1) | instid1(VALU_DEP_1)
	v_cmp_gt_f32_e32 vcc_lo, v1, v2
	v_cndmask_b32_e32 v1, v2, v1, vcc_lo
	v_mov_b32_dpp v2, v1 quad_perm:[2,3,0,1] row_mask:0xf bank_mask:0xf
	s_delay_alu instid0(VALU_DEP_1) | instskip(SKIP_1) | instid1(VALU_DEP_1)
	v_cmp_gt_f32_e32 vcc_lo, v1, v2
	v_cndmask_b32_e32 v1, v2, v1, vcc_lo
	v_mov_b32_dpp v2, v1 row_xmask:7 row_mask:0xf bank_mask:0xf
	s_delay_alu instid0(VALU_DEP_1) | instskip(SKIP_1) | instid1(VALU_DEP_1)
	v_cmp_gt_f32_e32 vcc_lo, v1, v2
	v_cndmask_b32_e32 v1, v2, v1, vcc_lo
	v_dual_mul_f32 v30, 0x3b124925, v1 :: v_dual_mov_b32 v1, s20
	v_mov_b32_e32 v2, s21
.LBB84_41:
	s_and_saveexec_b32 s2, s3
	s_cbranch_execz .LBB84_43
; %bb.42:
	s_delay_alu instid0(VALU_DEP_1) | instskip(NEXT) | instid1(VALU_DEP_1)
	v_lshlrev_b64 v[0:1], 2, v[1:2]
	v_add_co_u32 v0, vcc_lo, s8, v0
	s_delay_alu instid0(VALU_DEP_2)
	v_add_co_ci_u32_e32 v1, vcc_lo, s9, v1, vcc_lo
	global_store_b32 v[0:1], v30, off
.LBB84_43:
	s_or_b32 exec_lo, exec_lo, s2
	;;#ASMSTART
	v_rcp_f32 v2, v30
	;;#ASMEND
	v_dual_mul_f32 v0, v27, v2 :: v_dual_mov_b32 v27, 0x43e00000
	v_dual_mul_f32 v1, v28, v2 :: v_dual_mov_b32 v14, 0xc3e00000
	v_mul_f32_e32 v25, v25, v2
	v_mul_f32_e32 v26, v26, v2
	;;#ASMSTART
	v_med3_f32 v0, v0, v14, v27
v_med3_f32 v1, v1, v14, v27
v_cvt_pk_fp8_f32 v28, v0, v1
	;;#ASMEND
	;;#ASMSTART
	v_med3_f32 v25, v25, v14, v27
v_med3_f32 v26, v26, v14, v27
v_cvt_pk_fp8_f32 v0, v25, v26
	;;#ASMEND
	v_perm_b32 v1, v0, v28, 0x5040100
	s_load_b64 s[0:1], s[0:1], 0x0
	v_and_b32_e32 v0, 0xffffff00, v0
	s_add_i32 s2, s5, 3
	v_mul_f32_e32 v24, v24, v2
	v_lshrrev_b32_e32 v25, 16, v1
	s_ashr_i32 s3, s2, 31
	v_mul_f32_e32 v21, v21, v2
	s_lshr_b32 s3, s3, 30
	s_delay_alu instid0(VALU_DEP_2)
	v_dual_mul_f32 v22, v22, v2 :: v_dual_and_b32 v25, 0xff, v25
	s_add_i32 s2, s2, s3
	s_ashr_i32 s3, s6, 31
	s_mul_hi_u32 s4, s6, s20
	s_mul_i32 s3, s3, s20
	v_or_b32_e32 v0, v25, v0
	v_mul_f32_e32 v23, v23, v2
	s_add_i32 s4, s4, s3
	s_mul_i32 s3, s6, s20
	s_and_b32 s2, s2, -4
	v_lshlrev_b32_e32 v0, 16, v0
	;;#ASMSTART
	v_med3_f32 v23, v23, v14, v27
v_med3_f32 v24, v24, v14, v27
v_cvt_pk_fp8_f32 v25, v23, v24
	;;#ASMEND
	;;#ASMSTART
	v_med3_f32 v21, v21, v14, v27
v_med3_f32 v22, v22, v14, v27
v_cvt_pk_fp8_f32 v23, v21, v22
	;;#ASMEND
	v_lshlrev_b32_e32 v21, 16, v23
	s_waitcnt lgkmcnt(0)
	s_add_u32 s0, s0, s3
	v_and_or_b32 v0, 0xffff, v1, v0
	s_addc_u32 s1, s1, s4
	s_mov_b32 s3, -1
	v_and_or_b32 v1, 0xffff, v25, v21
	s_and_b32 s1, s1, 0xffff
	v_mul_f32_e32 v19, v19, v2
	v_mul_f32_e32 v20, v20, v2
	;; [unrolled: 1-line block ×4, first 2 shown]
	buffer_store_b64 v[0:1], v13, s[0:3], 0 offen
	;;#ASMSTART
	s_nop 0
	;;#ASMEND
	;;#ASMSTART
	v_med3_f32 v19, v19, v14, v27
v_med3_f32 v20, v20, v14, v27
v_cvt_pk_fp8_f32 v0, v19, v20
	;;#ASMEND
	;;#ASMSTART
	v_med3_f32 v17, v17, v14, v27
v_med3_f32 v18, v18, v14, v27
v_cvt_pk_fp8_f32 v1, v17, v18
	;;#ASMEND
	v_perm_b32 v0, v1, v0, 0x5040100
	v_and_b32_e32 v1, 0xffffff00, v1
	v_mul_f32_e32 v15, v15, v2
	v_mul_f32_e32 v16, v16, v2
	;; [unrolled: 1-line block ×3, first 2 shown]
	v_lshrrev_b32_e32 v17, 16, v0
	v_mul_f32_e32 v12, v12, v2
	v_mul_f32_e32 v10, v10, v2
	;; [unrolled: 1-line block ×4, first 2 shown]
	v_dual_mul_f32 v8, v8, v2 :: v_dual_and_b32 v17, 0xff, v17
	v_mul_f32_e32 v6, v6, v2
	v_mul_f32_e32 v5, v5, v2
	;; [unrolled: 1-line block ×3, first 2 shown]
	s_delay_alu instid0(VALU_DEP_4) | instskip(SKIP_3) | instid1(VALU_DEP_2)
	v_or_b32_e32 v1, v17, v1
	;;#ASMSTART
	v_med3_f32 v15, v15, v14, v27
v_med3_f32 v16, v16, v14, v27
v_cvt_pk_fp8_f32 v17, v15, v16
	;;#ASMEND
	;;#ASMSTART
	v_med3_f32 v11, v11, v14, v27
v_med3_f32 v12, v12, v14, v27
v_cvt_pk_fp8_f32 v15, v11, v12
	;;#ASMEND
	v_dual_mul_f32 v2, v4, v2 :: v_dual_lshlrev_b32 v11, 16, v15
	v_lshlrev_b32_e32 v12, 16, v1
	s_delay_alu instid0(VALU_DEP_2) | instskip(NEXT) | instid1(VALU_DEP_2)
	v_and_or_b32 v1, 0xffff, v17, v11
	v_and_or_b32 v0, 0xffff, v0, v12
	buffer_store_b64 v[0:1], v13, s[0:3], 8 offen
	;;#ASMSTART
	s_nop 0
	;;#ASMEND
	;;#ASMSTART
	v_med3_f32 v10, v10, v14, v27
v_med3_f32 v9, v9, v14, v27
v_cvt_pk_fp8_f32 v0, v10, v9
	;;#ASMEND
	;;#ASMSTART
	v_med3_f32 v7, v7, v14, v27
v_med3_f32 v8, v8, v14, v27
v_cvt_pk_fp8_f32 v1, v7, v8
	;;#ASMEND
	v_perm_b32 v0, v1, v0, 0x5040100
	v_and_b32_e32 v1, 0xffffff00, v1
	;;#ASMSTART
	v_med3_f32 v6, v6, v14, v27
v_med3_f32 v5, v5, v14, v27
v_cvt_pk_fp8_f32 v4, v6, v5
	;;#ASMEND
	;;#ASMSTART
	v_med3_f32 v3, v3, v14, v27
v_med3_f32 v2, v2, v14, v27
v_cvt_pk_fp8_f32 v5, v3, v2
	;;#ASMEND
	v_lshlrev_b32_e32 v2, 16, v5
	v_lshrrev_b32_e32 v7, 16, v0
	s_delay_alu instid0(VALU_DEP_1) | instskip(NEXT) | instid1(VALU_DEP_1)
	v_and_b32_e32 v7, 0xff, v7
	v_or_b32_e32 v1, v7, v1
	s_delay_alu instid0(VALU_DEP_1) | instskip(SKIP_1) | instid1(VALU_DEP_2)
	v_lshlrev_b32_e32 v3, 16, v1
	v_and_or_b32 v1, 0xffff, v4, v2
	v_and_or_b32 v0, 0xffff, v0, v3
	buffer_store_b64 v[0:1], v13, s[0:3], 16 offen
	;;#ASMSTART
	s_nop 0
	;;#ASMEND
.LBB84_44:
	s_nop 0
	s_sendmsg sendmsg(MSG_DEALLOC_VGPRS)
	s_endpgm
.LBB84_45:
                                        ; implicit-def: $vgpr1_vgpr2
	s_branch .LBB84_32
	.section	.rodata,"a",@progbits
	.p2align	6, 0x0
	.amdhsa_kernel _ZN5aiter24add_rmsnorm_quant_kernelItDB8_Li256ELi24ELb0ELb1ELb0ELi1EEEvPT0_PT_PfS5_S5_S5_diiiiiiib
		.amdhsa_group_segment_fixed_size 64
		.amdhsa_private_segment_fixed_size 0
		.amdhsa_kernarg_size 88
		.amdhsa_user_sgpr_count 15
		.amdhsa_user_sgpr_dispatch_ptr 0
		.amdhsa_user_sgpr_queue_ptr 0
		.amdhsa_user_sgpr_kernarg_segment_ptr 1
		.amdhsa_user_sgpr_dispatch_id 0
		.amdhsa_user_sgpr_private_segment_size 0
		.amdhsa_wavefront_size32 1
		.amdhsa_uses_dynamic_stack 0
		.amdhsa_enable_private_segment 0
		.amdhsa_system_sgpr_workgroup_id_x 1
		.amdhsa_system_sgpr_workgroup_id_y 0
		.amdhsa_system_sgpr_workgroup_id_z 0
		.amdhsa_system_sgpr_workgroup_info 0
		.amdhsa_system_vgpr_workitem_id 0
		.amdhsa_next_free_vgpr 59
		.amdhsa_next_free_sgpr 29
		.amdhsa_reserve_vcc 1
		.amdhsa_float_round_mode_32 0
		.amdhsa_float_round_mode_16_64 0
		.amdhsa_float_denorm_mode_32 3
		.amdhsa_float_denorm_mode_16_64 3
		.amdhsa_dx10_clamp 1
		.amdhsa_ieee_mode 1
		.amdhsa_fp16_overflow 0
		.amdhsa_workgroup_processor_mode 1
		.amdhsa_memory_ordered 1
		.amdhsa_forward_progress 0
		.amdhsa_shared_vgpr_count 0
		.amdhsa_exception_fp_ieee_invalid_op 0
		.amdhsa_exception_fp_denorm_src 0
		.amdhsa_exception_fp_ieee_div_zero 0
		.amdhsa_exception_fp_ieee_overflow 0
		.amdhsa_exception_fp_ieee_underflow 0
		.amdhsa_exception_fp_ieee_inexact 0
		.amdhsa_exception_int_div_zero 0
	.end_amdhsa_kernel
	.section	.text._ZN5aiter24add_rmsnorm_quant_kernelItDB8_Li256ELi24ELb0ELb1ELb0ELi1EEEvPT0_PT_PfS5_S5_S5_diiiiiiib,"axG",@progbits,_ZN5aiter24add_rmsnorm_quant_kernelItDB8_Li256ELi24ELb0ELb1ELb0ELi1EEEvPT0_PT_PfS5_S5_S5_diiiiiiib,comdat
.Lfunc_end84:
	.size	_ZN5aiter24add_rmsnorm_quant_kernelItDB8_Li256ELi24ELb0ELb1ELb0ELi1EEEvPT0_PT_PfS5_S5_S5_diiiiiiib, .Lfunc_end84-_ZN5aiter24add_rmsnorm_quant_kernelItDB8_Li256ELi24ELb0ELb1ELb0ELi1EEEvPT0_PT_PfS5_S5_S5_diiiiiiib
                                        ; -- End function
	.section	.AMDGPU.csdata,"",@progbits
; Kernel info:
; codeLenInByte = 5100
; NumSgprs: 31
; NumVgprs: 59
; ScratchSize: 0
; MemoryBound: 0
; FloatMode: 240
; IeeeMode: 1
; LDSByteSize: 64 bytes/workgroup (compile time only)
; SGPRBlocks: 3
; VGPRBlocks: 7
; NumSGPRsForWavesPerEU: 31
; NumVGPRsForWavesPerEU: 59
; Occupancy: 16
; WaveLimiterHint : 0
; COMPUTE_PGM_RSRC2:SCRATCH_EN: 0
; COMPUTE_PGM_RSRC2:USER_SGPR: 15
; COMPUTE_PGM_RSRC2:TRAP_HANDLER: 0
; COMPUTE_PGM_RSRC2:TGID_X_EN: 1
; COMPUTE_PGM_RSRC2:TGID_Y_EN: 0
; COMPUTE_PGM_RSRC2:TGID_Z_EN: 0
; COMPUTE_PGM_RSRC2:TIDIG_COMP_CNT: 0
	.section	.text._ZN5aiter24add_rmsnorm_quant_kernelIDF16_DB8_Li256ELi32ELb0ELb1ELb1ELi1EEEvPT0_PT_PfS5_S5_S5_diiiiiiib,"axG",@progbits,_ZN5aiter24add_rmsnorm_quant_kernelIDF16_DB8_Li256ELi32ELb0ELb1ELb1ELi1EEEvPT0_PT_PfS5_S5_S5_diiiiiiib,comdat
	.protected	_ZN5aiter24add_rmsnorm_quant_kernelIDF16_DB8_Li256ELi32ELb0ELb1ELb1ELi1EEEvPT0_PT_PfS5_S5_S5_diiiiiiib ; -- Begin function _ZN5aiter24add_rmsnorm_quant_kernelIDF16_DB8_Li256ELi32ELb0ELb1ELb1ELi1EEEvPT0_PT_PfS5_S5_S5_diiiiiiib
	.globl	_ZN5aiter24add_rmsnorm_quant_kernelIDF16_DB8_Li256ELi32ELb0ELb1ELb1ELi1EEEvPT0_PT_PfS5_S5_S5_diiiiiiib
	.p2align	8
	.type	_ZN5aiter24add_rmsnorm_quant_kernelIDF16_DB8_Li256ELi32ELb0ELb1ELb1ELi1EEEvPT0_PT_PfS5_S5_S5_diiiiiiib,@function
_ZN5aiter24add_rmsnorm_quant_kernelIDF16_DB8_Li256ELi32ELb0ELb1ELb1ELi1EEEvPT0_PT_PfS5_S5_S5_diiiiiiib: ; @_ZN5aiter24add_rmsnorm_quant_kernelIDF16_DB8_Li256ELi32ELb0ELb1ELb1ELi1EEEvPT0_PT_PfS5_S5_S5_diiiiiiib
; %bb.0:
	s_load_b128 s[4:7], s[0:1], 0x38
	s_mov_b32 s20, s15
	s_mov_b32 s21, 0
	s_waitcnt lgkmcnt(0)
	s_ashr_i32 s3, s4, 31
	s_mov_b32 s2, s4
	s_delay_alu instid0(SALU_CYCLE_1) | instskip(NEXT) | instid1(VALU_DEP_1)
	v_cmp_ge_i64_e64 s2, s[20:21], s[2:3]
	s_and_b32 vcc_lo, exec_lo, s2
	s_cbranch_vccnz .LBB85_44
; %bb.1:
	s_clause 0x1
	s_load_b128 s[8:11], s[0:1], 0x10
	s_load_b128 s[16:19], s[0:1], 0x28
	v_lshlrev_b32_e32 v37, 5, v0
	s_ashr_i32 s2, s6, 31
	s_mul_hi_u32 s3, s6, s20
	s_mul_i32 s7, s2, s20
	v_lshlrev_b32_e32 v1, 3, v0
	v_and_b32_e32 v2, 0x7c00, v37
	s_mul_i32 s2, s6, s20
	s_add_i32 s3, s3, s7
	s_mov_b32 s15, -1
	s_lshl_b64 s[2:3], s[2:3], 1
	v_and_or_b32 v17, 0xf8, v1, v2
	s_mov_b32 s27, s15
	s_delay_alu instid0(VALU_DEP_1)
	v_lshlrev_b32_e32 v1, 1, v17
	s_waitcnt lgkmcnt(0)
	s_add_u32 s12, s10, s2
	s_addc_u32 s2, s11, s3
	s_add_i32 s3, s5, 1
	s_and_b32 s13, s2, 0xffff
	s_lshr_b32 s6, s3, 31
	s_movk_i32 s2, 0x200
	s_add_i32 s3, s3, s6
	s_movk_i32 s6, 0x600
	s_lshl_b32 s3, s3, 1
	s_mov_b32 s24, s16
	s_and_b32 s14, s3, -4
	s_movk_i32 s3, 0x400
	s_clause 0x3
	buffer_load_b128 v[21:24], v1, s[12:15], 0 offen glc slc
	buffer_load_b128 v[25:28], v1, s[12:15], s2 offen glc slc
	;; [unrolled: 1-line block ×4, first 2 shown]
	s_and_b32 s25, s17, 0xffff
	s_mov_b32 s26, s14
	s_waitcnt vmcnt(3)
	v_lshrrev_b32_e32 v18, 16, v21
	v_lshrrev_b32_e32 v38, 16, v22
	v_cvt_f32_f16_e32 v20, v22
	v_lshrrev_b32_e32 v39, 16, v23
	v_lshrrev_b32_e32 v40, 16, v24
	v_cvt_f32_f16_e32 v19, v18
	v_cvt_f32_f16_e32 v51, v38
	s_waitcnt vmcnt(2)
	v_lshrrev_b32_e32 v41, 16, v25
	v_lshrrev_b32_e32 v42, 16, v26
	;; [unrolled: 1-line block ×3, first 2 shown]
	v_mul_f32_e32 v18, v19, v19
	v_lshrrev_b32_e32 v44, 16, v28
	s_waitcnt vmcnt(1)
	v_lshrrev_b32_e32 v45, 16, v29
	v_lshrrev_b32_e32 v52, 16, v30
	;; [unrolled: 1-line block ×3, first 2 shown]
	v_fma_mix_f32 v18, v21, v21, v18 op_sel_hi:[1,1,0]
	v_lshrrev_b32_e32 v55, 16, v32
	s_waitcnt vmcnt(0)
	v_lshrrev_b32_e32 v56, 16, v33
	v_lshrrev_b32_e32 v57, 16, v34
	v_lshrrev_b32_e32 v58, 16, v35
	v_fma_mix_f32 v18, v22, v22, v18 op_sel_hi:[1,1,0]
	v_cvt_f32_f16_e32 v21, v21
	v_cvt_f32_f16_e32 v50, v39
	;; [unrolled: 1-line block ×4, first 2 shown]
	v_fma_mix_f32 v18, v22, v22, v18 op_sel:[1,1,0] op_sel_hi:[1,1,0]
	v_cvt_f32_f16_e32 v22, v23
	v_cvt_f32_f16_e32 v47, v42
	;; [unrolled: 1-line block ×4, first 2 shown]
	v_fma_mix_f32 v18, v23, v23, v18 op_sel_hi:[1,1,0]
	v_cvt_f32_f16_e32 v42, v54
	v_cvt_f32_f16_e32 v40, v55
	;; [unrolled: 1-line block ×4, first 2 shown]
	v_fma_mix_f32 v18, v23, v23, v18 op_sel:[1,1,0] op_sel_hi:[1,1,0]
	v_cvt_f32_f16_e32 v23, v24
	s_delay_alu instid0(VALU_DEP_2) | instskip(NEXT) | instid1(VALU_DEP_1)
	v_fma_mix_f32 v18, v24, v24, v18 op_sel_hi:[1,1,0]
	v_fma_mix_f32 v18, v24, v24, v18 op_sel:[1,1,0] op_sel_hi:[1,1,0]
	v_cvt_f32_f16_e32 v24, v25
	s_delay_alu instid0(VALU_DEP_2) | instskip(NEXT) | instid1(VALU_DEP_1)
	v_fma_mix_f32 v18, v25, v25, v18 op_sel_hi:[1,1,0]
	;; [unrolled: 4-line block ×13, first 2 shown]
	v_fma_mix_f32 v18, v36, v36, v18 op_sel:[1,1,0] op_sel_hi:[1,1,0]
	v_lshrrev_b32_e32 v36, 16, v36
	s_delay_alu instid0(VALU_DEP_2) | instskip(NEXT) | instid1(VALU_DEP_2)
	v_mov_b32_dpp v46, v18 quad_perm:[1,0,3,2] row_mask:0xf bank_mask:0xf
	v_cvt_f32_f16_e32 v36, v36
	s_delay_alu instid0(VALU_DEP_2) | instskip(NEXT) | instid1(VALU_DEP_1)
	v_add_f32_e32 v18, v18, v46
	v_mov_b32_dpp v46, v18 quad_perm:[2,3,0,1] row_mask:0xf bank_mask:0xf
	s_delay_alu instid0(VALU_DEP_1)
	v_add_f32_e32 v18, v18, v46
	s_clause 0x3
	buffer_load_b128 v[13:16], v1, s[24:27], 0 offen
	buffer_load_b128 v[9:12], v1, s[24:27], s2 offen
	;; [unrolled: 1-line block ×4, first 2 shown]
	v_cvt_f32_f16_e32 v46, v43
	v_cvt_f32_f16_e32 v43, v52
	v_mov_b32_dpp v38, v18 row_xmask:7 row_mask:0xf bank_mask:0xf
	s_delay_alu instid0(VALU_DEP_1) | instskip(SKIP_1) | instid1(VALU_DEP_2)
	v_dual_add_f32 v18, v18, v38 :: v_dual_and_b32 v53, 31, v0
	v_cvt_f32_f16_e32 v38, v58
	v_cmp_eq_u32_e64 s2, 31, v53
	s_delay_alu instid0(VALU_DEP_3) | instskip(NEXT) | instid1(VALU_DEP_2)
	v_mov_b32_dpp v52, v18 row_xmask:15 row_mask:0xf bank_mask:0xf
	s_and_saveexec_b32 s3, s2
	s_cbranch_execz .LBB85_3
; %bb.2:
	s_delay_alu instid0(VALU_DEP_1) | instskip(SKIP_2) | instid1(VALU_DEP_2)
	v_add_f32_e32 v18, v18, v52
	s_mov_b32 s6, 0x76543210
	v_lshrrev_b32_e32 v52, 3, v0
	v_permlanex16_b32 v53, v18, s6, 0xfedcba98 op_sel:[1,1]
	s_delay_alu instid0(VALU_DEP_2) | instskip(NEXT) | instid1(VALU_DEP_2)
	v_and_b32_e32 v52, 0x7c, v52
	v_add_f32_e32 v18, v18, v53
	ds_store_b32 v52, v18 offset:32
.LBB85_3:
	s_or_b32 exec_lo, exec_lo, s3
	v_and_b32_e32 v18, 7, v0
	s_waitcnt vmcnt(0) lgkmcnt(0)
	s_barrier
	buffer_gl0_inv
	v_cvt_f32_i32_e32 v54, s5
	v_dual_mov_b32 v69, 0x2edbe6ff :: v_dual_lshlrev_b32 v18, 2, v18
	v_cvt_f32_f16_e32 v59, v11
	v_lshrrev_b32_e32 v11, 16, v11
	v_cvt_f32_f16_e32 v64, v8
	ds_load_b32 v52, v18 offset:32
	v_cvt_f32_f16_e32 v61, v5
	v_lshrrev_b32_e32 v5, 16, v5
	v_cvt_f32_f16_e32 v63, v7
	v_lshrrev_b32_e32 v7, 16, v7
	v_cvt_f32_f16_e32 v11, v11
	v_cvt_f32_f16_e32 v60, v12
	v_lshrrev_b32_e32 v12, 16, v12
	v_cvt_f32_f16_e32 v62, v6
	v_lshrrev_b32_e32 v6, 16, v6
	v_lshrrev_b32_e32 v8, 16, v8
	v_cvt_f32_f16_e32 v65, v1
	v_lshrrev_b32_e32 v1, 16, v1
	v_cvt_f32_f16_e32 v67, v2
	;; [unrolled: 2-line block ×3, first 2 shown]
	v_cvt_f32_f16_e32 v7, v7
	s_clause 0x1
	s_load_b64 s[6:7], s[0:1], 0x4c
	s_load_b32 s10, s[0:1], 0x54
	v_cvt_f32_f16_e32 v68, v4
	v_cvt_f32_f16_e32 v12, v12
	s_waitcnt lgkmcnt(0)
	v_mov_b32_dpp v53, v52 quad_perm:[1,0,3,2] row_mask:0xf bank_mask:0xf
	v_cvt_f32_f16_e32 v6, v6
	v_cvt_f32_f16_e32 v8, v8
	;; [unrolled: 1-line block ×4, first 2 shown]
	v_add_f32_e32 v52, v52, v53
	v_lshrrev_b32_e32 v4, 16, v4
	s_delay_alu instid0(VALU_DEP_2) | instskip(NEXT) | instid1(VALU_DEP_2)
	v_mov_b32_dpp v53, v52 quad_perm:[2,3,0,1] row_mask:0xf bank_mask:0xf
	v_cvt_f32_f16_e32 v4, v4
	s_delay_alu instid0(VALU_DEP_2) | instskip(SKIP_1) | instid1(VALU_DEP_1)
	v_add_f32_e32 v52, v52, v53
	s_cmp_lg_u32 s7, 0
	v_mov_b32_dpp v53, v52 row_xmask:7 row_mask:0xf bank_mask:0xf
	s_delay_alu instid0(VALU_DEP_1) | instskip(NEXT) | instid1(VALU_DEP_1)
	v_add_f32_e32 v52, v52, v53
	v_div_scale_f32 v53, null, v54, v54, v52
	v_div_scale_f32 v57, vcc_lo, v52, v54, v52
	s_delay_alu instid0(VALU_DEP_2) | instskip(SKIP_2) | instid1(VALU_DEP_1)
	v_rcp_f32_e32 v55, v53
	s_waitcnt_depctr 0xfff
	v_fma_f32 v56, -v53, v55, 1.0
	v_fmac_f32_e32 v55, v56, v55
	s_delay_alu instid0(VALU_DEP_1) | instskip(NEXT) | instid1(VALU_DEP_1)
	v_mul_f32_e32 v56, v57, v55
	v_fma_f32 v58, -v53, v56, v57
	s_delay_alu instid0(VALU_DEP_1) | instskip(SKIP_2) | instid1(VALU_DEP_3)
	v_fmac_f32_e32 v56, v58, v55
	v_cvt_f32_f16_e32 v58, v10
	v_lshrrev_b32_e32 v10, 16, v10
	v_fma_f32 v53, -v53, v56, v57
	v_cvt_f32_f16_e32 v57, v9
	v_lshrrev_b32_e32 v9, 16, v9
	s_delay_alu instid0(VALU_DEP_4) | instskip(NEXT) | instid1(VALU_DEP_4)
	v_cvt_f32_f16_e32 v10, v10
	v_div_fmas_f32 v53, v53, v55, v56
	v_cvt_f32_f16_e32 v56, v16
	v_cvt_f32_f16_e32 v55, v15
	v_lshrrev_b32_e32 v15, 16, v15
	v_cvt_f32_f16_e32 v9, v9
	v_div_fixup_f32 v52, v53, v54, v52
	v_cvt_f32_f16_e32 v54, v14
	v_lshrrev_b32_e32 v14, 16, v14
	v_lshrrev_b32_e32 v16, 16, v16
	v_cvt_f32_f16_e32 v15, v15
	v_cvt_f64_f32_e32 v[52:53], v52
	s_delay_alu instid0(VALU_DEP_4) | instskip(NEXT) | instid1(VALU_DEP_4)
	v_cvt_f32_f16_e32 v14, v14
	v_cvt_f32_f16_e32 v16, v16
	s_delay_alu instid0(VALU_DEP_3) | instskip(NEXT) | instid1(VALU_DEP_1)
	v_add_f64 v[52:53], v[52:53], s[18:19]
	v_cvt_f32_f64_e32 v52, v[52:53]
	v_cvt_f32_f16_e32 v53, v13
	v_lshrrev_b32_e32 v13, 16, v13
	s_delay_alu instid0(VALU_DEP_1) | instskip(NEXT) | instid1(VALU_DEP_4)
	v_cvt_f32_f16_e32 v13, v13
	v_mul_f32_e32 v66, 0x4b800000, v52
	v_cmp_gt_f32_e32 vcc_lo, 0x800000, v52
	s_delay_alu instid0(VALU_DEP_2) | instskip(SKIP_2) | instid1(VALU_DEP_3)
	v_cndmask_b32_e32 v52, v52, v66, vcc_lo
	v_cvt_f32_f16_e32 v66, v3
	v_lshrrev_b32_e32 v3, 16, v3
	v_rsq_f32_e32 v52, v52
	s_delay_alu instid0(VALU_DEP_1) | instskip(SKIP_2) | instid1(VALU_DEP_1)
	v_cvt_f32_f16_e32 v3, v3
	s_waitcnt_depctr 0xfff
	v_mul_f32_e32 v70, 0x45800000, v52
	v_cndmask_b32_e32 v52, v52, v70, vcc_lo
	s_delay_alu instid0(VALU_DEP_1) | instskip(SKIP_2) | instid1(VALU_DEP_3)
	v_mul_f32_e32 v23, v52, v23
	v_mul_f32_e32 v70, v52, v26
	v_mul_f32_e32 v73, v52, v29
	v_mul_f32_e32 v29, v23, v56
	s_delay_alu instid0(VALU_DEP_3)
	v_mul_f32_e32 v23, v70, v59
	v_mul_f32_e32 v21, v52, v21
	;; [unrolled: 1-line block ×11, first 2 shown]
	v_dual_mul_f32 v35, v21, v53 :: v_dual_mul_f32 v72, v52, v28
	v_dual_mul_f32 v28, v49, v9 :: v_dual_mul_f32 v71, v52, v27
	v_mul_f32_e32 v26, v47, v10
	v_mul_f32_e32 v22, v52, v22
	v_mul_f32_e32 v48, v52, v48
	v_mul_f32_e32 v25, v52, v25
	v_mul_f32_e32 v74, v52, v30
	v_mul_f32_e32 v76, v52, v32
	v_mul_f32_e32 v41, v52, v41
	v_mul_f32_e32 v24, v52, v24
	v_mul_f32_e32 v39, v52, v39
	v_mul_f32_e32 v43, v52, v43
	v_mul_f32_e32 v75, v52, v31
	v_mul_f32_e32 v78, v52, v34
	v_mul_f32_e32 v77, v52, v33
	v_mul_f32_e32 v46, v52, v46
	v_mul_f32_e32 v38, v52, v38
	v_mul_f32_e32 v44, v52, v44
	v_mul_f32_e32 v34, v51, v14
	v_mul_f32_e32 v40, v52, v40
	v_dual_mul_f32 v52, v52, v36 :: v_dual_and_b32 v47, 0x7fffffff, v26
	v_mul_f32_e32 v36, v19, v13
	v_mul_f32_e32 v21, v71, v60
	v_mul_f32_e32 v31, v22, v55
	v_mul_f32_e32 v13, v42, v7
	v_dual_mul_f32 v32, v50, v15 :: v_dual_mul_f32 v19, v45, v5
	v_mul_f32_e32 v33, v20, v54
	v_mul_f32_e32 v7, v77, v67
	v_dual_mul_f32 v5, v38, v3 :: v_dual_mul_f32 v22, v44, v12
	s_delay_alu instid0(VALU_DEP_4)
	v_dual_mul_f32 v12, v40, v8 :: v_dual_and_b32 v53, 0x7fffffff, v19
	v_and_b32_e32 v40, 0x7fffffff, v31
	v_dual_mul_f32 v3, v79, v68 :: v_dual_and_b32 v38, 0x7fffffff, v33
	v_dual_mul_f32 v14, v74, v63 :: v_dual_mul_f32 v9, v41, v1
	v_dual_mul_f32 v27, v24, v57 :: v_dual_mul_f32 v24, v46, v11
	;; [unrolled: 1-line block ×3, first 2 shown]
	v_and_b32_e32 v51, 0x7fffffff, v22
	v_and_b32_e32 v1, 0x7fffffff, v35
	v_mul_f32_e32 v25, v25, v58
	v_mul_f32_e32 v8, v39, v2
	v_and_b32_e32 v2, 0x7fffffff, v36
	;;#ASMSTART
	v_max3_f32 v1, v69, v1, v2

	;;#ASMEND
	v_and_b32_e32 v39, 0x7fffffff, v34
	;;#ASMSTART
	v_max3_f32 v1, v1, v38, v39

	;;#ASMEND
	;; [unrolled: 5-line block ×3, first 2 shown]
	v_mul_f32_e32 v16, v43, v6
	v_mul_f32_e32 v20, v72, v61
	v_and_b32_e32 v42, 0x7fffffff, v29
	v_and_b32_e32 v43, 0x7fffffff, v30
	;;#ASMSTART
	v_max3_f32 v1, v1, v42, v43

	;;#ASMEND
	v_and_b32_e32 v55, 0x7fffffff, v16
	v_and_b32_e32 v45, 0x7fffffff, v28
	;; [unrolled: 1-line block ×4, first 2 shown]
	;;#ASMSTART
	v_max3_f32 v1, v1, v44, v45

	;;#ASMEND
	v_and_b32_e32 v46, 0x7fffffff, v25
	;;#ASMSTART
	v_max3_f32 v1, v1, v46, v47

	;;#ASMEND
	v_mul_f32_e32 v11, v75, v64
	v_and_b32_e32 v49, 0x7fffffff, v24
	;;#ASMSTART
	v_max3_f32 v1, v1, v48, v49

	;;#ASMEND
	v_and_b32_e32 v50, 0x7fffffff, v21
	v_and_b32_e32 v57, 0x7fffffff, v13
	v_dual_mul_f32 v10, v76, v65 :: v_dual_and_b32 v59, 0x7fffffff, v12
	;;#ASMSTART
	v_max3_f32 v1, v1, v50, v51

	;;#ASMEND
	v_dual_mul_f32 v4, v52, v4 :: v_dual_and_b32 v61, 0x7fffffff, v9
	v_and_b32_e32 v52, 0x7fffffff, v20
	;;#ASMSTART
	v_max3_f32 v1, v1, v52, v53

	;;#ASMEND
	v_mul_f32_e32 v6, v78, v66
	v_and_b32_e32 v54, 0x7fffffff, v15
	;;#ASMSTART
	v_max3_f32 v1, v1, v54, v55

	;;#ASMEND
	v_and_b32_e32 v56, 0x7fffffff, v14
	;;#ASMSTART
	v_max3_f32 v1, v1, v56, v57

	;;#ASMEND
	;; [unrolled: 5-line block ×4, first 2 shown]
	v_and_b32_e32 v62, 0x7fffffff, v7
	v_and_b32_e32 v63, 0x7fffffff, v8
	;;#ASMSTART
	v_max3_f32 v1, v1, v62, v63

	;;#ASMEND
	v_and_b32_e32 v64, 0x7fffffff, v6
	v_and_b32_e32 v65, 0x7fffffff, v5
	;; [unrolled: 1-line block ×4, first 2 shown]
	;;#ASMSTART
	v_max3_f32 v1, v1, v64, v65

	;;#ASMEND
	;;#ASMSTART
	v_max3_f32 v38, v1, v66, v67

	;;#ASMEND
	s_cbranch_scc0 .LBB85_10
; %bb.4:
	s_ashr_i32 s11, s7, 31
	s_delay_alu instid0(SALU_CYCLE_1) | instskip(NEXT) | instid1(SALU_CYCLE_1)
	s_lshr_b32 s3, s11, 27
	s_add_i32 s3, s7, s3
	s_delay_alu instid0(SALU_CYCLE_1) | instskip(NEXT) | instid1(SALU_CYCLE_1)
	s_ashr_i32 s3, s3, 5
	s_cmp_lt_i32 s3, 8
	s_cbranch_scc1 .LBB85_11
; %bb.5:
	s_cmp_lt_i32 s3, 16
	s_cbranch_scc1 .LBB85_12
; %bb.6:
	s_cmp_lt_i32 s3, 32
	s_cbranch_scc1 .LBB85_13
; %bb.7:
	v_mov_b32_e32 v1, v38
	s_cmp_eq_u32 s3, 32
	s_cbranch_scc0 .LBB85_9
; %bb.8:
	s_delay_alu instid0(VALU_DEP_1) | instskip(SKIP_1) | instid1(VALU_DEP_1)
	v_mov_b32_dpp v1, v38 quad_perm:[1,0,3,2] row_mask:0xf bank_mask:0xf
	s_mov_b32 s12, 0x76543210
	v_cmp_gt_f32_e32 vcc_lo, v38, v1
	v_cndmask_b32_e32 v1, v1, v38, vcc_lo
	s_delay_alu instid0(VALU_DEP_1) | instskip(NEXT) | instid1(VALU_DEP_1)
	v_mov_b32_dpp v2, v1 quad_perm:[2,3,0,1] row_mask:0xf bank_mask:0xf
	v_cmp_gt_f32_e32 vcc_lo, v1, v2
	v_cndmask_b32_e32 v1, v2, v1, vcc_lo
	s_delay_alu instid0(VALU_DEP_1) | instskip(NEXT) | instid1(VALU_DEP_1)
	v_mov_b32_dpp v2, v1 row_xmask:7 row_mask:0xf bank_mask:0xf
	v_cmp_gt_f32_e32 vcc_lo, v1, v2
	v_cndmask_b32_e32 v1, v2, v1, vcc_lo
	s_delay_alu instid0(VALU_DEP_1) | instskip(NEXT) | instid1(VALU_DEP_1)
	v_mov_b32_dpp v2, v1 row_xmask:15 row_mask:0xf bank_mask:0xf
	v_cmp_gt_f32_e32 vcc_lo, v1, v2
	v_cndmask_b32_e32 v1, v2, v1, vcc_lo
	s_delay_alu instid0(VALU_DEP_1) | instskip(NEXT) | instid1(VALU_DEP_1)
	v_permlanex16_b32 v2, v1, s12, 0xfedcba98 op_sel:[1,1]
	v_cmp_gt_f32_e32 vcc_lo, v1, v2
	v_cndmask_b32_e32 v1, v2, v1, vcc_lo
.LBB85_9:
	s_mov_b32 s12, 0
	s_branch .LBB85_14
.LBB85_10:
	s_mov_b32 s3, 0
                                        ; implicit-def: $vgpr37
                                        ; implicit-def: $vgpr1_vgpr2
	s_and_b32 vcc_lo, exec_lo, s15
	s_cbranch_vccnz .LBB85_38
	s_branch .LBB85_41
.LBB85_11:
                                        ; implicit-def: $vgpr1
	s_branch .LBB85_21
.LBB85_12:
                                        ; implicit-def: $vgpr1
	s_branch .LBB85_18
.LBB85_13:
	s_mov_b32 s12, -1
                                        ; implicit-def: $vgpr1
.LBB85_14:
	s_delay_alu instid0(SALU_CYCLE_1)
	s_and_not1_b32 vcc_lo, exec_lo, s12
	s_cbranch_vccnz .LBB85_17
; %bb.15:
	v_mov_b32_e32 v1, v38
	s_cmp_eq_u32 s3, 16
	s_cbranch_scc0 .LBB85_17
; %bb.16:
	s_delay_alu instid0(VALU_DEP_1) | instskip(NEXT) | instid1(VALU_DEP_1)
	v_mov_b32_dpp v1, v38 quad_perm:[1,0,3,2] row_mask:0xf bank_mask:0xf
	v_cmp_gt_f32_e32 vcc_lo, v38, v1
	v_cndmask_b32_e32 v1, v1, v38, vcc_lo
	s_delay_alu instid0(VALU_DEP_1) | instskip(NEXT) | instid1(VALU_DEP_1)
	v_mov_b32_dpp v2, v1 quad_perm:[2,3,0,1] row_mask:0xf bank_mask:0xf
	v_cmp_gt_f32_e32 vcc_lo, v1, v2
	v_cndmask_b32_e32 v1, v2, v1, vcc_lo
	s_delay_alu instid0(VALU_DEP_1) | instskip(NEXT) | instid1(VALU_DEP_1)
	v_mov_b32_dpp v2, v1 row_half_mirror row_mask:0xf bank_mask:0xf
	v_cmp_gt_f32_e32 vcc_lo, v1, v2
	v_cndmask_b32_e32 v1, v2, v1, vcc_lo
	s_delay_alu instid0(VALU_DEP_1) | instskip(NEXT) | instid1(VALU_DEP_1)
	v_mov_b32_dpp v2, v1 row_mirror row_mask:0xf bank_mask:0xf
	v_cmp_gt_f32_e32 vcc_lo, v1, v2
	v_cndmask_b32_e32 v1, v2, v1, vcc_lo
.LBB85_17:
	s_cbranch_execnz .LBB85_20
.LBB85_18:
	v_mov_b32_e32 v1, v38
	s_cmp_eq_u32 s3, 8
	s_cbranch_scc0 .LBB85_20
; %bb.19:
	s_delay_alu instid0(VALU_DEP_1) | instskip(NEXT) | instid1(VALU_DEP_1)
	v_mov_b32_dpp v1, v38 quad_perm:[1,0,3,2] row_mask:0xf bank_mask:0xf
	v_cmp_gt_f32_e32 vcc_lo, v38, v1
	v_cndmask_b32_e32 v1, v1, v38, vcc_lo
	s_delay_alu instid0(VALU_DEP_1) | instskip(NEXT) | instid1(VALU_DEP_1)
	v_mov_b32_dpp v2, v1 quad_perm:[2,3,0,1] row_mask:0xf bank_mask:0xf
	v_cmp_gt_f32_e32 vcc_lo, v1, v2
	v_cndmask_b32_e32 v1, v2, v1, vcc_lo
	s_delay_alu instid0(VALU_DEP_1) | instskip(NEXT) | instid1(VALU_DEP_1)
	v_mov_b32_dpp v2, v1 row_half_mirror row_mask:0xf bank_mask:0xf
	v_cmp_gt_f32_e32 vcc_lo, v1, v2
	v_cndmask_b32_e32 v1, v2, v1, vcc_lo
.LBB85_20:
	s_cbranch_execnz .LBB85_28
.LBB85_21:
	s_cmp_lt_i32 s3, 4
	s_cbranch_scc1 .LBB85_24
; %bb.22:
	v_mov_b32_e32 v1, v38
	s_cmp_eq_u32 s3, 4
	s_cbranch_scc0 .LBB85_25
; %bb.23:
	s_delay_alu instid0(VALU_DEP_1) | instskip(NEXT) | instid1(VALU_DEP_1)
	v_mov_b32_dpp v1, v38 quad_perm:[1,0,3,2] row_mask:0xf bank_mask:0xf
	v_cmp_gt_f32_e32 vcc_lo, v38, v1
	v_cndmask_b32_e32 v1, v1, v38, vcc_lo
	s_delay_alu instid0(VALU_DEP_1) | instskip(NEXT) | instid1(VALU_DEP_1)
	v_mov_b32_dpp v2, v1 quad_perm:[2,3,0,1] row_mask:0xf bank_mask:0xf
	v_cmp_gt_f32_e32 vcc_lo, v1, v2
	v_cndmask_b32_e32 v1, v2, v1, vcc_lo
	s_cbranch_execz .LBB85_26
	s_branch .LBB85_28
.LBB85_24:
                                        ; implicit-def: $vgpr1
	s_branch .LBB85_26
.LBB85_25:
	s_cbranch_execnz .LBB85_28
.LBB85_26:
	v_mov_b32_e32 v1, v38
	s_cmp_lg_u32 s3, 2
	s_cbranch_scc1 .LBB85_28
; %bb.27:
	s_delay_alu instid0(VALU_DEP_1) | instskip(NEXT) | instid1(VALU_DEP_1)
	v_mov_b32_dpp v1, v38 quad_perm:[1,0,3,2] row_mask:0xf bank_mask:0xf
	v_cmp_gt_f32_e32 vcc_lo, v38, v1
	v_cndmask_b32_e32 v1, v1, v38, vcc_lo
.LBB85_28:
	v_cvt_f32_u32_e32 v2, s3
	s_sub_i32 s12, 0, s3
	s_mov_b32 s15, 0
	s_delay_alu instid0(VALU_DEP_1) | instskip(SKIP_2) | instid1(VALU_DEP_1)
	v_rcp_iflag_f32_e32 v2, v2
	s_waitcnt_depctr 0xfff
	v_mul_f32_e32 v2, 0x4f7ffffe, v2
	v_cvt_u32_f32_e32 v2, v2
	s_delay_alu instid0(VALU_DEP_1) | instskip(NEXT) | instid1(VALU_DEP_1)
	v_mul_lo_u32 v39, s12, v2
	v_mul_hi_u32 v39, v2, v39
	s_delay_alu instid0(VALU_DEP_1) | instskip(NEXT) | instid1(VALU_DEP_1)
	v_add_nc_u32_e32 v2, v2, v39
	v_mul_hi_u32 v2, v0, v2
	s_delay_alu instid0(VALU_DEP_1) | instskip(SKIP_1) | instid1(VALU_DEP_2)
	v_mul_lo_u32 v39, v2, s3
	v_add_nc_u32_e32 v40, 1, v2
	v_sub_nc_u32_e32 v39, v0, v39
	s_delay_alu instid0(VALU_DEP_1) | instskip(SKIP_1) | instid1(VALU_DEP_2)
	v_subrev_nc_u32_e32 v41, s3, v39
	v_cmp_le_u32_e32 vcc_lo, s3, v39
	v_dual_cndmask_b32 v2, v2, v40 :: v_dual_cndmask_b32 v39, v39, v41
	s_delay_alu instid0(VALU_DEP_1) | instskip(NEXT) | instid1(VALU_DEP_2)
	v_add_nc_u32_e32 v40, 1, v2
	v_cmp_le_u32_e32 vcc_lo, s3, v39
	s_delay_alu instid0(VALU_DEP_2) | instskip(SKIP_2) | instid1(VALU_DEP_3)
	v_cndmask_b32_e32 v39, v2, v40, vcc_lo
	v_cmp_gt_u32_e32 vcc_lo, s5, v37
	v_mul_f32_e32 v37, 0x3b124925, v1
	v_mul_lo_u32 v2, v39, s3
	s_delay_alu instid0(VALU_DEP_1) | instskip(NEXT) | instid1(VALU_DEP_1)
	v_sub_nc_u32_e32 v2, v0, v2
	v_cmp_eq_u32_e64 s3, 0, v2
                                        ; implicit-def: $vgpr1_vgpr2
	s_delay_alu instid0(VALU_DEP_1) | instskip(SKIP_2) | instid1(SALU_CYCLE_1)
	s_and_b32 s12, s3, vcc_lo
	s_mov_b32 s3, 0
	s_and_saveexec_b32 s13, s12
	s_xor_b32 s14, exec_lo, s13
	s_cbranch_execz .LBB85_37
; %bb.29:
	s_bitcmp0_b32 s10, 0
	s_mov_b32 s16, 0
	s_cbranch_scc0 .LBB85_34
; %bb.30:
	s_ashr_i32 s3, s5, 31
	s_mul_hi_u32 s10, s5, s20
	s_mul_i32 s3, s3, s20
	s_mul_i32 s12, s5, s20
	s_add_i32 s13, s10, s3
	s_mov_b32 s10, s7
	s_delay_alu instid0(SALU_CYCLE_1) | instskip(NEXT) | instid1(SALU_CYCLE_1)
	s_or_b64 s[18:19], s[12:13], s[10:11]
	s_mov_b32 s17, s19
	s_delay_alu instid0(SALU_CYCLE_1)
	s_cmp_lg_u64 s[16:17], 0
	s_cbranch_scc0 .LBB85_45
; %bb.31:
	s_add_u32 s18, s10, s11
	s_mov_b32 s16, s11
	s_mov_b32 s17, s11
	s_addc_u32 s19, s11, s11
	s_delay_alu instid0(SALU_CYCLE_1) | instskip(NEXT) | instid1(SALU_CYCLE_1)
	s_xor_b64 s[18:19], s[18:19], s[16:17]
	v_cvt_f32_u32_e32 v1, s18
	v_cvt_f32_u32_e32 v2, s19
	s_sub_u32 s11, 0, s18
	s_subb_u32 s22, 0, s19
	s_delay_alu instid0(VALU_DEP_1) | instskip(NEXT) | instid1(VALU_DEP_1)
	v_fmamk_f32 v1, v2, 0x4f800000, v1
	v_rcp_f32_e32 v1, v1
	s_waitcnt_depctr 0xfff
	v_mul_f32_e32 v1, 0x5f7ffffc, v1
	s_delay_alu instid0(VALU_DEP_1) | instskip(NEXT) | instid1(VALU_DEP_1)
	v_mul_f32_e32 v2, 0x2f800000, v1
	v_trunc_f32_e32 v2, v2
	s_delay_alu instid0(VALU_DEP_1) | instskip(SKIP_1) | instid1(VALU_DEP_2)
	v_fmamk_f32 v1, v2, 0xcf800000, v1
	v_cvt_u32_f32_e32 v2, v2
	v_cvt_u32_f32_e32 v1, v1
	s_delay_alu instid0(VALU_DEP_2) | instskip(NEXT) | instid1(VALU_DEP_2)
	v_readfirstlane_b32 s3, v2
	v_readfirstlane_b32 s7, v1
	s_delay_alu instid0(VALU_DEP_2) | instskip(NEXT) | instid1(VALU_DEP_1)
	s_mul_i32 s23, s11, s3
	s_mul_hi_u32 s25, s11, s7
	s_mul_i32 s24, s22, s7
	s_add_i32 s23, s25, s23
	s_mul_i32 s26, s11, s7
	s_add_i32 s23, s23, s24
	s_mul_hi_u32 s25, s7, s26
	s_mul_hi_u32 s27, s3, s26
	s_mul_i32 s24, s3, s26
	s_mul_hi_u32 s26, s7, s23
	s_mul_i32 s7, s7, s23
	s_mul_hi_u32 s28, s3, s23
	s_add_u32 s7, s25, s7
	s_addc_u32 s25, 0, s26
	s_add_u32 s7, s7, s24
	s_mul_i32 s23, s3, s23
	s_addc_u32 s7, s25, s27
	s_addc_u32 s24, s28, 0
	s_add_u32 s7, s7, s23
	s_addc_u32 s23, 0, s24
	v_add_co_u32 v1, s7, v1, s7
	s_delay_alu instid0(VALU_DEP_1) | instskip(SKIP_1) | instid1(VALU_DEP_1)
	s_cmp_lg_u32 s7, 0
	s_addc_u32 s3, s3, s23
	v_readfirstlane_b32 s7, v1
	s_mul_i32 s23, s11, s3
	s_delay_alu instid0(VALU_DEP_1)
	s_mul_hi_u32 s24, s11, s7
	s_mul_i32 s22, s22, s7
	s_add_i32 s23, s24, s23
	s_mul_i32 s11, s11, s7
	s_add_i32 s23, s23, s22
	s_mul_hi_u32 s24, s3, s11
	s_mul_i32 s25, s3, s11
	s_mul_hi_u32 s11, s7, s11
	s_mul_hi_u32 s26, s7, s23
	s_mul_i32 s7, s7, s23
	s_mul_hi_u32 s22, s3, s23
	s_add_u32 s7, s11, s7
	s_addc_u32 s11, 0, s26
	s_add_u32 s7, s7, s25
	s_mul_i32 s23, s3, s23
	s_addc_u32 s7, s11, s24
	s_addc_u32 s11, s22, 0
	s_add_u32 s7, s7, s23
	s_addc_u32 s11, 0, s11
	v_add_co_u32 v1, s7, v1, s7
	s_delay_alu instid0(VALU_DEP_1) | instskip(SKIP_2) | instid1(VALU_DEP_1)
	s_cmp_lg_u32 s7, 0
	s_addc_u32 s3, s3, s11
	s_ashr_i32 s22, s13, 31
	v_readfirstlane_b32 s7, v1
	s_add_u32 s24, s12, s22
	s_mov_b32 s23, s22
	s_addc_u32 s25, s13, s22
	s_delay_alu instid0(SALU_CYCLE_1) | instskip(NEXT) | instid1(SALU_CYCLE_1)
	s_xor_b64 s[24:25], s[24:25], s[22:23]
	s_mul_i32 s13, s24, s3
	s_mul_hi_u32 s26, s24, s7
	s_mul_hi_u32 s11, s24, s3
	s_mul_hi_u32 s28, s25, s7
	s_mul_i32 s7, s25, s7
	s_add_u32 s13, s26, s13
	s_addc_u32 s11, 0, s11
	s_mul_hi_u32 s27, s25, s3
	s_add_u32 s7, s13, s7
	s_mul_i32 s3, s25, s3
	s_addc_u32 s7, s11, s28
	s_addc_u32 s11, s27, 0
	s_add_u32 s7, s7, s3
	s_addc_u32 s11, 0, s11
	s_mul_i32 s27, s18, s7
	s_mul_hi_u32 s3, s18, s7
	s_mul_i32 s26, s18, s11
	v_sub_co_u32 v1, s24, s24, s27
	s_mul_i32 s13, s19, s7
	s_add_i32 s3, s3, s26
	s_delay_alu instid0(SALU_CYCLE_1) | instskip(NEXT) | instid1(VALU_DEP_1)
	s_add_i32 s3, s3, s13
	v_sub_co_u32 v2, s26, v1, s18
	s_sub_i32 s13, s25, s3
	s_cmp_lg_u32 s24, 0
	s_subb_u32 s13, s13, s19
	s_cmp_lg_u32 s26, 0
	v_cmp_le_u32_e32 vcc_lo, s18, v2
	s_subb_u32 s13, s13, 0
	s_delay_alu instid0(SALU_CYCLE_1)
	s_cmp_ge_u32 s13, s19
	v_cndmask_b32_e64 v2, 0, -1, vcc_lo
	s_cselect_b32 s26, -1, 0
	s_cmp_eq_u32 s13, s19
	s_cselect_b32 vcc_lo, -1, 0
	s_add_u32 s13, s7, 1
	v_cndmask_b32_e32 v2, s26, v2, vcc_lo
	s_addc_u32 s26, s11, 0
	s_add_u32 s27, s7, 2
	s_addc_u32 s28, s11, 0
	s_cmp_lg_u32 s24, 0
	v_cmp_le_u32_e32 vcc_lo, s18, v1
	s_subb_u32 s3, s25, s3
	v_mov_b32_e32 v40, s27
	s_cmp_ge_u32 s3, s19
	v_cndmask_b32_e64 v1, 0, -1, vcc_lo
	s_cselect_b32 s18, -1, 0
	s_cmp_eq_u32 s3, s19
	v_cmp_ne_u32_e32 vcc_lo, 0, v2
	v_mov_b32_e32 v2, s28
	s_cselect_b32 s3, -1, 0
	s_xor_b64 s[16:17], s[22:23], s[16:17]
	v_cndmask_b32_e64 v1, s18, v1, s3
	v_cndmask_b32_e32 v40, s13, v40, vcc_lo
	v_cndmask_b32_e32 v2, s26, v2, vcc_lo
	s_delay_alu instid0(VALU_DEP_3) | instskip(NEXT) | instid1(VALU_DEP_2)
	v_cmp_ne_u32_e32 vcc_lo, 0, v1
	v_cndmask_b32_e32 v1, s11, v2, vcc_lo
	s_delay_alu instid0(VALU_DEP_4) | instskip(NEXT) | instid1(VALU_DEP_2)
	v_cndmask_b32_e32 v2, s7, v40, vcc_lo
	v_xor_b32_e32 v40, s17, v1
	s_delay_alu instid0(VALU_DEP_2) | instskip(NEXT) | instid1(VALU_DEP_1)
	v_xor_b32_e32 v2, s16, v2
	v_sub_co_u32 v1, vcc_lo, v2, s16
	s_delay_alu instid0(VALU_DEP_3)
	v_subrev_co_ci_u32_e32 v2, vcc_lo, s17, v40, vcc_lo
	s_cbranch_execnz .LBB85_33
.LBB85_32:
	v_cvt_f32_u32_e32 v1, s10
	s_sub_i32 s7, 0, s10
	s_delay_alu instid0(VALU_DEP_1) | instskip(SKIP_2) | instid1(VALU_DEP_1)
	v_rcp_iflag_f32_e32 v1, v1
	s_waitcnt_depctr 0xfff
	v_mul_f32_e32 v1, 0x4f7ffffe, v1
	v_cvt_u32_f32_e32 v1, v1
	s_delay_alu instid0(VALU_DEP_1) | instskip(NEXT) | instid1(VALU_DEP_1)
	v_readfirstlane_b32 s3, v1
	s_mul_i32 s7, s7, s3
	s_delay_alu instid0(SALU_CYCLE_1) | instskip(NEXT) | instid1(SALU_CYCLE_1)
	s_mul_hi_u32 s7, s3, s7
	s_add_i32 s3, s3, s7
	s_delay_alu instid0(SALU_CYCLE_1) | instskip(NEXT) | instid1(SALU_CYCLE_1)
	s_mul_hi_u32 s3, s12, s3
	s_mul_i32 s7, s3, s10
	s_add_i32 s11, s3, 1
	s_sub_i32 s7, s12, s7
	s_delay_alu instid0(SALU_CYCLE_1)
	s_sub_i32 s12, s7, s10
	s_cmp_ge_u32 s7, s10
	s_cselect_b32 s3, s11, s3
	s_cselect_b32 s7, s12, s7
	s_add_i32 s12, s3, 1
	s_cmp_ge_u32 s7, s10
	s_mov_b32 s11, 0
	s_cselect_b32 s10, s12, s3
	s_delay_alu instid0(SALU_CYCLE_1)
	v_dual_mov_b32 v1, s10 :: v_dual_mov_b32 v2, s11
.LBB85_33:
	s_delay_alu instid0(VALU_DEP_1) | instskip(NEXT) | instid1(VALU_DEP_2)
	v_add_co_u32 v1, vcc_lo, v1, v39
	v_add_co_ci_u32_e32 v2, vcc_lo, 0, v2, vcc_lo
	s_branch .LBB85_36
.LBB85_34:
                                        ; implicit-def: $vgpr1_vgpr2
	s_cbranch_execz .LBB85_36
; %bb.35:
	v_mul_lo_u32 v1, v39, s4
	s_delay_alu instid0(VALU_DEP_1) | instskip(SKIP_1) | instid1(VALU_DEP_2)
	v_ashrrev_i32_e32 v2, 31, v1
	v_add_co_u32 v1, vcc_lo, v1, s20
	v_add_co_ci_u32_e32 v2, vcc_lo, 0, v2, vcc_lo
.LBB85_36:
	s_mov_b32 s3, exec_lo
.LBB85_37:
	s_or_b32 exec_lo, exec_lo, s14
	s_delay_alu instid0(SALU_CYCLE_1)
	s_and_b32 vcc_lo, exec_lo, s15
	s_cbranch_vccz .LBB85_41
.LBB85_38:
	v_mov_b32_dpp v1, v38 quad_perm:[1,0,3,2] row_mask:0xf bank_mask:0xf
	s_delay_alu instid0(VALU_DEP_1) | instskip(SKIP_1) | instid1(VALU_DEP_1)
	v_cmp_gt_f32_e32 vcc_lo, v38, v1
	v_cndmask_b32_e32 v1, v1, v38, vcc_lo
	v_mov_b32_dpp v2, v1 quad_perm:[2,3,0,1] row_mask:0xf bank_mask:0xf
	s_delay_alu instid0(VALU_DEP_1) | instskip(SKIP_1) | instid1(VALU_DEP_1)
	v_cmp_gt_f32_e32 vcc_lo, v1, v2
	v_cndmask_b32_e32 v1, v2, v1, vcc_lo
	v_mov_b32_dpp v2, v1 row_xmask:7 row_mask:0xf bank_mask:0xf
	s_delay_alu instid0(VALU_DEP_1) | instskip(SKIP_1) | instid1(VALU_DEP_1)
	v_cmp_gt_f32_e32 vcc_lo, v1, v2
	v_cndmask_b32_e32 v1, v2, v1, vcc_lo
	v_mov_b32_dpp v2, v1 row_xmask:15 row_mask:0xf bank_mask:0xf
	s_delay_alu instid0(VALU_DEP_1)
	v_cmp_gt_f32_e32 vcc_lo, v1, v2
	s_and_saveexec_b32 s3, s2
	s_cbranch_execz .LBB85_40
; %bb.39:
	v_cndmask_b32_e32 v1, v2, v1, vcc_lo
	v_lshrrev_b32_e32 v2, 3, v0
	s_mov_b32 s2, 0x76543210
	s_delay_alu instid0(VALU_DEP_1) | instskip(NEXT) | instid1(VALU_DEP_3)
	v_and_b32_e32 v2, 0x7c, v2
	v_permlanex16_b32 v37, v1, s2, 0xfedcba98 op_sel:[1,1]
	s_delay_alu instid0(VALU_DEP_1)
	v_cmp_gt_f32_e32 vcc_lo, v1, v37
	v_cndmask_b32_e32 v1, v37, v1, vcc_lo
	ds_store_b32 v2, v1
.LBB85_40:
	s_or_b32 exec_lo, exec_lo, s3
	s_waitcnt lgkmcnt(0)
	s_barrier
	buffer_gl0_inv
	ds_load_b32 v1, v18
	v_cmp_eq_u32_e64 s3, 0, v0
	s_waitcnt lgkmcnt(0)
	v_mov_b32_dpp v2, v1 quad_perm:[1,0,3,2] row_mask:0xf bank_mask:0xf
	s_delay_alu instid0(VALU_DEP_1) | instskip(SKIP_1) | instid1(VALU_DEP_1)
	v_cmp_gt_f32_e32 vcc_lo, v1, v2
	v_cndmask_b32_e32 v1, v2, v1, vcc_lo
	v_mov_b32_dpp v2, v1 quad_perm:[2,3,0,1] row_mask:0xf bank_mask:0xf
	s_delay_alu instid0(VALU_DEP_1) | instskip(SKIP_1) | instid1(VALU_DEP_1)
	v_cmp_gt_f32_e32 vcc_lo, v1, v2
	v_cndmask_b32_e32 v1, v2, v1, vcc_lo
	v_mov_b32_dpp v2, v1 row_xmask:7 row_mask:0xf bank_mask:0xf
	s_delay_alu instid0(VALU_DEP_1) | instskip(SKIP_1) | instid1(VALU_DEP_1)
	v_cmp_gt_f32_e32 vcc_lo, v1, v2
	v_cndmask_b32_e32 v1, v2, v1, vcc_lo
	v_mul_f32_e32 v37, 0x3b124925, v1
	v_dual_mov_b32 v1, s20 :: v_dual_mov_b32 v2, s21
.LBB85_41:
	s_and_saveexec_b32 s2, s3
	s_cbranch_execz .LBB85_43
; %bb.42:
	s_delay_alu instid0(VALU_DEP_1) | instskip(NEXT) | instid1(VALU_DEP_1)
	v_lshlrev_b64 v[0:1], 2, v[1:2]
	v_add_co_u32 v0, vcc_lo, s8, v0
	s_delay_alu instid0(VALU_DEP_2)
	v_add_co_ci_u32_e32 v1, vcc_lo, s9, v1, vcc_lo
	global_store_b32 v[0:1], v37, off
.LBB85_43:
	s_or_b32 exec_lo, exec_lo, s2
	;;#ASMSTART
	v_rcp_f32 v2, v37
	;;#ASMEND
	v_dual_mul_f32 v0, v2, v35 :: v_dual_mov_b32 v35, 0x43e00000
	v_dual_mul_f32 v1, v2, v36 :: v_dual_mov_b32 v18, 0xc3e00000
	v_mul_f32_e32 v33, v2, v33
	v_mul_f32_e32 v34, v2, v34
	;;#ASMSTART
	v_med3_f32 v0, v0, v18, v35
v_med3_f32 v1, v1, v18, v35
v_cvt_pk_fp8_f32 v36, v0, v1
	;;#ASMEND
	;;#ASMSTART
	v_med3_f32 v33, v33, v18, v35
v_med3_f32 v34, v34, v18, v35
v_cvt_pk_fp8_f32 v0, v33, v34
	;;#ASMEND
	v_perm_b32 v1, v0, v36, 0x5040100
	s_load_b64 s[0:1], s[0:1], 0x0
	v_and_b32_e32 v0, 0xffffff00, v0
	s_add_i32 s2, s5, 3
	v_mul_f32_e32 v32, v2, v32
	v_lshrrev_b32_e32 v33, 16, v1
	s_ashr_i32 s3, s2, 31
	v_mul_f32_e32 v29, v2, v29
	s_lshr_b32 s3, s3, 30
	s_delay_alu instid0(VALU_DEP_2)
	v_dual_mul_f32 v30, v2, v30 :: v_dual_and_b32 v33, 0xff, v33
	s_add_i32 s2, s2, s3
	s_ashr_i32 s3, s6, 31
	s_mul_hi_u32 s4, s6, s20
	s_mul_i32 s3, s3, s20
	v_or_b32_e32 v0, v33, v0
	v_mul_f32_e32 v31, v2, v31
	s_add_i32 s4, s4, s3
	s_mul_i32 s3, s6, s20
	s_and_b32 s2, s2, -4
	v_lshlrev_b32_e32 v0, 16, v0
	;;#ASMSTART
	v_med3_f32 v31, v31, v18, v35
v_med3_f32 v32, v32, v18, v35
v_cvt_pk_fp8_f32 v33, v31, v32
	;;#ASMEND
	;;#ASMSTART
	v_med3_f32 v29, v29, v18, v35
v_med3_f32 v30, v30, v18, v35
v_cvt_pk_fp8_f32 v31, v29, v30
	;;#ASMEND
	v_lshlrev_b32_e32 v29, 16, v31
	s_waitcnt lgkmcnt(0)
	s_add_u32 s0, s0, s3
	v_and_or_b32 v0, 0xffff, v1, v0
	s_addc_u32 s1, s1, s4
	s_mov_b32 s3, -1
	v_and_or_b32 v1, 0xffff, v33, v29
	s_and_b32 s1, s1, 0xffff
	v_mul_f32_e32 v27, v2, v27
	v_mul_f32_e32 v28, v2, v28
	;; [unrolled: 1-line block ×4, first 2 shown]
	buffer_store_b64 v[0:1], v17, s[0:3], 0 offen
	;;#ASMSTART
	s_nop 0
	;;#ASMEND
	;;#ASMSTART
	v_med3_f32 v27, v27, v18, v35
v_med3_f32 v28, v28, v18, v35
v_cvt_pk_fp8_f32 v0, v27, v28
	;;#ASMEND
	;;#ASMSTART
	v_med3_f32 v25, v25, v18, v35
v_med3_f32 v26, v26, v18, v35
v_cvt_pk_fp8_f32 v1, v25, v26
	;;#ASMEND
	v_perm_b32 v0, v1, v0, 0x5040100
	v_and_b32_e32 v1, 0xffffff00, v1
	v_mul_f32_e32 v23, v2, v23
	v_mul_f32_e32 v24, v2, v24
	v_mul_f32_e32 v21, v2, v21
	v_lshrrev_b32_e32 v25, 16, v0
	v_mul_f32_e32 v22, v2, v22
	s_movk_i32 s4, 0x100
	v_mul_f32_e32 v20, v2, v20
	v_mul_f32_e32 v19, v2, v19
	v_and_b32_e32 v25, 0xff, v25
	v_mul_f32_e32 v15, v2, v15
	v_mul_f32_e32 v16, v2, v16
	;; [unrolled: 1-line block ×4, first 2 shown]
	v_or_b32_e32 v1, v25, v1
	;;#ASMSTART
	v_med3_f32 v23, v23, v18, v35
v_med3_f32 v24, v24, v18, v35
v_cvt_pk_fp8_f32 v25, v23, v24
	;;#ASMEND
	;;#ASMSTART
	v_med3_f32 v21, v21, v18, v35
v_med3_f32 v22, v22, v18, v35
v_cvt_pk_fp8_f32 v23, v21, v22
	;;#ASMEND
	v_lshlrev_b32_e32 v21, 16, v23
	s_delay_alu instid0(VALU_DEP_2) | instskip(SKIP_2) | instid1(VALU_DEP_4)
	v_dual_mul_f32 v11, v2, v11 :: v_dual_lshlrev_b32 v22, 16, v1
	v_mul_f32_e32 v12, v2, v12
	v_mul_f32_e32 v10, v2, v10
	v_and_or_b32 v1, 0xffff, v25, v21
	v_mul_f32_e32 v9, v2, v9
	v_and_or_b32 v0, 0xffff, v0, v22
	v_mul_f32_e32 v7, v2, v7
	v_mul_f32_e32 v8, v2, v8
	;; [unrolled: 1-line block ×4, first 2 shown]
	buffer_store_b64 v[0:1], v17, s[0:3], s4 offen
	;;#ASMSTART
	s_nop 0
	;;#ASMEND
	;;#ASMSTART
	v_med3_f32 v20, v20, v18, v35
v_med3_f32 v19, v19, v18, v35
v_cvt_pk_fp8_f32 v0, v20, v19
	;;#ASMEND
	;;#ASMSTART
	v_med3_f32 v15, v15, v18, v35
v_med3_f32 v16, v16, v18, v35
v_cvt_pk_fp8_f32 v1, v15, v16
	;;#ASMEND
	v_perm_b32 v0, v1, v0, 0x5040100
	v_and_b32_e32 v1, 0xffffff00, v1
	s_movk_i32 s4, 0x200
	v_mul_f32_e32 v3, v2, v3
	v_mul_f32_e32 v2, v2, v4
	v_lshrrev_b32_e32 v15, 16, v0
	s_delay_alu instid0(VALU_DEP_1) | instskip(NEXT) | instid1(VALU_DEP_1)
	v_and_b32_e32 v15, 0xff, v15
	v_or_b32_e32 v1, v15, v1
	;;#ASMSTART
	v_med3_f32 v14, v14, v18, v35
v_med3_f32 v13, v13, v18, v35
v_cvt_pk_fp8_f32 v15, v14, v13
	;;#ASMEND
	;;#ASMSTART
	v_med3_f32 v11, v11, v18, v35
v_med3_f32 v12, v12, v18, v35
v_cvt_pk_fp8_f32 v13, v11, v12
	;;#ASMEND
	v_lshlrev_b32_e32 v11, 16, v13
	s_delay_alu instid0(VALU_DEP_2) | instskip(NEXT) | instid1(VALU_DEP_2)
	v_lshlrev_b32_e32 v12, 16, v1
	v_and_or_b32 v1, 0xffff, v15, v11
	s_delay_alu instid0(VALU_DEP_2)
	v_and_or_b32 v0, 0xffff, v0, v12
	buffer_store_b64 v[0:1], v17, s[0:3], s4 offen
	;;#ASMSTART
	s_nop 0
	;;#ASMEND
	;;#ASMSTART
	v_med3_f32 v10, v10, v18, v35
v_med3_f32 v9, v9, v18, v35
v_cvt_pk_fp8_f32 v0, v10, v9
	;;#ASMEND
	;;#ASMSTART
	v_med3_f32 v7, v7, v18, v35
v_med3_f32 v8, v8, v18, v35
v_cvt_pk_fp8_f32 v1, v7, v8
	;;#ASMEND
	v_perm_b32 v0, v1, v0, 0x5040100
	v_and_b32_e32 v1, 0xffffff00, v1
	;;#ASMSTART
	v_med3_f32 v6, v6, v18, v35
v_med3_f32 v5, v5, v18, v35
v_cvt_pk_fp8_f32 v4, v6, v5
	;;#ASMEND
	;;#ASMSTART
	v_med3_f32 v3, v3, v18, v35
v_med3_f32 v2, v2, v18, v35
v_cvt_pk_fp8_f32 v5, v3, v2
	;;#ASMEND
	v_lshlrev_b32_e32 v2, 16, v5
	v_lshrrev_b32_e32 v7, 16, v0
	s_movk_i32 s4, 0x300
	s_delay_alu instid0(VALU_DEP_1) | instskip(NEXT) | instid1(VALU_DEP_1)
	v_and_b32_e32 v7, 0xff, v7
	v_or_b32_e32 v1, v7, v1
	s_delay_alu instid0(VALU_DEP_1) | instskip(SKIP_1) | instid1(VALU_DEP_2)
	v_lshlrev_b32_e32 v3, 16, v1
	v_and_or_b32 v1, 0xffff, v4, v2
	v_and_or_b32 v0, 0xffff, v0, v3
	buffer_store_b64 v[0:1], v17, s[0:3], s4 offen
	;;#ASMSTART
	s_nop 0
	;;#ASMEND
.LBB85_44:
	s_nop 0
	s_sendmsg sendmsg(MSG_DEALLOC_VGPRS)
	s_endpgm
.LBB85_45:
                                        ; implicit-def: $vgpr1_vgpr2
	s_branch .LBB85_32
	.section	.rodata,"a",@progbits
	.p2align	6, 0x0
	.amdhsa_kernel _ZN5aiter24add_rmsnorm_quant_kernelIDF16_DB8_Li256ELi32ELb0ELb1ELb1ELi1EEEvPT0_PT_PfS5_S5_S5_diiiiiiib
		.amdhsa_group_segment_fixed_size 64
		.amdhsa_private_segment_fixed_size 0
		.amdhsa_kernarg_size 88
		.amdhsa_user_sgpr_count 15
		.amdhsa_user_sgpr_dispatch_ptr 0
		.amdhsa_user_sgpr_queue_ptr 0
		.amdhsa_user_sgpr_kernarg_segment_ptr 1
		.amdhsa_user_sgpr_dispatch_id 0
		.amdhsa_user_sgpr_private_segment_size 0
		.amdhsa_wavefront_size32 1
		.amdhsa_uses_dynamic_stack 0
		.amdhsa_enable_private_segment 0
		.amdhsa_system_sgpr_workgroup_id_x 1
		.amdhsa_system_sgpr_workgroup_id_y 0
		.amdhsa_system_sgpr_workgroup_id_z 0
		.amdhsa_system_sgpr_workgroup_info 0
		.amdhsa_system_vgpr_workitem_id 0
		.amdhsa_next_free_vgpr 80
		.amdhsa_next_free_sgpr 29
		.amdhsa_reserve_vcc 1
		.amdhsa_float_round_mode_32 0
		.amdhsa_float_round_mode_16_64 0
		.amdhsa_float_denorm_mode_32 3
		.amdhsa_float_denorm_mode_16_64 3
		.amdhsa_dx10_clamp 1
		.amdhsa_ieee_mode 1
		.amdhsa_fp16_overflow 0
		.amdhsa_workgroup_processor_mode 1
		.amdhsa_memory_ordered 1
		.amdhsa_forward_progress 0
		.amdhsa_shared_vgpr_count 0
		.amdhsa_exception_fp_ieee_invalid_op 0
		.amdhsa_exception_fp_denorm_src 0
		.amdhsa_exception_fp_ieee_div_zero 0
		.amdhsa_exception_fp_ieee_overflow 0
		.amdhsa_exception_fp_ieee_underflow 0
		.amdhsa_exception_fp_ieee_inexact 0
		.amdhsa_exception_int_div_zero 0
	.end_amdhsa_kernel
	.section	.text._ZN5aiter24add_rmsnorm_quant_kernelIDF16_DB8_Li256ELi32ELb0ELb1ELb1ELi1EEEvPT0_PT_PfS5_S5_S5_diiiiiiib,"axG",@progbits,_ZN5aiter24add_rmsnorm_quant_kernelIDF16_DB8_Li256ELi32ELb0ELb1ELb1ELi1EEEvPT0_PT_PfS5_S5_S5_diiiiiiib,comdat
.Lfunc_end85:
	.size	_ZN5aiter24add_rmsnorm_quant_kernelIDF16_DB8_Li256ELi32ELb0ELb1ELb1ELi1EEEvPT0_PT_PfS5_S5_S5_diiiiiiib, .Lfunc_end85-_ZN5aiter24add_rmsnorm_quant_kernelIDF16_DB8_Li256ELi32ELb0ELb1ELb1ELi1EEEvPT0_PT_PfS5_S5_S5_diiiiiiib
                                        ; -- End function
	.section	.AMDGPU.csdata,"",@progbits
; Kernel info:
; codeLenInByte = 5800
; NumSgprs: 31
; NumVgprs: 80
; ScratchSize: 0
; MemoryBound: 0
; FloatMode: 240
; IeeeMode: 1
; LDSByteSize: 64 bytes/workgroup (compile time only)
; SGPRBlocks: 3
; VGPRBlocks: 9
; NumSGPRsForWavesPerEU: 31
; NumVGPRsForWavesPerEU: 80
; Occupancy: 16
; WaveLimiterHint : 0
; COMPUTE_PGM_RSRC2:SCRATCH_EN: 0
; COMPUTE_PGM_RSRC2:USER_SGPR: 15
; COMPUTE_PGM_RSRC2:TRAP_HANDLER: 0
; COMPUTE_PGM_RSRC2:TGID_X_EN: 1
; COMPUTE_PGM_RSRC2:TGID_Y_EN: 0
; COMPUTE_PGM_RSRC2:TGID_Z_EN: 0
; COMPUTE_PGM_RSRC2:TIDIG_COMP_CNT: 0
	.section	.text._ZN5aiter24add_rmsnorm_quant_kernelItDB8_Li256ELi32ELb0ELb1ELb1ELi1EEEvPT0_PT_PfS5_S5_S5_diiiiiiib,"axG",@progbits,_ZN5aiter24add_rmsnorm_quant_kernelItDB8_Li256ELi32ELb0ELb1ELb1ELi1EEEvPT0_PT_PfS5_S5_S5_diiiiiiib,comdat
	.protected	_ZN5aiter24add_rmsnorm_quant_kernelItDB8_Li256ELi32ELb0ELb1ELb1ELi1EEEvPT0_PT_PfS5_S5_S5_diiiiiiib ; -- Begin function _ZN5aiter24add_rmsnorm_quant_kernelItDB8_Li256ELi32ELb0ELb1ELb1ELi1EEEvPT0_PT_PfS5_S5_S5_diiiiiiib
	.globl	_ZN5aiter24add_rmsnorm_quant_kernelItDB8_Li256ELi32ELb0ELb1ELb1ELi1EEEvPT0_PT_PfS5_S5_S5_diiiiiiib
	.p2align	8
	.type	_ZN5aiter24add_rmsnorm_quant_kernelItDB8_Li256ELi32ELb0ELb1ELb1ELi1EEEvPT0_PT_PfS5_S5_S5_diiiiiiib,@function
_ZN5aiter24add_rmsnorm_quant_kernelItDB8_Li256ELi32ELb0ELb1ELb1ELi1EEEvPT0_PT_PfS5_S5_S5_diiiiiiib: ; @_ZN5aiter24add_rmsnorm_quant_kernelItDB8_Li256ELi32ELb0ELb1ELb1ELi1EEEvPT0_PT_PfS5_S5_S5_diiiiiiib
; %bb.0:
	s_load_b128 s[4:7], s[0:1], 0x38
	s_mov_b32 s20, s15
	s_mov_b32 s21, 0
	s_waitcnt lgkmcnt(0)
	s_ashr_i32 s3, s4, 31
	s_mov_b32 s2, s4
	s_delay_alu instid0(SALU_CYCLE_1) | instskip(NEXT) | instid1(VALU_DEP_1)
	v_cmp_ge_i64_e64 s2, s[20:21], s[2:3]
	s_and_b32 vcc_lo, exec_lo, s2
	s_cbranch_vccnz .LBB86_44
; %bb.1:
	s_clause 0x1
	s_load_b128 s[8:11], s[0:1], 0x10
	s_load_b128 s[16:19], s[0:1], 0x28
	v_lshlrev_b32_e32 v25, 5, v0
	s_ashr_i32 s2, s6, 31
	s_mul_hi_u32 s3, s6, s20
	s_mul_i32 s7, s2, s20
	v_lshlrev_b32_e32 v1, 3, v0
	v_and_b32_e32 v2, 0x7c00, v25
	s_mul_i32 s2, s6, s20
	s_add_i32 s3, s3, s7
	s_mov_b32 s15, -1
	s_lshl_b64 s[2:3], s[2:3], 1
	v_and_or_b32 v17, 0xf8, v1, v2
	s_mov_b32 s27, s15
	v_and_b32_e32 v53, 31, v0
	s_delay_alu instid0(VALU_DEP_2)
	v_lshlrev_b32_e32 v1, 1, v17
	s_waitcnt lgkmcnt(0)
	s_add_u32 s12, s10, s2
	s_addc_u32 s2, s11, s3
	s_add_i32 s3, s5, 1
	s_and_b32 s13, s2, 0xffff
	s_lshr_b32 s6, s3, 31
	s_movk_i32 s2, 0x200
	s_add_i32 s3, s3, s6
	s_movk_i32 s6, 0x600
	s_lshl_b32 s3, s3, 1
	s_mov_b32 s24, s16
	s_and_b32 s14, s3, -4
	s_movk_i32 s3, 0x400
	s_clause 0x1
	buffer_load_b128 v[26:29], v1, s[12:15], 0 offen glc slc
	buffer_load_b128 v[31:34], v1, s[12:15], s2 offen glc slc
	s_and_b32 s25, s17, 0xffff
	s_mov_b32 s26, s14
	s_waitcnt vmcnt(1)
	v_lshrrev_b32_e32 v18, 16, v26
	v_and_b32_e32 v20, 0xffff, v26
	v_lshrrev_b32_e32 v22, 16, v27
	v_lshrrev_b32_e32 v24, 16, v28
	s_waitcnt vmcnt(0)
	v_lshrrev_b32_e32 v35, 16, v34
	v_cvt_f32_u32_e32 v19, v18
	v_cvt_f32_u32_e32 v20, v20
	v_and_b32_e32 v18, 0xffff, v27
	v_cvt_f32_u32_e32 v22, v22
	v_cvt_f32_u32_e32 v24, v24
	v_mul_f32_e32 v52, v19, v19
	v_lshrrev_b32_e32 v27, 16, v29
	v_cvt_f32_u32_e32 v21, v18
	v_and_b32_e32 v18, 0xffff, v28
	v_cvt_f32_u32_e32 v35, v35
	v_fmac_f32_e32 v52, v20, v20
	s_clause 0x1
	buffer_load_b128 v[39:42], v1, s[12:15], s3 offen glc slc
	buffer_load_b128 v[47:50], v1, s[12:15], s6 offen glc slc
	s_clause 0x3
	buffer_load_b128 v[13:16], v1, s[24:27], 0 offen
	buffer_load_b128 v[9:12], v1, s[24:27], s2 offen
	buffer_load_b128 v[5:8], v1, s[24:27], s3 offen
	buffer_load_b128 v[1:4], v1, s[24:27], s6 offen
	v_cvt_f32_u32_e32 v23, v18
	v_fmac_f32_e32 v52, v21, v21
	v_and_b32_e32 v18, 0xffff, v29
	v_cvt_f32_u32_e32 v27, v27
	v_lshrrev_b32_e32 v29, 16, v31
	v_cmp_eq_u32_e64 s2, 31, v53
	v_fmac_f32_e32 v52, v22, v22
	v_cvt_f32_u32_e32 v26, v18
	v_and_b32_e32 v18, 0xffff, v31
	v_cvt_f32_u32_e32 v29, v29
	v_lshrrev_b32_e32 v31, 16, v32
	v_fmac_f32_e32 v52, v23, v23
	s_delay_alu instid0(VALU_DEP_4) | instskip(SKIP_1) | instid1(VALU_DEP_4)
	v_cvt_f32_u32_e32 v28, v18
	v_and_b32_e32 v18, 0xffff, v32
	v_cvt_f32_u32_e32 v31, v31
	s_delay_alu instid0(VALU_DEP_4) | instskip(NEXT) | instid1(VALU_DEP_3)
	v_fmac_f32_e32 v52, v24, v24
	v_cvt_f32_u32_e32 v30, v18
	v_and_b32_e32 v18, 0xffff, v33
	s_delay_alu instid0(VALU_DEP_3) | instskip(SKIP_1) | instid1(VALU_DEP_3)
	v_fmac_f32_e32 v52, v26, v26
	v_lshrrev_b32_e32 v33, 16, v33
	v_cvt_f32_u32_e32 v32, v18
	s_delay_alu instid0(VALU_DEP_3) | instskip(SKIP_1) | instid1(VALU_DEP_4)
	v_fmac_f32_e32 v52, v27, v27
	v_and_b32_e32 v18, 0xffff, v34
	v_cvt_f32_u32_e32 v33, v33
	s_delay_alu instid0(VALU_DEP_3) | instskip(NEXT) | instid1(VALU_DEP_3)
	v_fmac_f32_e32 v52, v28, v28
	v_cvt_f32_u32_e32 v34, v18
	s_delay_alu instid0(VALU_DEP_2) | instskip(NEXT) | instid1(VALU_DEP_1)
	v_fmac_f32_e32 v52, v29, v29
	v_fmac_f32_e32 v52, v30, v30
	s_delay_alu instid0(VALU_DEP_1) | instskip(NEXT) | instid1(VALU_DEP_1)
	v_fmac_f32_e32 v52, v31, v31
	v_fmac_f32_e32 v52, v32, v32
	s_delay_alu instid0(VALU_DEP_1) | instskip(NEXT) | instid1(VALU_DEP_1)
	v_fmac_f32_e32 v52, v33, v33
	v_fmac_f32_e32 v52, v34, v34
	s_delay_alu instid0(VALU_DEP_1)
	v_fmac_f32_e32 v52, v35, v35
	s_waitcnt vmcnt(5)
	v_and_b32_e32 v18, 0xffff, v39
	v_lshrrev_b32_e32 v37, 16, v39
	v_lshrrev_b32_e32 v39, 16, v40
	v_lshrrev_b32_e32 v43, 16, v42
	s_waitcnt vmcnt(4)
	v_lshrrev_b32_e32 v45, 16, v47
	v_cvt_f32_u32_e32 v36, v18
	v_and_b32_e32 v18, 0xffff, v40
	v_cvt_f32_u32_e32 v37, v37
	v_cvt_f32_u32_e32 v39, v39
	;; [unrolled: 1-line block ×3, first 2 shown]
	v_fmac_f32_e32 v52, v36, v36
	v_cvt_f32_u32_e32 v38, v18
	v_and_b32_e32 v18, 0xffff, v41
	v_lshrrev_b32_e32 v41, 16, v41
	v_cvt_f32_u32_e32 v45, v45
	v_fmac_f32_e32 v52, v37, v37
	v_lshrrev_b32_e32 v51, 16, v50
	v_cvt_f32_u32_e32 v40, v18
	v_and_b32_e32 v18, 0xffff, v42
	v_cvt_f32_u32_e32 v41, v41
	v_fmac_f32_e32 v52, v38, v38
	v_cvt_f32_u32_e32 v51, v51
	s_delay_alu instid0(VALU_DEP_4) | instskip(SKIP_1) | instid1(VALU_DEP_4)
	v_cvt_f32_u32_e32 v42, v18
	v_and_b32_e32 v18, 0xffff, v47
	v_fmac_f32_e32 v52, v39, v39
	v_lshrrev_b32_e32 v47, 16, v48
	s_delay_alu instid0(VALU_DEP_3) | instskip(NEXT) | instid1(VALU_DEP_3)
	v_cvt_f32_u32_e32 v44, v18
	v_fmac_f32_e32 v52, v40, v40
	v_and_b32_e32 v18, 0xffff, v48
	s_delay_alu instid0(VALU_DEP_4) | instskip(NEXT) | instid1(VALU_DEP_3)
	v_cvt_f32_u32_e32 v47, v47
	v_fmac_f32_e32 v52, v41, v41
	s_delay_alu instid0(VALU_DEP_3) | instskip(SKIP_2) | instid1(VALU_DEP_4)
	v_cvt_f32_u32_e32 v46, v18
	v_and_b32_e32 v18, 0xffff, v49
	v_lshrrev_b32_e32 v49, 16, v49
	v_fmac_f32_e32 v52, v42, v42
	s_delay_alu instid0(VALU_DEP_3) | instskip(SKIP_1) | instid1(VALU_DEP_4)
	v_cvt_f32_u32_e32 v48, v18
	v_and_b32_e32 v18, 0xffff, v50
	v_cvt_f32_u32_e32 v49, v49
	s_delay_alu instid0(VALU_DEP_4) | instskip(NEXT) | instid1(VALU_DEP_3)
	v_fmac_f32_e32 v52, v43, v43
	v_cvt_f32_u32_e32 v50, v18
	s_delay_alu instid0(VALU_DEP_2) | instskip(NEXT) | instid1(VALU_DEP_1)
	v_fmac_f32_e32 v52, v44, v44
	v_fmac_f32_e32 v52, v45, v45
	s_delay_alu instid0(VALU_DEP_1) | instskip(NEXT) | instid1(VALU_DEP_1)
	v_fmac_f32_e32 v52, v46, v46
	v_fmac_f32_e32 v52, v47, v47
	s_delay_alu instid0(VALU_DEP_1) | instskip(NEXT) | instid1(VALU_DEP_1)
	;; [unrolled: 3-line block ×4, first 2 shown]
	v_mov_b32_dpp v18, v52 quad_perm:[1,0,3,2] row_mask:0xf bank_mask:0xf
	v_add_f32_e32 v18, v52, v18
	s_delay_alu instid0(VALU_DEP_1) | instskip(NEXT) | instid1(VALU_DEP_1)
	v_mov_b32_dpp v52, v18 quad_perm:[2,3,0,1] row_mask:0xf bank_mask:0xf
	v_add_f32_e32 v18, v18, v52
	s_delay_alu instid0(VALU_DEP_1) | instskip(NEXT) | instid1(VALU_DEP_1)
	v_mov_b32_dpp v52, v18 row_xmask:7 row_mask:0xf bank_mask:0xf
	v_add_f32_e32 v18, v18, v52
	s_delay_alu instid0(VALU_DEP_1)
	v_mov_b32_dpp v52, v18 row_xmask:15 row_mask:0xf bank_mask:0xf
	s_and_saveexec_b32 s3, s2
	s_cbranch_execz .LBB86_3
; %bb.2:
	s_delay_alu instid0(VALU_DEP_1) | instskip(SKIP_2) | instid1(VALU_DEP_2)
	v_add_f32_e32 v18, v18, v52
	s_mov_b32 s6, 0x76543210
	v_lshrrev_b32_e32 v52, 3, v0
	v_permlanex16_b32 v53, v18, s6, 0xfedcba98 op_sel:[1,1]
	s_delay_alu instid0(VALU_DEP_2) | instskip(NEXT) | instid1(VALU_DEP_2)
	v_and_b32_e32 v52, 0x7c, v52
	v_add_f32_e32 v18, v18, v53
	ds_store_b32 v52, v18 offset:32
.LBB86_3:
	s_or_b32 exec_lo, exec_lo, s3
	v_and_b32_e32 v18, 7, v0
	s_waitcnt vmcnt(0) lgkmcnt(0)
	s_barrier
	buffer_gl0_inv
	v_cvt_f32_i32_e32 v54, s5
	v_dual_mov_b32 v69, 0x2edbe6ff :: v_dual_lshlrev_b32 v18, 2, v18
	v_and_b32_e32 v59, 0xffff, v11
	v_lshrrev_b32_e32 v11, 16, v11
	v_and_b32_e32 v61, 0xffff, v5
	ds_load_b32 v52, v18 offset:32
	v_lshrrev_b32_e32 v5, 16, v5
	s_clause 0x1
	s_load_b64 s[6:7], s[0:1], 0x4c
	s_load_b32 s10, s[0:1], 0x54
	v_cvt_f32_u32_e32 v11, v11
	v_cvt_f32_u32_e32 v59, v59
	;; [unrolled: 1-line block ×4, first 2 shown]
	s_waitcnt lgkmcnt(0)
	v_mov_b32_dpp v53, v52 quad_perm:[1,0,3,2] row_mask:0xf bank_mask:0xf
	s_cmp_lg_u32 s7, 0
	s_delay_alu instid0(VALU_DEP_1) | instskip(NEXT) | instid1(VALU_DEP_1)
	v_add_f32_e32 v52, v52, v53
	v_mov_b32_dpp v53, v52 quad_perm:[2,3,0,1] row_mask:0xf bank_mask:0xf
	s_delay_alu instid0(VALU_DEP_1) | instskip(NEXT) | instid1(VALU_DEP_1)
	v_add_f32_e32 v52, v52, v53
	v_mov_b32_dpp v53, v52 row_xmask:7 row_mask:0xf bank_mask:0xf
	s_delay_alu instid0(VALU_DEP_1) | instskip(NEXT) | instid1(VALU_DEP_1)
	v_add_f32_e32 v52, v52, v53
	v_div_scale_f32 v53, null, v54, v54, v52
	v_div_scale_f32 v57, vcc_lo, v52, v54, v52
	s_delay_alu instid0(VALU_DEP_2) | instskip(SKIP_2) | instid1(VALU_DEP_1)
	v_rcp_f32_e32 v55, v53
	s_waitcnt_depctr 0xfff
	v_fma_f32 v56, -v53, v55, 1.0
	v_fmac_f32_e32 v55, v56, v55
	s_delay_alu instid0(VALU_DEP_1) | instskip(NEXT) | instid1(VALU_DEP_1)
	v_mul_f32_e32 v56, v57, v55
	v_fma_f32 v58, -v53, v56, v57
	s_delay_alu instid0(VALU_DEP_1) | instskip(NEXT) | instid1(VALU_DEP_1)
	v_fmac_f32_e32 v56, v58, v55
	v_fma_f32 v53, -v53, v56, v57
	v_and_b32_e32 v57, 0xffff, v9
	v_lshrrev_b32_e32 v9, 16, v9
	s_delay_alu instid0(VALU_DEP_3)
	v_div_fmas_f32 v53, v53, v55, v56
	v_and_b32_e32 v55, 0xffff, v14
	v_lshrrev_b32_e32 v14, 16, v14
	v_cvt_f32_u32_e32 v57, v57
	v_cvt_f32_u32_e32 v9, v9
	v_div_fixup_f32 v52, v53, v54, v52
	v_cvt_f32_u32_e32 v55, v55
	v_cvt_f32_u32_e32 v14, v14
	s_delay_alu instid0(VALU_DEP_3) | instskip(NEXT) | instid1(VALU_DEP_1)
	v_cvt_f64_f32_e32 v[52:53], v52
	v_add_f64 v[52:53], v[52:53], s[18:19]
	s_delay_alu instid0(VALU_DEP_1) | instskip(SKIP_2) | instid1(VALU_DEP_2)
	v_cvt_f32_f64_e32 v52, v[52:53]
	v_and_b32_e32 v53, 0xffff, v15
	v_lshrrev_b32_e32 v15, 16, v15
	v_cvt_f32_u32_e32 v53, v53
	s_delay_alu instid0(VALU_DEP_2) | instskip(SKIP_4) | instid1(VALU_DEP_4)
	v_cvt_f32_u32_e32 v15, v15
	v_mul_f32_e32 v70, 0x4b800000, v52
	v_cmp_gt_f32_e32 vcc_lo, 0x800000, v52
	v_and_b32_e32 v63, 0xffff, v7
	v_lshrrev_b32_e32 v7, 16, v7
	v_cndmask_b32_e32 v52, v52, v70, vcc_lo
	s_delay_alu instid0(VALU_DEP_3) | instskip(NEXT) | instid1(VALU_DEP_3)
	v_cvt_f32_u32_e32 v63, v63
	v_cvt_f32_u32_e32 v7, v7
	s_delay_alu instid0(VALU_DEP_3) | instskip(SKIP_4) | instid1(VALU_DEP_3)
	v_rsq_f32_e32 v52, v52
	s_waitcnt_depctr 0xfff
	v_mul_f32_e32 v70, 0x45800000, v52
	v_and_b32_e32 v65, 0xffff, v1
	v_lshrrev_b32_e32 v1, 16, v1
	v_cndmask_b32_e32 v52, v52, v70, vcc_lo
	v_and_b32_e32 v54, 0xffff, v13
	v_lshrrev_b32_e32 v13, 16, v13
	v_and_b32_e32 v56, 0xffff, v16
	v_lshrrev_b32_e32 v16, 16, v16
	v_mul_f32_e32 v21, v52, v21
	v_mul_f32_e32 v19, v52, v19
	v_cvt_f32_u32_e32 v13, v13
	v_dual_mul_f32 v27, v52, v27 :: v_dual_and_b32 v60, 0xffff, v12
	v_dual_mul_f32 v29, v52, v29 :: v_dual_and_b32 v62, 0xffff, v6
	v_lshrrev_b32_e32 v6, 16, v6
	v_dual_mul_f32 v71, v52, v31 :: v_dual_and_b32 v64, 0xffff, v8
	v_dual_mul_f32 v73, v52, v33 :: v_dual_and_b32 v66, 0xffff, v2
	;; [unrolled: 1-line block ×3, first 2 shown]
	v_lshrrev_b32_e32 v3, 16, v3
	v_dual_mul_f32 v75, v52, v35 :: v_dual_and_b32 v68, 0xffff, v4
	v_cvt_f32_u32_e32 v54, v54
	v_cvt_f32_u32_e32 v16, v16
	v_mul_f32_e32 v22, v52, v22
	v_mul_f32_e32 v77, v52, v37
	v_dual_mul_f32 v37, v19, v13 :: v_dual_mul_f32 v24, v52, v24
	v_dual_mul_f32 v41, v52, v41 :: v_dual_and_b32 v58, 0xffff, v10
	v_mul_f32_e32 v23, v52, v23
	v_lshrrev_b32_e32 v10, 16, v10
	v_lshrrev_b32_e32 v12, 16, v12
	;; [unrolled: 1-line block ×4, first 2 shown]
	v_cvt_f32_u32_e32 v60, v60
	v_dual_mul_f32 v74, v52, v34 :: v_dual_mul_f32 v19, v77, v5
	v_cvt_f32_u32_e32 v56, v56
	v_dual_mul_f32 v26, v52, v26 :: v_dual_mul_f32 v31, v27, v16
	v_cvt_f32_u32_e32 v62, v62
	v_cvt_f32_u32_e32 v6, v6
	;; [unrolled: 1-line block ×6, first 2 shown]
	v_dual_mul_f32 v28, v52, v28 :: v_dual_mul_f32 v29, v29, v9
	v_mul_f32_e32 v39, v52, v39
	v_mul_f32_e32 v45, v52, v45
	v_dual_mul_f32 v49, v52, v49 :: v_dual_mul_f32 v34, v21, v55
	v_dual_mul_f32 v38, v52, v38 :: v_dual_mul_f32 v13, v41, v7
	v_mul_f32_e32 v76, v52, v36
	v_mul_f32_e32 v36, v20, v54
	v_mul_f32_e32 v35, v22, v14
	v_dual_mul_f32 v33, v24, v15 :: v_dual_mul_f32 v16, v39, v6
	v_mul_f32_e32 v24, v73, v11
	v_dual_mul_f32 v42, v52, v42 :: v_dual_mul_f32 v5, v49, v3
	v_cvt_f32_u32_e32 v58, v58
	v_cvt_f32_u32_e32 v10, v10
	;; [unrolled: 1-line block ×5, first 2 shown]
	v_dual_mul_f32 v70, v52, v30 :: v_dual_mul_f32 v21, v74, v60
	v_dual_mul_f32 v72, v52, v32 :: v_dual_mul_f32 v27, v71, v10
	;; [unrolled: 1-line block ×3, first 2 shown]
	v_mul_f32_e32 v47, v52, v47
	v_lshrrev_b32_e32 v4, 16, v4
	v_mul_f32_e32 v30, v26, v56
	v_mul_f32_e32 v26, v70, v58
	v_dual_mul_f32 v40, v52, v40 :: v_dual_mul_f32 v9, v45, v1
	v_cvt_f32_u32_e32 v65, v65
	v_cvt_f32_u32_e32 v66, v66
	v_dual_mul_f32 v46, v52, v46 :: v_dual_mul_f32 v11, v42, v64
	v_mul_f32_e32 v44, v52, v44
	v_dual_mul_f32 v50, v52, v50 :: v_dual_and_b32 v1, 0x7fffffff, v36
	v_mul_f32_e32 v28, v28, v57
	v_dual_mul_f32 v51, v52, v51 :: v_dual_mul_f32 v22, v75, v12
	v_dual_mul_f32 v23, v72, v59 :: v_dual_mul_f32 v12, v43, v8
	v_dual_mul_f32 v8, v47, v2 :: v_dual_and_b32 v45, 0x7fffffff, v29
	v_and_b32_e32 v2, 0x7fffffff, v37
	;;#ASMSTART
	v_max3_f32 v1, v69, v1, v2

	;;#ASMEND
	v_cvt_f32_u32_e32 v67, v67
	v_dual_mul_f32 v48, v52, v48 :: v_dual_and_b32 v39, 0x7fffffff, v35
	v_mul_f32_e32 v15, v38, v62
	v_and_b32_e32 v38, 0x7fffffff, v34
	;;#ASMSTART
	v_max3_f32 v1, v1, v38, v39

	;;#ASMEND
	v_cvt_f32_u32_e32 v4, v4
	v_dual_mul_f32 v14, v40, v63 :: v_dual_and_b32 v41, 0x7fffffff, v33
	v_and_b32_e32 v40, 0x7fffffff, v32
	;;#ASMSTART
	v_max3_f32 v1, v1, v40, v41

	;;#ASMEND
	v_dual_mul_f32 v20, v76, v61 :: v_dual_and_b32 v47, 0x7fffffff, v27
	v_and_b32_e32 v42, 0x7fffffff, v30
	v_and_b32_e32 v43, 0x7fffffff, v31
	;;#ASMSTART
	v_max3_f32 v1, v1, v42, v43

	;;#ASMEND
	v_dual_mul_f32 v7, v46, v66 :: v_dual_mul_f32 v10, v44, v65
	v_and_b32_e32 v49, 0x7fffffff, v24
	v_and_b32_e32 v44, 0x7fffffff, v28
	;;#ASMSTART
	v_max3_f32 v1, v1, v44, v45

	;;#ASMEND
	v_and_b32_e32 v46, 0x7fffffff, v26
	;;#ASMSTART
	v_max3_f32 v1, v1, v46, v47

	;;#ASMEND
	v_mul_f32_e32 v6, v48, v67
	v_and_b32_e32 v48, 0x7fffffff, v23
	;;#ASMSTART
	v_max3_f32 v1, v1, v48, v49

	;;#ASMEND
	v_mul_f32_e32 v3, v50, v68
	v_dual_mul_f32 v4, v51, v4 :: v_dual_and_b32 v53, 0x7fffffff, v19
	v_and_b32_e32 v50, 0x7fffffff, v21
	v_and_b32_e32 v51, 0x7fffffff, v22
	;;#ASMSTART
	v_max3_f32 v1, v1, v50, v51

	;;#ASMEND
	v_and_b32_e32 v52, 0x7fffffff, v20
	;;#ASMSTART
	v_max3_f32 v1, v1, v52, v53

	;;#ASMEND
	v_and_b32_e32 v54, 0x7fffffff, v15
	v_and_b32_e32 v55, 0x7fffffff, v16
	;;#ASMSTART
	v_max3_f32 v1, v1, v54, v55

	;;#ASMEND
	v_and_b32_e32 v56, 0x7fffffff, v14
	;; [unrolled: 6-line block ×6, first 2 shown]
	v_and_b32_e32 v65, 0x7fffffff, v5
	v_and_b32_e32 v66, 0x7fffffff, v3
	;; [unrolled: 1-line block ×3, first 2 shown]
	;;#ASMSTART
	v_max3_f32 v1, v1, v64, v65

	;;#ASMEND
	;;#ASMSTART
	v_max3_f32 v38, v1, v66, v67

	;;#ASMEND
	s_cbranch_scc0 .LBB86_10
; %bb.4:
	s_ashr_i32 s11, s7, 31
	s_delay_alu instid0(SALU_CYCLE_1) | instskip(NEXT) | instid1(SALU_CYCLE_1)
	s_lshr_b32 s3, s11, 27
	s_add_i32 s3, s7, s3
	s_delay_alu instid0(SALU_CYCLE_1) | instskip(NEXT) | instid1(SALU_CYCLE_1)
	s_ashr_i32 s3, s3, 5
	s_cmp_lt_i32 s3, 8
	s_cbranch_scc1 .LBB86_11
; %bb.5:
	s_cmp_lt_i32 s3, 16
	s_cbranch_scc1 .LBB86_12
; %bb.6:
	s_cmp_lt_i32 s3, 32
	s_cbranch_scc1 .LBB86_13
; %bb.7:
	v_mov_b32_e32 v1, v38
	s_cmp_eq_u32 s3, 32
	s_cbranch_scc0 .LBB86_9
; %bb.8:
	s_delay_alu instid0(VALU_DEP_1) | instskip(SKIP_1) | instid1(VALU_DEP_1)
	v_mov_b32_dpp v1, v38 quad_perm:[1,0,3,2] row_mask:0xf bank_mask:0xf
	s_mov_b32 s12, 0x76543210
	v_cmp_gt_f32_e32 vcc_lo, v38, v1
	v_cndmask_b32_e32 v1, v1, v38, vcc_lo
	s_delay_alu instid0(VALU_DEP_1) | instskip(NEXT) | instid1(VALU_DEP_1)
	v_mov_b32_dpp v2, v1 quad_perm:[2,3,0,1] row_mask:0xf bank_mask:0xf
	v_cmp_gt_f32_e32 vcc_lo, v1, v2
	v_cndmask_b32_e32 v1, v2, v1, vcc_lo
	s_delay_alu instid0(VALU_DEP_1) | instskip(NEXT) | instid1(VALU_DEP_1)
	v_mov_b32_dpp v2, v1 row_xmask:7 row_mask:0xf bank_mask:0xf
	v_cmp_gt_f32_e32 vcc_lo, v1, v2
	v_cndmask_b32_e32 v1, v2, v1, vcc_lo
	s_delay_alu instid0(VALU_DEP_1) | instskip(NEXT) | instid1(VALU_DEP_1)
	v_mov_b32_dpp v2, v1 row_xmask:15 row_mask:0xf bank_mask:0xf
	v_cmp_gt_f32_e32 vcc_lo, v1, v2
	v_cndmask_b32_e32 v1, v2, v1, vcc_lo
	s_delay_alu instid0(VALU_DEP_1) | instskip(NEXT) | instid1(VALU_DEP_1)
	v_permlanex16_b32 v2, v1, s12, 0xfedcba98 op_sel:[1,1]
	v_cmp_gt_f32_e32 vcc_lo, v1, v2
	v_cndmask_b32_e32 v1, v2, v1, vcc_lo
.LBB86_9:
	s_mov_b32 s12, 0
	s_branch .LBB86_14
.LBB86_10:
	s_mov_b32 s3, 0
                                        ; implicit-def: $vgpr25
                                        ; implicit-def: $vgpr1_vgpr2
	s_and_b32 vcc_lo, exec_lo, s15
	s_cbranch_vccnz .LBB86_38
	s_branch .LBB86_41
.LBB86_11:
                                        ; implicit-def: $vgpr1
	s_branch .LBB86_21
.LBB86_12:
                                        ; implicit-def: $vgpr1
	s_branch .LBB86_18
.LBB86_13:
	s_mov_b32 s12, -1
                                        ; implicit-def: $vgpr1
.LBB86_14:
	s_delay_alu instid0(SALU_CYCLE_1)
	s_and_not1_b32 vcc_lo, exec_lo, s12
	s_cbranch_vccnz .LBB86_17
; %bb.15:
	v_mov_b32_e32 v1, v38
	s_cmp_eq_u32 s3, 16
	s_cbranch_scc0 .LBB86_17
; %bb.16:
	s_delay_alu instid0(VALU_DEP_1) | instskip(NEXT) | instid1(VALU_DEP_1)
	v_mov_b32_dpp v1, v38 quad_perm:[1,0,3,2] row_mask:0xf bank_mask:0xf
	v_cmp_gt_f32_e32 vcc_lo, v38, v1
	v_cndmask_b32_e32 v1, v1, v38, vcc_lo
	s_delay_alu instid0(VALU_DEP_1) | instskip(NEXT) | instid1(VALU_DEP_1)
	v_mov_b32_dpp v2, v1 quad_perm:[2,3,0,1] row_mask:0xf bank_mask:0xf
	v_cmp_gt_f32_e32 vcc_lo, v1, v2
	v_cndmask_b32_e32 v1, v2, v1, vcc_lo
	s_delay_alu instid0(VALU_DEP_1) | instskip(NEXT) | instid1(VALU_DEP_1)
	v_mov_b32_dpp v2, v1 row_half_mirror row_mask:0xf bank_mask:0xf
	v_cmp_gt_f32_e32 vcc_lo, v1, v2
	v_cndmask_b32_e32 v1, v2, v1, vcc_lo
	s_delay_alu instid0(VALU_DEP_1) | instskip(NEXT) | instid1(VALU_DEP_1)
	v_mov_b32_dpp v2, v1 row_mirror row_mask:0xf bank_mask:0xf
	v_cmp_gt_f32_e32 vcc_lo, v1, v2
	v_cndmask_b32_e32 v1, v2, v1, vcc_lo
.LBB86_17:
	s_cbranch_execnz .LBB86_20
.LBB86_18:
	v_mov_b32_e32 v1, v38
	s_cmp_eq_u32 s3, 8
	s_cbranch_scc0 .LBB86_20
; %bb.19:
	s_delay_alu instid0(VALU_DEP_1) | instskip(NEXT) | instid1(VALU_DEP_1)
	v_mov_b32_dpp v1, v38 quad_perm:[1,0,3,2] row_mask:0xf bank_mask:0xf
	v_cmp_gt_f32_e32 vcc_lo, v38, v1
	v_cndmask_b32_e32 v1, v1, v38, vcc_lo
	s_delay_alu instid0(VALU_DEP_1) | instskip(NEXT) | instid1(VALU_DEP_1)
	v_mov_b32_dpp v2, v1 quad_perm:[2,3,0,1] row_mask:0xf bank_mask:0xf
	v_cmp_gt_f32_e32 vcc_lo, v1, v2
	v_cndmask_b32_e32 v1, v2, v1, vcc_lo
	s_delay_alu instid0(VALU_DEP_1) | instskip(NEXT) | instid1(VALU_DEP_1)
	v_mov_b32_dpp v2, v1 row_half_mirror row_mask:0xf bank_mask:0xf
	v_cmp_gt_f32_e32 vcc_lo, v1, v2
	v_cndmask_b32_e32 v1, v2, v1, vcc_lo
.LBB86_20:
	s_cbranch_execnz .LBB86_28
.LBB86_21:
	s_cmp_lt_i32 s3, 4
	s_cbranch_scc1 .LBB86_24
; %bb.22:
	v_mov_b32_e32 v1, v38
	s_cmp_eq_u32 s3, 4
	s_cbranch_scc0 .LBB86_25
; %bb.23:
	s_delay_alu instid0(VALU_DEP_1) | instskip(NEXT) | instid1(VALU_DEP_1)
	v_mov_b32_dpp v1, v38 quad_perm:[1,0,3,2] row_mask:0xf bank_mask:0xf
	v_cmp_gt_f32_e32 vcc_lo, v38, v1
	v_cndmask_b32_e32 v1, v1, v38, vcc_lo
	s_delay_alu instid0(VALU_DEP_1) | instskip(NEXT) | instid1(VALU_DEP_1)
	v_mov_b32_dpp v2, v1 quad_perm:[2,3,0,1] row_mask:0xf bank_mask:0xf
	v_cmp_gt_f32_e32 vcc_lo, v1, v2
	v_cndmask_b32_e32 v1, v2, v1, vcc_lo
	s_cbranch_execz .LBB86_26
	s_branch .LBB86_28
.LBB86_24:
                                        ; implicit-def: $vgpr1
	s_branch .LBB86_26
.LBB86_25:
	s_cbranch_execnz .LBB86_28
.LBB86_26:
	v_mov_b32_e32 v1, v38
	s_cmp_lg_u32 s3, 2
	s_cbranch_scc1 .LBB86_28
; %bb.27:
	s_delay_alu instid0(VALU_DEP_1) | instskip(NEXT) | instid1(VALU_DEP_1)
	v_mov_b32_dpp v1, v38 quad_perm:[1,0,3,2] row_mask:0xf bank_mask:0xf
	v_cmp_gt_f32_e32 vcc_lo, v38, v1
	v_cndmask_b32_e32 v1, v1, v38, vcc_lo
.LBB86_28:
	v_cvt_f32_u32_e32 v2, s3
	s_sub_i32 s12, 0, s3
	s_mov_b32 s15, 0
	s_delay_alu instid0(VALU_DEP_1) | instskip(SKIP_2) | instid1(VALU_DEP_1)
	v_rcp_iflag_f32_e32 v2, v2
	s_waitcnt_depctr 0xfff
	v_mul_f32_e32 v2, 0x4f7ffffe, v2
	v_cvt_u32_f32_e32 v2, v2
	s_delay_alu instid0(VALU_DEP_1) | instskip(NEXT) | instid1(VALU_DEP_1)
	v_mul_lo_u32 v39, s12, v2
	v_mul_hi_u32 v39, v2, v39
	s_delay_alu instid0(VALU_DEP_1) | instskip(NEXT) | instid1(VALU_DEP_1)
	v_add_nc_u32_e32 v2, v2, v39
	v_mul_hi_u32 v2, v0, v2
	s_delay_alu instid0(VALU_DEP_1) | instskip(SKIP_1) | instid1(VALU_DEP_2)
	v_mul_lo_u32 v39, v2, s3
	v_add_nc_u32_e32 v40, 1, v2
	v_sub_nc_u32_e32 v39, v0, v39
	s_delay_alu instid0(VALU_DEP_1) | instskip(SKIP_1) | instid1(VALU_DEP_2)
	v_subrev_nc_u32_e32 v41, s3, v39
	v_cmp_le_u32_e32 vcc_lo, s3, v39
	v_dual_cndmask_b32 v2, v2, v40 :: v_dual_cndmask_b32 v39, v39, v41
	s_delay_alu instid0(VALU_DEP_1) | instskip(NEXT) | instid1(VALU_DEP_2)
	v_add_nc_u32_e32 v40, 1, v2
	v_cmp_le_u32_e32 vcc_lo, s3, v39
	s_delay_alu instid0(VALU_DEP_2) | instskip(SKIP_2) | instid1(VALU_DEP_3)
	v_cndmask_b32_e32 v39, v2, v40, vcc_lo
	v_cmp_gt_u32_e32 vcc_lo, s5, v25
	v_mul_f32_e32 v25, 0x3b124925, v1
	v_mul_lo_u32 v2, v39, s3
	s_delay_alu instid0(VALU_DEP_1) | instskip(NEXT) | instid1(VALU_DEP_1)
	v_sub_nc_u32_e32 v2, v0, v2
	v_cmp_eq_u32_e64 s3, 0, v2
                                        ; implicit-def: $vgpr1_vgpr2
	s_delay_alu instid0(VALU_DEP_1) | instskip(SKIP_2) | instid1(SALU_CYCLE_1)
	s_and_b32 s12, s3, vcc_lo
	s_mov_b32 s3, 0
	s_and_saveexec_b32 s13, s12
	s_xor_b32 s14, exec_lo, s13
	s_cbranch_execz .LBB86_37
; %bb.29:
	s_bitcmp0_b32 s10, 0
	s_mov_b32 s16, 0
	s_cbranch_scc0 .LBB86_34
; %bb.30:
	s_ashr_i32 s3, s5, 31
	s_mul_hi_u32 s10, s5, s20
	s_mul_i32 s3, s3, s20
	s_mul_i32 s12, s5, s20
	s_add_i32 s13, s10, s3
	s_mov_b32 s10, s7
	s_delay_alu instid0(SALU_CYCLE_1) | instskip(NEXT) | instid1(SALU_CYCLE_1)
	s_or_b64 s[18:19], s[12:13], s[10:11]
	s_mov_b32 s17, s19
	s_delay_alu instid0(SALU_CYCLE_1)
	s_cmp_lg_u64 s[16:17], 0
	s_cbranch_scc0 .LBB86_45
; %bb.31:
	s_add_u32 s18, s10, s11
	s_mov_b32 s16, s11
	s_mov_b32 s17, s11
	s_addc_u32 s19, s11, s11
	s_delay_alu instid0(SALU_CYCLE_1) | instskip(NEXT) | instid1(SALU_CYCLE_1)
	s_xor_b64 s[18:19], s[18:19], s[16:17]
	v_cvt_f32_u32_e32 v1, s18
	v_cvt_f32_u32_e32 v2, s19
	s_sub_u32 s11, 0, s18
	s_subb_u32 s22, 0, s19
	s_delay_alu instid0(VALU_DEP_1) | instskip(NEXT) | instid1(VALU_DEP_1)
	v_fmamk_f32 v1, v2, 0x4f800000, v1
	v_rcp_f32_e32 v1, v1
	s_waitcnt_depctr 0xfff
	v_mul_f32_e32 v1, 0x5f7ffffc, v1
	s_delay_alu instid0(VALU_DEP_1) | instskip(NEXT) | instid1(VALU_DEP_1)
	v_mul_f32_e32 v2, 0x2f800000, v1
	v_trunc_f32_e32 v2, v2
	s_delay_alu instid0(VALU_DEP_1) | instskip(SKIP_1) | instid1(VALU_DEP_2)
	v_fmamk_f32 v1, v2, 0xcf800000, v1
	v_cvt_u32_f32_e32 v2, v2
	v_cvt_u32_f32_e32 v1, v1
	s_delay_alu instid0(VALU_DEP_2) | instskip(NEXT) | instid1(VALU_DEP_2)
	v_readfirstlane_b32 s3, v2
	v_readfirstlane_b32 s7, v1
	s_delay_alu instid0(VALU_DEP_2) | instskip(NEXT) | instid1(VALU_DEP_1)
	s_mul_i32 s23, s11, s3
	s_mul_hi_u32 s25, s11, s7
	s_mul_i32 s24, s22, s7
	s_add_i32 s23, s25, s23
	s_mul_i32 s26, s11, s7
	s_add_i32 s23, s23, s24
	s_mul_hi_u32 s25, s7, s26
	s_mul_hi_u32 s27, s3, s26
	s_mul_i32 s24, s3, s26
	s_mul_hi_u32 s26, s7, s23
	s_mul_i32 s7, s7, s23
	s_mul_hi_u32 s28, s3, s23
	s_add_u32 s7, s25, s7
	s_addc_u32 s25, 0, s26
	s_add_u32 s7, s7, s24
	s_mul_i32 s23, s3, s23
	s_addc_u32 s7, s25, s27
	s_addc_u32 s24, s28, 0
	s_add_u32 s7, s7, s23
	s_addc_u32 s23, 0, s24
	v_add_co_u32 v1, s7, v1, s7
	s_delay_alu instid0(VALU_DEP_1) | instskip(SKIP_1) | instid1(VALU_DEP_1)
	s_cmp_lg_u32 s7, 0
	s_addc_u32 s3, s3, s23
	v_readfirstlane_b32 s7, v1
	s_mul_i32 s23, s11, s3
	s_delay_alu instid0(VALU_DEP_1)
	s_mul_hi_u32 s24, s11, s7
	s_mul_i32 s22, s22, s7
	s_add_i32 s23, s24, s23
	s_mul_i32 s11, s11, s7
	s_add_i32 s23, s23, s22
	s_mul_hi_u32 s24, s3, s11
	s_mul_i32 s25, s3, s11
	s_mul_hi_u32 s11, s7, s11
	s_mul_hi_u32 s26, s7, s23
	s_mul_i32 s7, s7, s23
	s_mul_hi_u32 s22, s3, s23
	s_add_u32 s7, s11, s7
	s_addc_u32 s11, 0, s26
	s_add_u32 s7, s7, s25
	s_mul_i32 s23, s3, s23
	s_addc_u32 s7, s11, s24
	s_addc_u32 s11, s22, 0
	s_add_u32 s7, s7, s23
	s_addc_u32 s11, 0, s11
	v_add_co_u32 v1, s7, v1, s7
	s_delay_alu instid0(VALU_DEP_1) | instskip(SKIP_2) | instid1(VALU_DEP_1)
	s_cmp_lg_u32 s7, 0
	s_addc_u32 s3, s3, s11
	s_ashr_i32 s22, s13, 31
	v_readfirstlane_b32 s7, v1
	s_add_u32 s24, s12, s22
	s_mov_b32 s23, s22
	s_addc_u32 s25, s13, s22
	s_delay_alu instid0(SALU_CYCLE_1) | instskip(NEXT) | instid1(SALU_CYCLE_1)
	s_xor_b64 s[24:25], s[24:25], s[22:23]
	s_mul_i32 s13, s24, s3
	s_mul_hi_u32 s26, s24, s7
	s_mul_hi_u32 s11, s24, s3
	;; [unrolled: 1-line block ×3, first 2 shown]
	s_mul_i32 s7, s25, s7
	s_add_u32 s13, s26, s13
	s_addc_u32 s11, 0, s11
	s_mul_hi_u32 s27, s25, s3
	s_add_u32 s7, s13, s7
	s_mul_i32 s3, s25, s3
	s_addc_u32 s7, s11, s28
	s_addc_u32 s11, s27, 0
	s_add_u32 s7, s7, s3
	s_addc_u32 s11, 0, s11
	s_mul_i32 s27, s18, s7
	s_mul_hi_u32 s3, s18, s7
	s_mul_i32 s26, s18, s11
	v_sub_co_u32 v1, s24, s24, s27
	s_mul_i32 s13, s19, s7
	s_add_i32 s3, s3, s26
	s_delay_alu instid0(SALU_CYCLE_1) | instskip(NEXT) | instid1(VALU_DEP_1)
	s_add_i32 s3, s3, s13
	v_sub_co_u32 v2, s26, v1, s18
	s_sub_i32 s13, s25, s3
	s_cmp_lg_u32 s24, 0
	s_subb_u32 s13, s13, s19
	s_cmp_lg_u32 s26, 0
	v_cmp_le_u32_e32 vcc_lo, s18, v2
	s_subb_u32 s13, s13, 0
	s_delay_alu instid0(SALU_CYCLE_1)
	s_cmp_ge_u32 s13, s19
	v_cndmask_b32_e64 v2, 0, -1, vcc_lo
	s_cselect_b32 s26, -1, 0
	s_cmp_eq_u32 s13, s19
	s_cselect_b32 vcc_lo, -1, 0
	s_add_u32 s13, s7, 1
	v_cndmask_b32_e32 v2, s26, v2, vcc_lo
	s_addc_u32 s26, s11, 0
	s_add_u32 s27, s7, 2
	s_addc_u32 s28, s11, 0
	s_cmp_lg_u32 s24, 0
	v_cmp_le_u32_e32 vcc_lo, s18, v1
	s_subb_u32 s3, s25, s3
	v_mov_b32_e32 v40, s27
	s_cmp_ge_u32 s3, s19
	v_cndmask_b32_e64 v1, 0, -1, vcc_lo
	s_cselect_b32 s18, -1, 0
	s_cmp_eq_u32 s3, s19
	v_cmp_ne_u32_e32 vcc_lo, 0, v2
	v_mov_b32_e32 v2, s28
	s_cselect_b32 s3, -1, 0
	s_xor_b64 s[16:17], s[22:23], s[16:17]
	v_cndmask_b32_e64 v1, s18, v1, s3
	v_cndmask_b32_e32 v40, s13, v40, vcc_lo
	v_cndmask_b32_e32 v2, s26, v2, vcc_lo
	s_delay_alu instid0(VALU_DEP_3) | instskip(NEXT) | instid1(VALU_DEP_2)
	v_cmp_ne_u32_e32 vcc_lo, 0, v1
	v_cndmask_b32_e32 v1, s11, v2, vcc_lo
	s_delay_alu instid0(VALU_DEP_4) | instskip(NEXT) | instid1(VALU_DEP_2)
	v_cndmask_b32_e32 v2, s7, v40, vcc_lo
	v_xor_b32_e32 v40, s17, v1
	s_delay_alu instid0(VALU_DEP_2) | instskip(NEXT) | instid1(VALU_DEP_1)
	v_xor_b32_e32 v2, s16, v2
	v_sub_co_u32 v1, vcc_lo, v2, s16
	s_delay_alu instid0(VALU_DEP_3)
	v_subrev_co_ci_u32_e32 v2, vcc_lo, s17, v40, vcc_lo
	s_cbranch_execnz .LBB86_33
.LBB86_32:
	v_cvt_f32_u32_e32 v1, s10
	s_sub_i32 s7, 0, s10
	s_delay_alu instid0(VALU_DEP_1) | instskip(SKIP_2) | instid1(VALU_DEP_1)
	v_rcp_iflag_f32_e32 v1, v1
	s_waitcnt_depctr 0xfff
	v_mul_f32_e32 v1, 0x4f7ffffe, v1
	v_cvt_u32_f32_e32 v1, v1
	s_delay_alu instid0(VALU_DEP_1) | instskip(NEXT) | instid1(VALU_DEP_1)
	v_readfirstlane_b32 s3, v1
	s_mul_i32 s7, s7, s3
	s_delay_alu instid0(SALU_CYCLE_1) | instskip(NEXT) | instid1(SALU_CYCLE_1)
	s_mul_hi_u32 s7, s3, s7
	s_add_i32 s3, s3, s7
	s_delay_alu instid0(SALU_CYCLE_1) | instskip(NEXT) | instid1(SALU_CYCLE_1)
	s_mul_hi_u32 s3, s12, s3
	s_mul_i32 s7, s3, s10
	s_add_i32 s11, s3, 1
	s_sub_i32 s7, s12, s7
	s_delay_alu instid0(SALU_CYCLE_1)
	s_sub_i32 s12, s7, s10
	s_cmp_ge_u32 s7, s10
	s_cselect_b32 s3, s11, s3
	s_cselect_b32 s7, s12, s7
	s_add_i32 s12, s3, 1
	s_cmp_ge_u32 s7, s10
	s_mov_b32 s11, 0
	s_cselect_b32 s10, s12, s3
	s_delay_alu instid0(SALU_CYCLE_1)
	v_dual_mov_b32 v1, s10 :: v_dual_mov_b32 v2, s11
.LBB86_33:
	s_delay_alu instid0(VALU_DEP_1) | instskip(NEXT) | instid1(VALU_DEP_2)
	v_add_co_u32 v1, vcc_lo, v1, v39
	v_add_co_ci_u32_e32 v2, vcc_lo, 0, v2, vcc_lo
	s_branch .LBB86_36
.LBB86_34:
                                        ; implicit-def: $vgpr1_vgpr2
	s_cbranch_execz .LBB86_36
; %bb.35:
	v_mul_lo_u32 v1, v39, s4
	s_delay_alu instid0(VALU_DEP_1) | instskip(SKIP_1) | instid1(VALU_DEP_2)
	v_ashrrev_i32_e32 v2, 31, v1
	v_add_co_u32 v1, vcc_lo, v1, s20
	v_add_co_ci_u32_e32 v2, vcc_lo, 0, v2, vcc_lo
.LBB86_36:
	s_mov_b32 s3, exec_lo
.LBB86_37:
	s_or_b32 exec_lo, exec_lo, s14
	s_delay_alu instid0(SALU_CYCLE_1)
	s_and_b32 vcc_lo, exec_lo, s15
	s_cbranch_vccz .LBB86_41
.LBB86_38:
	v_mov_b32_dpp v1, v38 quad_perm:[1,0,3,2] row_mask:0xf bank_mask:0xf
	s_delay_alu instid0(VALU_DEP_1) | instskip(SKIP_1) | instid1(VALU_DEP_1)
	v_cmp_gt_f32_e32 vcc_lo, v38, v1
	v_cndmask_b32_e32 v1, v1, v38, vcc_lo
	v_mov_b32_dpp v2, v1 quad_perm:[2,3,0,1] row_mask:0xf bank_mask:0xf
	s_delay_alu instid0(VALU_DEP_1) | instskip(SKIP_1) | instid1(VALU_DEP_1)
	v_cmp_gt_f32_e32 vcc_lo, v1, v2
	v_cndmask_b32_e32 v1, v2, v1, vcc_lo
	v_mov_b32_dpp v2, v1 row_xmask:7 row_mask:0xf bank_mask:0xf
	s_delay_alu instid0(VALU_DEP_1) | instskip(SKIP_1) | instid1(VALU_DEP_1)
	v_cmp_gt_f32_e32 vcc_lo, v1, v2
	v_cndmask_b32_e32 v1, v2, v1, vcc_lo
	v_mov_b32_dpp v2, v1 row_xmask:15 row_mask:0xf bank_mask:0xf
	s_delay_alu instid0(VALU_DEP_1)
	v_cmp_gt_f32_e32 vcc_lo, v1, v2
	s_and_saveexec_b32 s3, s2
	s_cbranch_execz .LBB86_40
; %bb.39:
	v_cndmask_b32_e32 v1, v2, v1, vcc_lo
	v_lshrrev_b32_e32 v2, 3, v0
	s_mov_b32 s2, 0x76543210
	s_delay_alu instid0(VALU_DEP_1) | instskip(NEXT) | instid1(VALU_DEP_3)
	v_and_b32_e32 v2, 0x7c, v2
	v_permlanex16_b32 v25, v1, s2, 0xfedcba98 op_sel:[1,1]
	s_delay_alu instid0(VALU_DEP_1)
	v_cmp_gt_f32_e32 vcc_lo, v1, v25
	v_cndmask_b32_e32 v1, v25, v1, vcc_lo
	ds_store_b32 v2, v1
.LBB86_40:
	s_or_b32 exec_lo, exec_lo, s3
	s_waitcnt lgkmcnt(0)
	s_barrier
	buffer_gl0_inv
	ds_load_b32 v1, v18
	v_cmp_eq_u32_e64 s3, 0, v0
	s_waitcnt lgkmcnt(0)
	v_mov_b32_dpp v2, v1 quad_perm:[1,0,3,2] row_mask:0xf bank_mask:0xf
	s_delay_alu instid0(VALU_DEP_1) | instskip(SKIP_1) | instid1(VALU_DEP_1)
	v_cmp_gt_f32_e32 vcc_lo, v1, v2
	v_cndmask_b32_e32 v1, v2, v1, vcc_lo
	v_mov_b32_dpp v2, v1 quad_perm:[2,3,0,1] row_mask:0xf bank_mask:0xf
	s_delay_alu instid0(VALU_DEP_1) | instskip(SKIP_1) | instid1(VALU_DEP_1)
	v_cmp_gt_f32_e32 vcc_lo, v1, v2
	v_cndmask_b32_e32 v1, v2, v1, vcc_lo
	v_mov_b32_dpp v2, v1 row_xmask:7 row_mask:0xf bank_mask:0xf
	s_delay_alu instid0(VALU_DEP_1) | instskip(SKIP_1) | instid1(VALU_DEP_1)
	v_cmp_gt_f32_e32 vcc_lo, v1, v2
	v_cndmask_b32_e32 v1, v2, v1, vcc_lo
	v_mul_f32_e32 v25, 0x3b124925, v1
	v_dual_mov_b32 v1, s20 :: v_dual_mov_b32 v2, s21
.LBB86_41:
	s_and_saveexec_b32 s2, s3
	s_cbranch_execz .LBB86_43
; %bb.42:
	s_delay_alu instid0(VALU_DEP_1) | instskip(NEXT) | instid1(VALU_DEP_1)
	v_lshlrev_b64 v[0:1], 2, v[1:2]
	v_add_co_u32 v0, vcc_lo, s8, v0
	s_delay_alu instid0(VALU_DEP_2)
	v_add_co_ci_u32_e32 v1, vcc_lo, s9, v1, vcc_lo
	global_store_b32 v[0:1], v25, off
.LBB86_43:
	s_or_b32 exec_lo, exec_lo, s2
	;;#ASMSTART
	v_rcp_f32 v2, v25
	;;#ASMEND
	v_dual_mul_f32 v0, v2, v36 :: v_dual_mov_b32 v25, 0x43e00000
	v_dual_mul_f32 v1, v2, v37 :: v_dual_mov_b32 v18, 0xc3e00000
	v_mul_f32_e32 v34, v2, v34
	v_mul_f32_e32 v35, v2, v35
	;;#ASMSTART
	v_med3_f32 v0, v0, v18, v25
v_med3_f32 v1, v1, v18, v25
v_cvt_pk_fp8_f32 v36, v0, v1
	;;#ASMEND
	;;#ASMSTART
	v_med3_f32 v34, v34, v18, v25
v_med3_f32 v35, v35, v18, v25
v_cvt_pk_fp8_f32 v0, v34, v35
	;;#ASMEND
	v_perm_b32 v1, v0, v36, 0x5040100
	v_and_b32_e32 v0, 0xffffff00, v0
	s_load_b64 s[0:1], s[0:1], 0x0
	s_add_i32 s2, s5, 3
	v_mul_f32_e32 v33, v2, v33
	v_lshrrev_b32_e32 v34, 16, v1
	s_ashr_i32 s3, s2, 31
	v_mul_f32_e32 v32, v2, v32
	s_lshr_b32 s3, s3, 30
	v_mul_f32_e32 v30, v2, v30
	v_and_b32_e32 v34, 0xff, v34
	s_add_i32 s2, s2, s3
	s_ashr_i32 s3, s6, 31
	s_mul_hi_u32 s4, s6, s20
	s_mul_i32 s3, s3, s20
	v_or_b32_e32 v0, v34, v0
	v_mul_f32_e32 v31, v2, v31
	;;#ASMSTART
	v_med3_f32 v32, v32, v18, v25
v_med3_f32 v33, v33, v18, v25
v_cvt_pk_fp8_f32 v34, v32, v33
	;;#ASMEND
	s_add_i32 s4, s4, s3
	s_mul_i32 s3, s6, s20
	v_lshlrev_b32_e32 v0, 16, v0
	;;#ASMSTART
	v_med3_f32 v30, v30, v18, v25
v_med3_f32 v31, v31, v18, v25
v_cvt_pk_fp8_f32 v32, v30, v31
	;;#ASMEND
	v_dual_mul_f32 v29, v2, v29 :: v_dual_lshlrev_b32 v30, 16, v32
	s_and_b32 s2, s2, -4
	s_waitcnt lgkmcnt(0)
	s_add_u32 s0, s0, s3
	v_and_or_b32 v0, 0xffff, v1, v0
	v_and_or_b32 v1, 0xffff, v34, v30
	s_addc_u32 s1, s1, s4
	s_mov_b32 s3, -1
	s_and_b32 s1, s1, 0xffff
	v_mul_f32_e32 v28, v2, v28
	v_mul_f32_e32 v26, v2, v26
	;; [unrolled: 1-line block ×3, first 2 shown]
	buffer_store_b64 v[0:1], v17, s[0:3], 0 offen
	;;#ASMSTART
	s_nop 0
	;;#ASMEND
	;;#ASMSTART
	v_med3_f32 v28, v28, v18, v25
v_med3_f32 v29, v29, v18, v25
v_cvt_pk_fp8_f32 v0, v28, v29
	;;#ASMEND
	;;#ASMSTART
	v_med3_f32 v26, v26, v18, v25
v_med3_f32 v27, v27, v18, v25
v_cvt_pk_fp8_f32 v1, v26, v27
	;;#ASMEND
	v_perm_b32 v0, v1, v0, 0x5040100
	v_dual_mul_f32 v24, v2, v24 :: v_dual_and_b32 v1, 0xffffff00, v1
	v_mul_f32_e32 v21, v2, v21
	v_mul_f32_e32 v22, v2, v22
	s_delay_alu instid0(VALU_DEP_4) | instskip(SKIP_3) | instid1(VALU_DEP_3)
	v_lshrrev_b32_e32 v26, 16, v0
	s_movk_i32 s4, 0x100
	v_mul_f32_e32 v20, v2, v20
	v_mul_f32_e32 v19, v2, v19
	v_dual_mul_f32 v15, v2, v15 :: v_dual_and_b32 v26, 0xff, v26
	v_mul_f32_e32 v16, v2, v16
	v_mul_f32_e32 v14, v2, v14
	;; [unrolled: 1-line block ×4, first 2 shown]
	v_or_b32_e32 v1, v26, v1
	v_mul_f32_e32 v23, v2, v23
	;;#ASMSTART
	v_med3_f32 v23, v23, v18, v25
v_med3_f32 v24, v24, v18, v25
v_cvt_pk_fp8_f32 v26, v23, v24
	;;#ASMEND
	;;#ASMSTART
	v_med3_f32 v21, v21, v18, v25
v_med3_f32 v22, v22, v18, v25
v_cvt_pk_fp8_f32 v23, v21, v22
	;;#ASMEND
	s_delay_alu instid0(VALU_DEP_1)
	v_lshlrev_b32_e32 v21, 16, v23
	v_lshlrev_b32_e32 v22, 16, v1
	v_mul_f32_e32 v12, v2, v12
	v_mul_f32_e32 v10, v2, v10
	;; [unrolled: 1-line block ×3, first 2 shown]
	v_and_or_b32 v1, 0xffff, v26, v21
	v_and_or_b32 v0, 0xffff, v0, v22
	v_mul_f32_e32 v7, v2, v7
	v_mul_f32_e32 v8, v2, v8
	;; [unrolled: 1-line block ×4, first 2 shown]
	buffer_store_b64 v[0:1], v17, s[0:3], s4 offen
	;;#ASMSTART
	s_nop 0
	;;#ASMEND
	;;#ASMSTART
	v_med3_f32 v20, v20, v18, v25
v_med3_f32 v19, v19, v18, v25
v_cvt_pk_fp8_f32 v0, v20, v19
	;;#ASMEND
	;;#ASMSTART
	v_med3_f32 v15, v15, v18, v25
v_med3_f32 v16, v16, v18, v25
v_cvt_pk_fp8_f32 v1, v15, v16
	;;#ASMEND
	v_perm_b32 v0, v1, v0, 0x5040100
	v_and_b32_e32 v1, 0xffffff00, v1
	s_movk_i32 s4, 0x200
	v_mul_f32_e32 v3, v2, v3
	v_mul_f32_e32 v2, v2, v4
	v_lshrrev_b32_e32 v15, 16, v0
	s_delay_alu instid0(VALU_DEP_1) | instskip(NEXT) | instid1(VALU_DEP_1)
	v_and_b32_e32 v15, 0xff, v15
	v_or_b32_e32 v1, v15, v1
	;;#ASMSTART
	v_med3_f32 v14, v14, v18, v25
v_med3_f32 v13, v13, v18, v25
v_cvt_pk_fp8_f32 v15, v14, v13
	;;#ASMEND
	;;#ASMSTART
	v_med3_f32 v11, v11, v18, v25
v_med3_f32 v12, v12, v18, v25
v_cvt_pk_fp8_f32 v13, v11, v12
	;;#ASMEND
	v_lshlrev_b32_e32 v11, 16, v13
	s_delay_alu instid0(VALU_DEP_2) | instskip(NEXT) | instid1(VALU_DEP_2)
	v_lshlrev_b32_e32 v12, 16, v1
	v_and_or_b32 v1, 0xffff, v15, v11
	s_delay_alu instid0(VALU_DEP_2)
	v_and_or_b32 v0, 0xffff, v0, v12
	buffer_store_b64 v[0:1], v17, s[0:3], s4 offen
	;;#ASMSTART
	s_nop 0
	;;#ASMEND
	;;#ASMSTART
	v_med3_f32 v10, v10, v18, v25
v_med3_f32 v9, v9, v18, v25
v_cvt_pk_fp8_f32 v0, v10, v9
	;;#ASMEND
	;;#ASMSTART
	v_med3_f32 v7, v7, v18, v25
v_med3_f32 v8, v8, v18, v25
v_cvt_pk_fp8_f32 v1, v7, v8
	;;#ASMEND
	v_perm_b32 v0, v1, v0, 0x5040100
	v_and_b32_e32 v1, 0xffffff00, v1
	;;#ASMSTART
	v_med3_f32 v6, v6, v18, v25
v_med3_f32 v5, v5, v18, v25
v_cvt_pk_fp8_f32 v4, v6, v5
	;;#ASMEND
	;;#ASMSTART
	v_med3_f32 v3, v3, v18, v25
v_med3_f32 v2, v2, v18, v25
v_cvt_pk_fp8_f32 v5, v3, v2
	;;#ASMEND
	v_lshlrev_b32_e32 v2, 16, v5
	v_lshrrev_b32_e32 v7, 16, v0
	s_movk_i32 s4, 0x300
	s_delay_alu instid0(VALU_DEP_1) | instskip(NEXT) | instid1(VALU_DEP_1)
	v_and_b32_e32 v7, 0xff, v7
	v_or_b32_e32 v1, v7, v1
	s_delay_alu instid0(VALU_DEP_1) | instskip(SKIP_1) | instid1(VALU_DEP_2)
	v_lshlrev_b32_e32 v3, 16, v1
	v_and_or_b32 v1, 0xffff, v4, v2
	v_and_or_b32 v0, 0xffff, v0, v3
	buffer_store_b64 v[0:1], v17, s[0:3], s4 offen
	;;#ASMSTART
	s_nop 0
	;;#ASMEND
.LBB86_44:
	s_nop 0
	s_sendmsg sendmsg(MSG_DEALLOC_VGPRS)
	s_endpgm
.LBB86_45:
                                        ; implicit-def: $vgpr1_vgpr2
	s_branch .LBB86_32
	.section	.rodata,"a",@progbits
	.p2align	6, 0x0
	.amdhsa_kernel _ZN5aiter24add_rmsnorm_quant_kernelItDB8_Li256ELi32ELb0ELb1ELb1ELi1EEEvPT0_PT_PfS5_S5_S5_diiiiiiib
		.amdhsa_group_segment_fixed_size 64
		.amdhsa_private_segment_fixed_size 0
		.amdhsa_kernarg_size 88
		.amdhsa_user_sgpr_count 15
		.amdhsa_user_sgpr_dispatch_ptr 0
		.amdhsa_user_sgpr_queue_ptr 0
		.amdhsa_user_sgpr_kernarg_segment_ptr 1
		.amdhsa_user_sgpr_dispatch_id 0
		.amdhsa_user_sgpr_private_segment_size 0
		.amdhsa_wavefront_size32 1
		.amdhsa_uses_dynamic_stack 0
		.amdhsa_enable_private_segment 0
		.amdhsa_system_sgpr_workgroup_id_x 1
		.amdhsa_system_sgpr_workgroup_id_y 0
		.amdhsa_system_sgpr_workgroup_id_z 0
		.amdhsa_system_sgpr_workgroup_info 0
		.amdhsa_system_vgpr_workitem_id 0
		.amdhsa_next_free_vgpr 78
		.amdhsa_next_free_sgpr 29
		.amdhsa_reserve_vcc 1
		.amdhsa_float_round_mode_32 0
		.amdhsa_float_round_mode_16_64 0
		.amdhsa_float_denorm_mode_32 3
		.amdhsa_float_denorm_mode_16_64 3
		.amdhsa_dx10_clamp 1
		.amdhsa_ieee_mode 1
		.amdhsa_fp16_overflow 0
		.amdhsa_workgroup_processor_mode 1
		.amdhsa_memory_ordered 1
		.amdhsa_forward_progress 0
		.amdhsa_shared_vgpr_count 0
		.amdhsa_exception_fp_ieee_invalid_op 0
		.amdhsa_exception_fp_denorm_src 0
		.amdhsa_exception_fp_ieee_div_zero 0
		.amdhsa_exception_fp_ieee_overflow 0
		.amdhsa_exception_fp_ieee_underflow 0
		.amdhsa_exception_fp_ieee_inexact 0
		.amdhsa_exception_int_div_zero 0
	.end_amdhsa_kernel
	.section	.text._ZN5aiter24add_rmsnorm_quant_kernelItDB8_Li256ELi32ELb0ELb1ELb1ELi1EEEvPT0_PT_PfS5_S5_S5_diiiiiiib,"axG",@progbits,_ZN5aiter24add_rmsnorm_quant_kernelItDB8_Li256ELi32ELb0ELb1ELb1ELi1EEEvPT0_PT_PfS5_S5_S5_diiiiiiib,comdat
.Lfunc_end86:
	.size	_ZN5aiter24add_rmsnorm_quant_kernelItDB8_Li256ELi32ELb0ELb1ELb1ELi1EEEvPT0_PT_PfS5_S5_S5_diiiiiiib, .Lfunc_end86-_ZN5aiter24add_rmsnorm_quant_kernelItDB8_Li256ELi32ELb0ELb1ELb1ELi1EEEvPT0_PT_PfS5_S5_S5_diiiiiiib
                                        ; -- End function
	.section	.AMDGPU.csdata,"",@progbits
; Kernel info:
; codeLenInByte = 5944
; NumSgprs: 31
; NumVgprs: 78
; ScratchSize: 0
; MemoryBound: 0
; FloatMode: 240
; IeeeMode: 1
; LDSByteSize: 64 bytes/workgroup (compile time only)
; SGPRBlocks: 3
; VGPRBlocks: 9
; NumSGPRsForWavesPerEU: 31
; NumVGPRsForWavesPerEU: 78
; Occupancy: 16
; WaveLimiterHint : 0
; COMPUTE_PGM_RSRC2:SCRATCH_EN: 0
; COMPUTE_PGM_RSRC2:USER_SGPR: 15
; COMPUTE_PGM_RSRC2:TRAP_HANDLER: 0
; COMPUTE_PGM_RSRC2:TGID_X_EN: 1
; COMPUTE_PGM_RSRC2:TGID_Y_EN: 0
; COMPUTE_PGM_RSRC2:TGID_Z_EN: 0
; COMPUTE_PGM_RSRC2:TIDIG_COMP_CNT: 0
	.section	.text._ZN5aiter24add_rmsnorm_quant_kernelIDF16_DB8_Li256ELi32ELb0ELb1ELb0ELi1EEEvPT0_PT_PfS5_S5_S5_diiiiiiib,"axG",@progbits,_ZN5aiter24add_rmsnorm_quant_kernelIDF16_DB8_Li256ELi32ELb0ELb1ELb0ELi1EEEvPT0_PT_PfS5_S5_S5_diiiiiiib,comdat
	.protected	_ZN5aiter24add_rmsnorm_quant_kernelIDF16_DB8_Li256ELi32ELb0ELb1ELb0ELi1EEEvPT0_PT_PfS5_S5_S5_diiiiiiib ; -- Begin function _ZN5aiter24add_rmsnorm_quant_kernelIDF16_DB8_Li256ELi32ELb0ELb1ELb0ELi1EEEvPT0_PT_PfS5_S5_S5_diiiiiiib
	.globl	_ZN5aiter24add_rmsnorm_quant_kernelIDF16_DB8_Li256ELi32ELb0ELb1ELb0ELi1EEEvPT0_PT_PfS5_S5_S5_diiiiiiib
	.p2align	8
	.type	_ZN5aiter24add_rmsnorm_quant_kernelIDF16_DB8_Li256ELi32ELb0ELb1ELb0ELi1EEEvPT0_PT_PfS5_S5_S5_diiiiiiib,@function
_ZN5aiter24add_rmsnorm_quant_kernelIDF16_DB8_Li256ELi32ELb0ELb1ELb0ELi1EEEvPT0_PT_PfS5_S5_S5_diiiiiiib: ; @_ZN5aiter24add_rmsnorm_quant_kernelIDF16_DB8_Li256ELi32ELb0ELb1ELb0ELi1EEEvPT0_PT_PfS5_S5_S5_diiiiiiib
; %bb.0:
	s_load_b128 s[4:7], s[0:1], 0x38
	s_mov_b32 s20, s15
	s_mov_b32 s21, 0
	s_waitcnt lgkmcnt(0)
	s_ashr_i32 s3, s4, 31
	s_mov_b32 s2, s4
	s_delay_alu instid0(SALU_CYCLE_1) | instskip(NEXT) | instid1(VALU_DEP_1)
	v_cmp_ge_i64_e64 s2, s[20:21], s[2:3]
	s_and_b32 vcc_lo, exec_lo, s2
	s_cbranch_vccnz .LBB87_44
; %bb.1:
	s_clause 0x1
	s_load_b128 s[8:11], s[0:1], 0x10
	s_load_b128 s[16:19], s[0:1], 0x28
	s_ashr_i32 s2, s6, 31
	s_mul_hi_u32 s3, s6, s20
	s_mul_i32 s7, s2, s20
	s_mul_i32 s2, s6, s20
	s_add_i32 s3, s3, s7
	v_lshlrev_b32_e32 v1, 6, v0
	s_lshl_b64 s[2:3], s[2:3], 1
	s_mov_b32 s15, -1
	v_and_b32_e32 v51, 31, v0
	s_mov_b32 s27, s15
	s_waitcnt lgkmcnt(0)
	s_add_u32 s12, s10, s2
	s_addc_u32 s2, s11, s3
	s_add_i32 s3, s5, 1
	s_and_b32 s13, s2, 0xffff
	s_lshr_b32 s6, s3, 31
	s_mov_b32 s24, s16
	s_add_i32 s3, s3, s6
	s_and_b32 s25, s17, 0xffff
	s_lshl_b32 s3, s3, 1
	v_cmp_eq_u32_e64 s2, 31, v51
	s_and_b32 s14, s3, -4
	s_clause 0x3
	buffer_load_b128 v[21:24], v1, s[12:15], 0 offen
	buffer_load_b128 v[25:28], v1, s[12:15], 16 offen
	;; [unrolled: 1-line block ×4, first 2 shown]
	s_mov_b32 s26, s14
	s_clause 0x3
	buffer_load_b128 v[13:16], v1, s[24:27], 0 offen
	buffer_load_b128 v[9:12], v1, s[24:27], 16 offen
	;; [unrolled: 1-line block ×4, first 2 shown]
	s_waitcnt vmcnt(7)
	v_lshrrev_b32_e32 v17, 16, v21
	v_lshrrev_b32_e32 v18, 16, v22
	v_cvt_f32_f16_e32 v20, v22
	v_lshrrev_b32_e32 v37, 16, v23
	v_lshrrev_b32_e32 v38, 16, v24
	v_cvt_f32_f16_e32 v19, v17
	v_cvt_f32_f16_e32 v50, v18
	s_waitcnt vmcnt(6)
	v_lshrrev_b32_e32 v39, 16, v25
	v_lshrrev_b32_e32 v40, 16, v26
	;; [unrolled: 1-line block ×3, first 2 shown]
	v_mul_f32_e32 v17, v19, v19
	v_lshrrev_b32_e32 v42, 16, v28
	s_waitcnt vmcnt(5)
	v_lshrrev_b32_e32 v44, 16, v29
	v_lshrrev_b32_e32 v52, 16, v30
	v_lshrrev_b32_e32 v53, 16, v31
	v_fma_mix_f32 v17, v21, v21, v17 op_sel_hi:[1,1,0]
	v_lshrrev_b32_e32 v54, 16, v32
	s_waitcnt vmcnt(4)
	v_lshrrev_b32_e32 v55, 16, v33
	v_lshrrev_b32_e32 v56, 16, v34
	;; [unrolled: 1-line block ×3, first 2 shown]
	v_fma_mix_f32 v17, v22, v22, v17 op_sel_hi:[1,1,0]
	v_cvt_f32_f16_e32 v21, v21
	v_cvt_f32_f16_e32 v49, v37
	;; [unrolled: 1-line block ×4, first 2 shown]
	v_fma_mix_f32 v17, v22, v22, v17 op_sel:[1,1,0] op_sel_hi:[1,1,0]
	v_cvt_f32_f16_e32 v22, v23
	v_cvt_f32_f16_e32 v46, v40
	;; [unrolled: 1-line block ×4, first 2 shown]
	v_fma_mix_f32 v17, v23, v23, v17 op_sel_hi:[1,1,0]
	v_cvt_f32_f16_e32 v41, v53
	v_cvt_f32_f16_e32 v39, v54
	;; [unrolled: 1-line block ×4, first 2 shown]
	v_fma_mix_f32 v17, v23, v23, v17 op_sel:[1,1,0] op_sel_hi:[1,1,0]
	v_cvt_f32_f16_e32 v23, v24
	v_cvt_f32_f16_e32 v37, v57
	s_delay_alu instid0(VALU_DEP_3) | instskip(NEXT) | instid1(VALU_DEP_1)
	v_fma_mix_f32 v17, v24, v24, v17 op_sel_hi:[1,1,0]
	v_fma_mix_f32 v17, v24, v24, v17 op_sel:[1,1,0] op_sel_hi:[1,1,0]
	v_cvt_f32_f16_e32 v24, v25
	s_delay_alu instid0(VALU_DEP_2) | instskip(NEXT) | instid1(VALU_DEP_1)
	v_fma_mix_f32 v17, v25, v25, v17 op_sel_hi:[1,1,0]
	v_fma_mix_f32 v17, v25, v25, v17 op_sel:[1,1,0] op_sel_hi:[1,1,0]
	v_cvt_f32_f16_e32 v25, v26
	s_delay_alu instid0(VALU_DEP_2) | instskip(NEXT) | instid1(VALU_DEP_1)
	;; [unrolled: 4-line block ×12, first 2 shown]
	v_fma_mix_f32 v17, v36, v36, v17 op_sel_hi:[1,1,0]
	v_fma_mix_f32 v17, v36, v36, v17 op_sel:[1,1,0] op_sel_hi:[1,1,0]
	v_lshrrev_b32_e32 v36, 16, v36
	s_delay_alu instid0(VALU_DEP_2) | instskip(NEXT) | instid1(VALU_DEP_2)
	v_mov_b32_dpp v43, v17 quad_perm:[1,0,3,2] row_mask:0xf bank_mask:0xf
	v_cvt_f32_f16_e32 v36, v36
	s_delay_alu instid0(VALU_DEP_2) | instskip(NEXT) | instid1(VALU_DEP_1)
	v_add_f32_e32 v17, v17, v43
	v_mov_b32_dpp v43, v17 quad_perm:[2,3,0,1] row_mask:0xf bank_mask:0xf
	s_delay_alu instid0(VALU_DEP_1) | instskip(SKIP_2) | instid1(VALU_DEP_3)
	v_add_f32_e32 v17, v17, v43
	v_cvt_f32_f16_e32 v43, v42
	v_cvt_f32_f16_e32 v42, v52
	v_mov_b32_dpp v18, v17 row_xmask:7 row_mask:0xf bank_mask:0xf
	s_delay_alu instid0(VALU_DEP_1) | instskip(NEXT) | instid1(VALU_DEP_1)
	v_add_f32_e32 v17, v17, v18
	v_mov_b32_dpp v18, v17 row_xmask:15 row_mask:0xf bank_mask:0xf
	s_and_saveexec_b32 s3, s2
	s_cbranch_execz .LBB87_3
; %bb.2:
	s_delay_alu instid0(VALU_DEP_1) | instskip(SKIP_2) | instid1(VALU_DEP_2)
	v_add_f32_e32 v17, v17, v18
	s_mov_b32 s6, 0x76543210
	v_lshrrev_b32_e32 v18, 3, v0
	v_permlanex16_b32 v51, v17, s6, 0xfedcba98 op_sel:[1,1]
	s_delay_alu instid0(VALU_DEP_1)
	v_dual_add_f32 v17, v17, v51 :: v_dual_and_b32 v18, 0x7c, v18
	ds_store_b32 v18, v17 offset:32
.LBB87_3:
	s_or_b32 exec_lo, exec_lo, s3
	v_and_b32_e32 v17, 7, v0
	s_waitcnt vmcnt(0) lgkmcnt(0)
	s_barrier
	buffer_gl0_inv
	v_cvt_f32_i32_e32 v52, s5
	v_lshlrev_b32_e32 v18, 2, v17
	v_cvt_f32_f16_e32 v58, v11
	v_lshrrev_b32_e32 v11, 16, v11
	v_cvt_f32_f16_e32 v57, v10
	v_lshrrev_b32_e32 v10, 16, v10
	ds_load_b32 v17, v18 offset:32
	v_cvt_f32_f16_e32 v64, v1
	v_cvt_f32_f16_e32 v11, v11
	v_lshrrev_b32_e32 v1, 16, v1
	v_cvt_f32_f16_e32 v59, v12
	v_cvt_f32_f16_e32 v61, v6
	v_lshrrev_b32_e32 v6, 16, v6
	;; [unrolled: 3-line block ×4, first 2 shown]
	v_cvt_f32_f16_e32 v66, v2
	v_lshrrev_b32_e32 v2, 16, v2
	v_cvt_f32_f16_e32 v6, v6
	v_cvt_f32_f16_e32 v12, v12
	;; [unrolled: 1-line block ×3, first 2 shown]
	v_lshrrev_b32_e32 v7, 16, v7
	v_cvt_f32_f16_e32 v2, v2
	s_waitcnt lgkmcnt(0)
	v_mov_b32_dpp v51, v17 quad_perm:[1,0,3,2] row_mask:0xf bank_mask:0xf
	v_cvt_f32_f16_e32 v60, v5
	v_lshrrev_b32_e32 v5, 16, v5
	v_cvt_f32_f16_e32 v7, v7
	v_cvt_f32_f16_e32 v67, v4
	v_add_f32_e32 v17, v17, v51
	v_lshrrev_b32_e32 v4, 16, v4
	s_clause 0x1
	s_load_b64 s[6:7], s[0:1], 0x4c
	s_load_b32 s10, s[0:1], 0x54
	v_cvt_f32_f16_e32 v5, v5
	v_mov_b32_e32 v68, 0x2edbe6ff
	v_mov_b32_dpp v51, v17 quad_perm:[2,3,0,1] row_mask:0xf bank_mask:0xf
	v_cvt_f32_f16_e32 v4, v4
	s_delay_alu instid0(VALU_DEP_2) | instskip(NEXT) | instid1(VALU_DEP_1)
	v_add_f32_e32 v17, v17, v51
	v_mov_b32_dpp v51, v17 row_xmask:7 row_mask:0xf bank_mask:0xf
	s_delay_alu instid0(VALU_DEP_1) | instskip(SKIP_2) | instid1(VALU_DEP_1)
	v_add_f32_e32 v17, v17, v51
	s_waitcnt lgkmcnt(0)
	s_cmp_lg_u32 s7, 0
	v_div_scale_f32 v51, null, v52, v52, v17
	v_div_scale_f32 v55, vcc_lo, v17, v52, v17
	s_delay_alu instid0(VALU_DEP_2) | instskip(SKIP_2) | instid1(VALU_DEP_1)
	v_rcp_f32_e32 v53, v51
	s_waitcnt_depctr 0xfff
	v_fma_f32 v54, -v51, v53, 1.0
	v_fmac_f32_e32 v53, v54, v53
	s_delay_alu instid0(VALU_DEP_1) | instskip(NEXT) | instid1(VALU_DEP_1)
	v_mul_f32_e32 v54, v55, v53
	v_fma_f32 v56, -v51, v54, v55
	s_delay_alu instid0(VALU_DEP_1) | instskip(SKIP_2) | instid1(VALU_DEP_3)
	v_fmac_f32_e32 v54, v56, v53
	v_cvt_f32_f16_e32 v56, v9
	v_lshrrev_b32_e32 v9, 16, v9
	v_fma_f32 v51, -v51, v54, v55
	v_cvt_f32_f16_e32 v55, v16
	v_lshrrev_b32_e32 v16, 16, v16
	s_delay_alu instid0(VALU_DEP_4) | instskip(NEXT) | instid1(VALU_DEP_4)
	v_cvt_f32_f16_e32 v9, v9
	v_div_fmas_f32 v51, v51, v53, v54
	v_cvt_f32_f16_e32 v53, v14
	v_lshrrev_b32_e32 v14, 16, v14
	v_cvt_f32_f16_e32 v54, v15
	v_lshrrev_b32_e32 v15, 16, v15
	v_div_fixup_f32 v17, v51, v52, v17
	v_cvt_f32_f16_e32 v16, v16
	v_cvt_f32_f16_e32 v14, v14
	s_delay_alu instid0(VALU_DEP_4) | instskip(NEXT) | instid1(VALU_DEP_4)
	v_cvt_f32_f16_e32 v15, v15
	v_cvt_f64_f32_e32 v[51:52], v17
	s_delay_alu instid0(VALU_DEP_1) | instskip(NEXT) | instid1(VALU_DEP_1)
	v_add_f64 v[51:52], v[51:52], s[18:19]
	v_cvt_f32_f64_e32 v51, v[51:52]
	v_cvt_f32_f16_e32 v52, v13
	v_lshrrev_b32_e32 v13, 16, v13
	s_delay_alu instid0(VALU_DEP_1) | instskip(NEXT) | instid1(VALU_DEP_4)
	v_cvt_f32_f16_e32 v13, v13
	v_mul_f32_e32 v65, 0x4b800000, v51
	v_cmp_gt_f32_e32 vcc_lo, 0x800000, v51
	s_delay_alu instid0(VALU_DEP_2) | instskip(SKIP_2) | instid1(VALU_DEP_3)
	v_cndmask_b32_e32 v51, v51, v65, vcc_lo
	v_cvt_f32_f16_e32 v65, v3
	v_lshrrev_b32_e32 v3, 16, v3
	v_rsq_f32_e32 v51, v51
	s_delay_alu instid0(VALU_DEP_1) | instskip(SKIP_2) | instid1(VALU_DEP_1)
	v_cvt_f32_f16_e32 v3, v3
	s_waitcnt_depctr 0xfff
	v_mul_f32_e32 v69, 0x45800000, v51
	v_cndmask_b32_e32 v51, v51, v69, vcc_lo
	s_delay_alu instid0(VALU_DEP_1) | instskip(NEXT) | instid1(VALU_DEP_1)
	v_mul_f32_e32 v49, v51, v49
	v_dual_mul_f32 v75, v51, v32 :: v_dual_mul_f32 v32, v49, v15
	v_mul_f32_e32 v24, v51, v24
	v_mul_f32_e32 v22, v51, v22
	;; [unrolled: 1-line block ×5, first 2 shown]
	v_dual_mul_f32 v72, v51, v29 :: v_dual_mul_f32 v27, v24, v56
	v_mul_f32_e32 v40, v51, v40
	v_mul_f32_e32 v73, v51, v30
	v_dual_mul_f32 v50, v51, v50 :: v_dual_lshlrev_b32 v17, 5, v0
	s_delay_alu instid0(VALU_DEP_4)
	v_mul_f32_e32 v15, v72, v61
	v_mul_f32_e32 v69, v51, v26
	;; [unrolled: 1-line block ×4, first 2 shown]
	v_dual_mul_f32 v74, v51, v31 :: v_dual_mul_f32 v31, v22, v54
	v_mul_f32_e32 v42, v51, v42
	v_and_b32_e32 v40, 0x7fffffff, v32
	v_mul_f32_e32 v76, v51, v33
	v_dual_mul_f32 v78, v51, v35 :: v_dual_mul_f32 v35, v21, v52
	v_mul_f32_e32 v21, v70, v59
	v_mul_f32_e32 v47, v51, v47
	;; [unrolled: 1-line block ×11, first 2 shown]
	v_dual_mul_f32 v22, v43, v12 :: v_dual_and_b32 v1, 0x7fffffff, v35
	v_mul_f32_e32 v16, v42, v6
	v_and_b32_e32 v42, 0x7fffffff, v30
	v_mul_f32_e32 v12, v39, v8
	v_mul_f32_e32 v8, v38, v2
	v_dual_mul_f32 v24, v45, v11 :: v_dual_mul_f32 v37, v51, v37
	v_dual_mul_f32 v71, v51, v28 :: v_dual_mul_f32 v28, v48, v9
	v_mul_f32_e32 v77, v51, v34
	v_dual_mul_f32 v34, v50, v14 :: v_dual_mul_f32 v41, v51, v41
	s_delay_alu instid0(VALU_DEP_4) | instskip(SKIP_1) | instid1(VALU_DEP_3)
	v_and_b32_e32 v48, 0x7fffffff, v24
	v_dual_mul_f32 v6, v37, v3 :: v_dual_and_b32 v37, 0x7fffffff, v33
	v_dual_mul_f32 v25, v51, v25 :: v_dual_and_b32 v38, 0x7fffffff, v34
	s_delay_alu instid0(VALU_DEP_4) | instskip(SKIP_1) | instid1(VALU_DEP_3)
	v_mul_f32_e32 v14, v41, v7
	v_dual_mul_f32 v44, v51, v44 :: v_dual_and_b32 v39, 0x7fffffff, v31
	v_dual_mul_f32 v25, v25, v57 :: v_dual_and_b32 v50, 0x7fffffff, v22
	s_delay_alu instid0(VALU_DEP_2) | instskip(SKIP_2) | instid1(VALU_DEP_3)
	v_dual_mul_f32 v23, v51, v23 :: v_dual_mul_f32 v20, v44, v5
	v_mul_f32_e32 v51, v51, v36
	v_dual_mul_f32 v36, v19, v13 :: v_dual_mul_f32 v13, v73, v62
	v_dual_mul_f32 v29, v23, v55 :: v_dual_and_b32 v52, 0x7fffffff, v20
	v_mul_f32_e32 v7, v76, v66
	s_delay_alu instid0(VALU_DEP_3)
	v_dual_mul_f32 v3, v78, v67 :: v_dual_and_b32 v2, 0x7fffffff, v36
	;;#ASMSTART
	v_max3_f32 v1, v68, v1, v2

	;;#ASMEND
	v_mul_f32_e32 v23, v69, v58
	;;#ASMSTART
	v_max3_f32 v1, v1, v37, v38

	;;#ASMEND
	v_mul_f32_e32 v4, v51, v4
	;;#ASMSTART
	v_max3_f32 v1, v1, v39, v40

	;;#ASMEND
	v_dual_mul_f32 v19, v71, v60 :: v_dual_and_b32 v56, 0x7fffffff, v14
	v_and_b32_e32 v41, 0x7fffffff, v29
	;;#ASMSTART
	v_max3_f32 v1, v1, v41, v42

	;;#ASMEND
	v_and_b32_e32 v43, 0x7fffffff, v27
	v_and_b32_e32 v44, 0x7fffffff, v28
	;;#ASMSTART
	v_max3_f32 v1, v1, v43, v44

	;;#ASMEND
	v_and_b32_e32 v45, 0x7fffffff, v25
	v_and_b32_e32 v46, 0x7fffffff, v26
	;;#ASMSTART
	v_max3_f32 v1, v1, v45, v46

	;;#ASMEND
	v_mul_f32_e32 v11, v74, v63
	v_and_b32_e32 v47, 0x7fffffff, v23
	;;#ASMSTART
	v_max3_f32 v1, v1, v47, v48

	;;#ASMEND
	v_dual_mul_f32 v9, v75, v64 :: v_dual_and_b32 v60, 0x7fffffff, v10
	v_and_b32_e32 v49, 0x7fffffff, v21
	;;#ASMSTART
	v_max3_f32 v1, v1, v49, v50

	;;#ASMEND
	v_and_b32_e32 v51, 0x7fffffff, v19
	;;#ASMSTART
	v_max3_f32 v1, v1, v51, v52

	;;#ASMEND
	v_mul_f32_e32 v5, v77, v65
	v_and_b32_e32 v53, 0x7fffffff, v15
	v_and_b32_e32 v54, 0x7fffffff, v16
	;;#ASMSTART
	v_max3_f32 v1, v1, v53, v54

	;;#ASMEND
	v_and_b32_e32 v55, 0x7fffffff, v13
	;;#ASMSTART
	v_max3_f32 v1, v1, v55, v56

	;;#ASMEND
	v_and_b32_e32 v57, 0x7fffffff, v11
	v_and_b32_e32 v58, 0x7fffffff, v12
	;;#ASMSTART
	v_max3_f32 v1, v1, v57, v58

	;;#ASMEND
	v_and_b32_e32 v59, 0x7fffffff, v9
	;;#ASMSTART
	v_max3_f32 v1, v1, v59, v60

	;;#ASMEND
	v_and_b32_e32 v61, 0x7fffffff, v7
	v_and_b32_e32 v62, 0x7fffffff, v8
	;;#ASMSTART
	v_max3_f32 v1, v1, v61, v62

	;;#ASMEND
	v_and_b32_e32 v63, 0x7fffffff, v5
	v_and_b32_e32 v64, 0x7fffffff, v6
	;; [unrolled: 1-line block ×4, first 2 shown]
	;;#ASMSTART
	v_max3_f32 v1, v1, v63, v64

	;;#ASMEND
	;;#ASMSTART
	v_max3_f32 v37, v1, v65, v66

	;;#ASMEND
	s_cbranch_scc0 .LBB87_10
; %bb.4:
	s_ashr_i32 s11, s7, 31
	s_delay_alu instid0(SALU_CYCLE_1) | instskip(NEXT) | instid1(SALU_CYCLE_1)
	s_lshr_b32 s3, s11, 27
	s_add_i32 s3, s7, s3
	s_delay_alu instid0(SALU_CYCLE_1) | instskip(NEXT) | instid1(SALU_CYCLE_1)
	s_ashr_i32 s3, s3, 5
	s_cmp_lt_i32 s3, 8
	s_cbranch_scc1 .LBB87_11
; %bb.5:
	s_cmp_lt_i32 s3, 16
	s_cbranch_scc1 .LBB87_12
; %bb.6:
	;; [unrolled: 3-line block ×3, first 2 shown]
	v_mov_b32_e32 v1, v37
	s_cmp_eq_u32 s3, 32
	s_cbranch_scc0 .LBB87_9
; %bb.8:
	s_delay_alu instid0(VALU_DEP_1) | instskip(SKIP_1) | instid1(VALU_DEP_1)
	v_mov_b32_dpp v1, v37 quad_perm:[1,0,3,2] row_mask:0xf bank_mask:0xf
	s_mov_b32 s12, 0x76543210
	v_cmp_gt_f32_e32 vcc_lo, v37, v1
	v_cndmask_b32_e32 v1, v1, v37, vcc_lo
	s_delay_alu instid0(VALU_DEP_1) | instskip(NEXT) | instid1(VALU_DEP_1)
	v_mov_b32_dpp v2, v1 quad_perm:[2,3,0,1] row_mask:0xf bank_mask:0xf
	v_cmp_gt_f32_e32 vcc_lo, v1, v2
	v_cndmask_b32_e32 v1, v2, v1, vcc_lo
	s_delay_alu instid0(VALU_DEP_1) | instskip(NEXT) | instid1(VALU_DEP_1)
	v_mov_b32_dpp v2, v1 row_xmask:7 row_mask:0xf bank_mask:0xf
	v_cmp_gt_f32_e32 vcc_lo, v1, v2
	v_cndmask_b32_e32 v1, v2, v1, vcc_lo
	s_delay_alu instid0(VALU_DEP_1) | instskip(NEXT) | instid1(VALU_DEP_1)
	v_mov_b32_dpp v2, v1 row_xmask:15 row_mask:0xf bank_mask:0xf
	v_cmp_gt_f32_e32 vcc_lo, v1, v2
	v_cndmask_b32_e32 v1, v2, v1, vcc_lo
	s_delay_alu instid0(VALU_DEP_1) | instskip(NEXT) | instid1(VALU_DEP_1)
	v_permlanex16_b32 v2, v1, s12, 0xfedcba98 op_sel:[1,1]
	v_cmp_gt_f32_e32 vcc_lo, v1, v2
	v_cndmask_b32_e32 v1, v2, v1, vcc_lo
.LBB87_9:
	s_mov_b32 s12, 0
	s_branch .LBB87_14
.LBB87_10:
	s_mov_b32 s3, 0
                                        ; implicit-def: $vgpr38
                                        ; implicit-def: $vgpr1_vgpr2
	s_and_b32 vcc_lo, exec_lo, s15
	s_cbranch_vccnz .LBB87_38
	s_branch .LBB87_41
.LBB87_11:
                                        ; implicit-def: $vgpr1
	s_branch .LBB87_21
.LBB87_12:
                                        ; implicit-def: $vgpr1
	s_branch .LBB87_18
.LBB87_13:
	s_mov_b32 s12, -1
                                        ; implicit-def: $vgpr1
.LBB87_14:
	s_delay_alu instid0(SALU_CYCLE_1)
	s_and_not1_b32 vcc_lo, exec_lo, s12
	s_cbranch_vccnz .LBB87_17
; %bb.15:
	v_mov_b32_e32 v1, v37
	s_cmp_eq_u32 s3, 16
	s_cbranch_scc0 .LBB87_17
; %bb.16:
	s_delay_alu instid0(VALU_DEP_1) | instskip(NEXT) | instid1(VALU_DEP_1)
	v_mov_b32_dpp v1, v37 quad_perm:[1,0,3,2] row_mask:0xf bank_mask:0xf
	v_cmp_gt_f32_e32 vcc_lo, v37, v1
	v_cndmask_b32_e32 v1, v1, v37, vcc_lo
	s_delay_alu instid0(VALU_DEP_1) | instskip(NEXT) | instid1(VALU_DEP_1)
	v_mov_b32_dpp v2, v1 quad_perm:[2,3,0,1] row_mask:0xf bank_mask:0xf
	v_cmp_gt_f32_e32 vcc_lo, v1, v2
	v_cndmask_b32_e32 v1, v2, v1, vcc_lo
	s_delay_alu instid0(VALU_DEP_1) | instskip(NEXT) | instid1(VALU_DEP_1)
	v_mov_b32_dpp v2, v1 row_half_mirror row_mask:0xf bank_mask:0xf
	v_cmp_gt_f32_e32 vcc_lo, v1, v2
	v_cndmask_b32_e32 v1, v2, v1, vcc_lo
	s_delay_alu instid0(VALU_DEP_1) | instskip(NEXT) | instid1(VALU_DEP_1)
	v_mov_b32_dpp v2, v1 row_mirror row_mask:0xf bank_mask:0xf
	v_cmp_gt_f32_e32 vcc_lo, v1, v2
	v_cndmask_b32_e32 v1, v2, v1, vcc_lo
.LBB87_17:
	s_cbranch_execnz .LBB87_20
.LBB87_18:
	v_mov_b32_e32 v1, v37
	s_cmp_eq_u32 s3, 8
	s_cbranch_scc0 .LBB87_20
; %bb.19:
	s_delay_alu instid0(VALU_DEP_1) | instskip(NEXT) | instid1(VALU_DEP_1)
	v_mov_b32_dpp v1, v37 quad_perm:[1,0,3,2] row_mask:0xf bank_mask:0xf
	v_cmp_gt_f32_e32 vcc_lo, v37, v1
	v_cndmask_b32_e32 v1, v1, v37, vcc_lo
	s_delay_alu instid0(VALU_DEP_1) | instskip(NEXT) | instid1(VALU_DEP_1)
	v_mov_b32_dpp v2, v1 quad_perm:[2,3,0,1] row_mask:0xf bank_mask:0xf
	v_cmp_gt_f32_e32 vcc_lo, v1, v2
	v_cndmask_b32_e32 v1, v2, v1, vcc_lo
	s_delay_alu instid0(VALU_DEP_1) | instskip(NEXT) | instid1(VALU_DEP_1)
	v_mov_b32_dpp v2, v1 row_half_mirror row_mask:0xf bank_mask:0xf
	v_cmp_gt_f32_e32 vcc_lo, v1, v2
	v_cndmask_b32_e32 v1, v2, v1, vcc_lo
.LBB87_20:
	s_cbranch_execnz .LBB87_28
.LBB87_21:
	s_cmp_lt_i32 s3, 4
	s_cbranch_scc1 .LBB87_24
; %bb.22:
	v_mov_b32_e32 v1, v37
	s_cmp_eq_u32 s3, 4
	s_cbranch_scc0 .LBB87_25
; %bb.23:
	s_delay_alu instid0(VALU_DEP_1) | instskip(NEXT) | instid1(VALU_DEP_1)
	v_mov_b32_dpp v1, v37 quad_perm:[1,0,3,2] row_mask:0xf bank_mask:0xf
	v_cmp_gt_f32_e32 vcc_lo, v37, v1
	v_cndmask_b32_e32 v1, v1, v37, vcc_lo
	s_delay_alu instid0(VALU_DEP_1) | instskip(NEXT) | instid1(VALU_DEP_1)
	v_mov_b32_dpp v2, v1 quad_perm:[2,3,0,1] row_mask:0xf bank_mask:0xf
	v_cmp_gt_f32_e32 vcc_lo, v1, v2
	v_cndmask_b32_e32 v1, v2, v1, vcc_lo
	s_cbranch_execz .LBB87_26
	s_branch .LBB87_28
.LBB87_24:
                                        ; implicit-def: $vgpr1
	s_branch .LBB87_26
.LBB87_25:
	s_cbranch_execnz .LBB87_28
.LBB87_26:
	v_mov_b32_e32 v1, v37
	s_cmp_lg_u32 s3, 2
	s_cbranch_scc1 .LBB87_28
; %bb.27:
	s_delay_alu instid0(VALU_DEP_1) | instskip(NEXT) | instid1(VALU_DEP_1)
	v_mov_b32_dpp v1, v37 quad_perm:[1,0,3,2] row_mask:0xf bank_mask:0xf
	v_cmp_gt_f32_e32 vcc_lo, v37, v1
	v_cndmask_b32_e32 v1, v1, v37, vcc_lo
.LBB87_28:
	v_cvt_f32_u32_e32 v2, s3
	s_sub_i32 s12, 0, s3
	s_mov_b32 s15, 0
	s_delay_alu instid0(VALU_DEP_1) | instskip(SKIP_2) | instid1(VALU_DEP_1)
	v_rcp_iflag_f32_e32 v2, v2
	s_waitcnt_depctr 0xfff
	v_mul_f32_e32 v2, 0x4f7ffffe, v2
	v_cvt_u32_f32_e32 v2, v2
	s_delay_alu instid0(VALU_DEP_1) | instskip(NEXT) | instid1(VALU_DEP_1)
	v_mul_lo_u32 v38, s12, v2
	v_mul_hi_u32 v38, v2, v38
	s_delay_alu instid0(VALU_DEP_1) | instskip(NEXT) | instid1(VALU_DEP_1)
	v_add_nc_u32_e32 v2, v2, v38
	v_mul_hi_u32 v2, v0, v2
	s_delay_alu instid0(VALU_DEP_1) | instskip(NEXT) | instid1(VALU_DEP_1)
	v_mul_lo_u32 v38, v2, s3
	v_sub_nc_u32_e32 v38, v0, v38
	s_delay_alu instid0(VALU_DEP_1) | instskip(SKIP_1) | instid1(VALU_DEP_2)
	v_subrev_nc_u32_e32 v40, s3, v38
	v_cmp_le_u32_e32 vcc_lo, s3, v38
	v_dual_cndmask_b32 v38, v38, v40 :: v_dual_add_nc_u32 v39, 1, v2
	s_delay_alu instid0(VALU_DEP_1) | instskip(NEXT) | instid1(VALU_DEP_2)
	v_cndmask_b32_e32 v2, v2, v39, vcc_lo
	v_cmp_le_u32_e32 vcc_lo, s3, v38
	s_delay_alu instid0(VALU_DEP_2) | instskip(NEXT) | instid1(VALU_DEP_1)
	v_dual_mul_f32 v38, 0x3b124925, v1 :: v_dual_add_nc_u32 v39, 1, v2
	v_cndmask_b32_e32 v39, v2, v39, vcc_lo
	v_cmp_gt_u32_e32 vcc_lo, s5, v17
	s_delay_alu instid0(VALU_DEP_2) | instskip(NEXT) | instid1(VALU_DEP_1)
	v_mul_lo_u32 v2, v39, s3
	v_sub_nc_u32_e32 v2, v0, v2
	s_delay_alu instid0(VALU_DEP_1) | instskip(NEXT) | instid1(VALU_DEP_1)
	v_cmp_eq_u32_e64 s3, 0, v2
                                        ; implicit-def: $vgpr1_vgpr2
	s_and_b32 s12, s3, vcc_lo
	s_mov_b32 s3, 0
	s_and_saveexec_b32 s13, s12
	s_delay_alu instid0(SALU_CYCLE_1)
	s_xor_b32 s14, exec_lo, s13
	s_cbranch_execz .LBB87_37
; %bb.29:
	s_bitcmp0_b32 s10, 0
	s_mov_b32 s16, 0
	s_cbranch_scc0 .LBB87_34
; %bb.30:
	s_ashr_i32 s3, s5, 31
	s_mul_hi_u32 s10, s5, s20
	s_mul_i32 s3, s3, s20
	s_mul_i32 s12, s5, s20
	s_add_i32 s13, s10, s3
	s_mov_b32 s10, s7
	s_delay_alu instid0(SALU_CYCLE_1) | instskip(NEXT) | instid1(SALU_CYCLE_1)
	s_or_b64 s[18:19], s[12:13], s[10:11]
	s_mov_b32 s17, s19
	s_delay_alu instid0(SALU_CYCLE_1)
	s_cmp_lg_u64 s[16:17], 0
	s_cbranch_scc0 .LBB87_45
; %bb.31:
	s_add_u32 s18, s10, s11
	s_mov_b32 s16, s11
	s_mov_b32 s17, s11
	s_addc_u32 s19, s11, s11
	s_delay_alu instid0(SALU_CYCLE_1) | instskip(NEXT) | instid1(SALU_CYCLE_1)
	s_xor_b64 s[18:19], s[18:19], s[16:17]
	v_cvt_f32_u32_e32 v1, s18
	v_cvt_f32_u32_e32 v2, s19
	s_sub_u32 s11, 0, s18
	s_subb_u32 s22, 0, s19
	s_delay_alu instid0(VALU_DEP_1) | instskip(NEXT) | instid1(VALU_DEP_1)
	v_fmamk_f32 v1, v2, 0x4f800000, v1
	v_rcp_f32_e32 v1, v1
	s_waitcnt_depctr 0xfff
	v_mul_f32_e32 v1, 0x5f7ffffc, v1
	s_delay_alu instid0(VALU_DEP_1) | instskip(NEXT) | instid1(VALU_DEP_1)
	v_mul_f32_e32 v2, 0x2f800000, v1
	v_trunc_f32_e32 v2, v2
	s_delay_alu instid0(VALU_DEP_1) | instskip(SKIP_1) | instid1(VALU_DEP_2)
	v_fmamk_f32 v1, v2, 0xcf800000, v1
	v_cvt_u32_f32_e32 v2, v2
	v_cvt_u32_f32_e32 v1, v1
	s_delay_alu instid0(VALU_DEP_2) | instskip(NEXT) | instid1(VALU_DEP_2)
	v_readfirstlane_b32 s3, v2
	v_readfirstlane_b32 s7, v1
	s_delay_alu instid0(VALU_DEP_2) | instskip(NEXT) | instid1(VALU_DEP_1)
	s_mul_i32 s23, s11, s3
	s_mul_hi_u32 s25, s11, s7
	s_mul_i32 s24, s22, s7
	s_add_i32 s23, s25, s23
	s_mul_i32 s26, s11, s7
	s_add_i32 s23, s23, s24
	s_mul_hi_u32 s25, s7, s26
	s_mul_hi_u32 s27, s3, s26
	s_mul_i32 s24, s3, s26
	s_mul_hi_u32 s26, s7, s23
	s_mul_i32 s7, s7, s23
	s_mul_hi_u32 s28, s3, s23
	s_add_u32 s7, s25, s7
	s_addc_u32 s25, 0, s26
	s_add_u32 s7, s7, s24
	s_mul_i32 s23, s3, s23
	s_addc_u32 s7, s25, s27
	s_addc_u32 s24, s28, 0
	s_add_u32 s7, s7, s23
	s_addc_u32 s23, 0, s24
	v_add_co_u32 v1, s7, v1, s7
	s_delay_alu instid0(VALU_DEP_1) | instskip(SKIP_1) | instid1(VALU_DEP_1)
	s_cmp_lg_u32 s7, 0
	s_addc_u32 s3, s3, s23
	v_readfirstlane_b32 s7, v1
	s_mul_i32 s23, s11, s3
	s_delay_alu instid0(VALU_DEP_1)
	s_mul_hi_u32 s24, s11, s7
	s_mul_i32 s22, s22, s7
	s_add_i32 s23, s24, s23
	s_mul_i32 s11, s11, s7
	s_add_i32 s23, s23, s22
	s_mul_hi_u32 s24, s3, s11
	s_mul_i32 s25, s3, s11
	s_mul_hi_u32 s11, s7, s11
	s_mul_hi_u32 s26, s7, s23
	s_mul_i32 s7, s7, s23
	s_mul_hi_u32 s22, s3, s23
	s_add_u32 s7, s11, s7
	s_addc_u32 s11, 0, s26
	s_add_u32 s7, s7, s25
	s_mul_i32 s23, s3, s23
	s_addc_u32 s7, s11, s24
	s_addc_u32 s11, s22, 0
	s_add_u32 s7, s7, s23
	s_addc_u32 s11, 0, s11
	v_add_co_u32 v1, s7, v1, s7
	s_delay_alu instid0(VALU_DEP_1) | instskip(SKIP_2) | instid1(VALU_DEP_1)
	s_cmp_lg_u32 s7, 0
	s_addc_u32 s3, s3, s11
	s_ashr_i32 s22, s13, 31
	v_readfirstlane_b32 s7, v1
	s_add_u32 s24, s12, s22
	s_mov_b32 s23, s22
	s_addc_u32 s25, s13, s22
	s_delay_alu instid0(SALU_CYCLE_1) | instskip(NEXT) | instid1(SALU_CYCLE_1)
	s_xor_b64 s[24:25], s[24:25], s[22:23]
	s_mul_i32 s13, s24, s3
	s_mul_hi_u32 s26, s24, s7
	s_mul_hi_u32 s11, s24, s3
	;; [unrolled: 1-line block ×3, first 2 shown]
	s_mul_i32 s7, s25, s7
	s_add_u32 s13, s26, s13
	s_addc_u32 s11, 0, s11
	s_mul_hi_u32 s27, s25, s3
	s_add_u32 s7, s13, s7
	s_mul_i32 s3, s25, s3
	s_addc_u32 s7, s11, s28
	s_addc_u32 s11, s27, 0
	s_add_u32 s7, s7, s3
	s_addc_u32 s11, 0, s11
	s_mul_i32 s27, s18, s7
	s_mul_hi_u32 s3, s18, s7
	s_mul_i32 s26, s18, s11
	v_sub_co_u32 v1, s24, s24, s27
	s_mul_i32 s13, s19, s7
	s_add_i32 s3, s3, s26
	s_delay_alu instid0(SALU_CYCLE_1) | instskip(NEXT) | instid1(VALU_DEP_1)
	s_add_i32 s3, s3, s13
	v_sub_co_u32 v2, s26, v1, s18
	s_sub_i32 s13, s25, s3
	s_cmp_lg_u32 s24, 0
	s_subb_u32 s13, s13, s19
	s_cmp_lg_u32 s26, 0
	v_cmp_le_u32_e32 vcc_lo, s18, v2
	s_subb_u32 s13, s13, 0
	s_delay_alu instid0(SALU_CYCLE_1)
	s_cmp_ge_u32 s13, s19
	v_cndmask_b32_e64 v2, 0, -1, vcc_lo
	s_cselect_b32 s26, -1, 0
	s_cmp_eq_u32 s13, s19
	s_cselect_b32 vcc_lo, -1, 0
	s_add_u32 s13, s7, 1
	v_cndmask_b32_e32 v2, s26, v2, vcc_lo
	s_addc_u32 s26, s11, 0
	s_add_u32 s27, s7, 2
	s_addc_u32 s28, s11, 0
	s_cmp_lg_u32 s24, 0
	v_cmp_le_u32_e32 vcc_lo, s18, v1
	s_subb_u32 s3, s25, s3
	v_mov_b32_e32 v40, s27
	s_cmp_ge_u32 s3, s19
	v_cndmask_b32_e64 v1, 0, -1, vcc_lo
	s_cselect_b32 s18, -1, 0
	s_cmp_eq_u32 s3, s19
	v_cmp_ne_u32_e32 vcc_lo, 0, v2
	v_mov_b32_e32 v2, s28
	s_cselect_b32 s3, -1, 0
	s_xor_b64 s[16:17], s[22:23], s[16:17]
	v_cndmask_b32_e64 v1, s18, v1, s3
	v_cndmask_b32_e32 v40, s13, v40, vcc_lo
	v_cndmask_b32_e32 v2, s26, v2, vcc_lo
	s_delay_alu instid0(VALU_DEP_3) | instskip(NEXT) | instid1(VALU_DEP_2)
	v_cmp_ne_u32_e32 vcc_lo, 0, v1
	v_cndmask_b32_e32 v1, s11, v2, vcc_lo
	s_delay_alu instid0(VALU_DEP_4) | instskip(NEXT) | instid1(VALU_DEP_2)
	v_cndmask_b32_e32 v2, s7, v40, vcc_lo
	v_xor_b32_e32 v40, s17, v1
	s_delay_alu instid0(VALU_DEP_2) | instskip(NEXT) | instid1(VALU_DEP_1)
	v_xor_b32_e32 v2, s16, v2
	v_sub_co_u32 v1, vcc_lo, v2, s16
	s_delay_alu instid0(VALU_DEP_3)
	v_subrev_co_ci_u32_e32 v2, vcc_lo, s17, v40, vcc_lo
	s_cbranch_execnz .LBB87_33
.LBB87_32:
	v_cvt_f32_u32_e32 v1, s10
	s_sub_i32 s7, 0, s10
	s_delay_alu instid0(VALU_DEP_1) | instskip(SKIP_2) | instid1(VALU_DEP_1)
	v_rcp_iflag_f32_e32 v1, v1
	s_waitcnt_depctr 0xfff
	v_mul_f32_e32 v1, 0x4f7ffffe, v1
	v_cvt_u32_f32_e32 v1, v1
	s_delay_alu instid0(VALU_DEP_1) | instskip(NEXT) | instid1(VALU_DEP_1)
	v_readfirstlane_b32 s3, v1
	s_mul_i32 s7, s7, s3
	s_delay_alu instid0(SALU_CYCLE_1) | instskip(NEXT) | instid1(SALU_CYCLE_1)
	s_mul_hi_u32 s7, s3, s7
	s_add_i32 s3, s3, s7
	s_delay_alu instid0(SALU_CYCLE_1) | instskip(NEXT) | instid1(SALU_CYCLE_1)
	s_mul_hi_u32 s3, s12, s3
	s_mul_i32 s7, s3, s10
	s_add_i32 s11, s3, 1
	s_sub_i32 s7, s12, s7
	s_delay_alu instid0(SALU_CYCLE_1)
	s_sub_i32 s12, s7, s10
	s_cmp_ge_u32 s7, s10
	s_cselect_b32 s3, s11, s3
	s_cselect_b32 s7, s12, s7
	s_add_i32 s12, s3, 1
	s_cmp_ge_u32 s7, s10
	s_mov_b32 s11, 0
	s_cselect_b32 s10, s12, s3
	s_delay_alu instid0(SALU_CYCLE_1)
	v_dual_mov_b32 v1, s10 :: v_dual_mov_b32 v2, s11
.LBB87_33:
	s_delay_alu instid0(VALU_DEP_1) | instskip(NEXT) | instid1(VALU_DEP_2)
	v_add_co_u32 v1, vcc_lo, v1, v39
	v_add_co_ci_u32_e32 v2, vcc_lo, 0, v2, vcc_lo
	s_branch .LBB87_36
.LBB87_34:
                                        ; implicit-def: $vgpr1_vgpr2
	s_cbranch_execz .LBB87_36
; %bb.35:
	v_mul_lo_u32 v1, v39, s4
	s_delay_alu instid0(VALU_DEP_1) | instskip(SKIP_1) | instid1(VALU_DEP_2)
	v_ashrrev_i32_e32 v2, 31, v1
	v_add_co_u32 v1, vcc_lo, v1, s20
	v_add_co_ci_u32_e32 v2, vcc_lo, 0, v2, vcc_lo
.LBB87_36:
	s_mov_b32 s3, exec_lo
.LBB87_37:
	s_or_b32 exec_lo, exec_lo, s14
	s_delay_alu instid0(SALU_CYCLE_1)
	s_and_b32 vcc_lo, exec_lo, s15
	s_cbranch_vccz .LBB87_41
.LBB87_38:
	v_mov_b32_dpp v1, v37 quad_perm:[1,0,3,2] row_mask:0xf bank_mask:0xf
	s_delay_alu instid0(VALU_DEP_1) | instskip(SKIP_1) | instid1(VALU_DEP_1)
	v_cmp_gt_f32_e32 vcc_lo, v37, v1
	v_cndmask_b32_e32 v1, v1, v37, vcc_lo
	v_mov_b32_dpp v2, v1 quad_perm:[2,3,0,1] row_mask:0xf bank_mask:0xf
	s_delay_alu instid0(VALU_DEP_1) | instskip(SKIP_1) | instid1(VALU_DEP_1)
	v_cmp_gt_f32_e32 vcc_lo, v1, v2
	v_cndmask_b32_e32 v1, v2, v1, vcc_lo
	v_mov_b32_dpp v2, v1 row_xmask:7 row_mask:0xf bank_mask:0xf
	s_delay_alu instid0(VALU_DEP_1) | instskip(SKIP_1) | instid1(VALU_DEP_1)
	v_cmp_gt_f32_e32 vcc_lo, v1, v2
	v_cndmask_b32_e32 v1, v2, v1, vcc_lo
	v_mov_b32_dpp v2, v1 row_xmask:15 row_mask:0xf bank_mask:0xf
	s_delay_alu instid0(VALU_DEP_1)
	v_cmp_gt_f32_e32 vcc_lo, v1, v2
	s_and_saveexec_b32 s3, s2
	s_cbranch_execz .LBB87_40
; %bb.39:
	v_cndmask_b32_e32 v1, v2, v1, vcc_lo
	v_lshrrev_b32_e32 v2, 3, v0
	s_mov_b32 s2, 0x76543210
	s_delay_alu instid0(VALU_DEP_1) | instskip(NEXT) | instid1(VALU_DEP_3)
	v_and_b32_e32 v2, 0x7c, v2
	v_permlanex16_b32 v37, v1, s2, 0xfedcba98 op_sel:[1,1]
	s_delay_alu instid0(VALU_DEP_1)
	v_cmp_gt_f32_e32 vcc_lo, v1, v37
	v_cndmask_b32_e32 v1, v37, v1, vcc_lo
	ds_store_b32 v2, v1
.LBB87_40:
	s_or_b32 exec_lo, exec_lo, s3
	s_waitcnt lgkmcnt(0)
	s_barrier
	buffer_gl0_inv
	ds_load_b32 v1, v18
	v_cmp_eq_u32_e64 s3, 0, v0
	s_waitcnt lgkmcnt(0)
	v_mov_b32_dpp v2, v1 quad_perm:[1,0,3,2] row_mask:0xf bank_mask:0xf
	s_delay_alu instid0(VALU_DEP_1) | instskip(SKIP_1) | instid1(VALU_DEP_1)
	v_cmp_gt_f32_e32 vcc_lo, v1, v2
	v_cndmask_b32_e32 v1, v2, v1, vcc_lo
	v_mov_b32_dpp v2, v1 quad_perm:[2,3,0,1] row_mask:0xf bank_mask:0xf
	s_delay_alu instid0(VALU_DEP_1) | instskip(SKIP_1) | instid1(VALU_DEP_1)
	v_cmp_gt_f32_e32 vcc_lo, v1, v2
	v_cndmask_b32_e32 v1, v2, v1, vcc_lo
	v_mov_b32_dpp v2, v1 row_xmask:7 row_mask:0xf bank_mask:0xf
	s_delay_alu instid0(VALU_DEP_1) | instskip(SKIP_1) | instid1(VALU_DEP_1)
	v_cmp_gt_f32_e32 vcc_lo, v1, v2
	v_cndmask_b32_e32 v1, v2, v1, vcc_lo
	v_dual_mul_f32 v38, 0x3b124925, v1 :: v_dual_mov_b32 v1, s20
	v_mov_b32_e32 v2, s21
.LBB87_41:
	s_and_saveexec_b32 s2, s3
	s_cbranch_execz .LBB87_43
; %bb.42:
	s_delay_alu instid0(VALU_DEP_1) | instskip(NEXT) | instid1(VALU_DEP_1)
	v_lshlrev_b64 v[0:1], 2, v[1:2]
	v_add_co_u32 v0, vcc_lo, s8, v0
	s_delay_alu instid0(VALU_DEP_2)
	v_add_co_ci_u32_e32 v1, vcc_lo, s9, v1, vcc_lo
	global_store_b32 v[0:1], v38, off
.LBB87_43:
	s_or_b32 exec_lo, exec_lo, s2
	s_load_b64 s[0:1], s[0:1], 0x0
	;;#ASMSTART
	v_rcp_f32 v2, v38
	;;#ASMEND
	v_dual_mov_b32 v18, 0xc3e00000 :: v_dual_mul_f32 v1, v2, v36
	v_dual_mov_b32 v37, 0x43e00000 :: v_dual_mul_f32 v0, v2, v35
	v_mul_f32_e32 v33, v2, v33
	v_mul_f32_e32 v34, v2, v34
	;;#ASMSTART
	v_med3_f32 v0, v0, v18, v37
v_med3_f32 v1, v1, v18, v37
v_cvt_pk_fp8_f32 v35, v0, v1
	;;#ASMEND
	s_add_i32 s2, s5, 3
	;;#ASMSTART
	v_med3_f32 v33, v33, v18, v37
v_med3_f32 v34, v34, v18, v37
v_cvt_pk_fp8_f32 v0, v33, v34
	;;#ASMEND
	v_perm_b32 v1, v0, v35, 0x5040100
	s_ashr_i32 s3, s6, 31
	s_mul_hi_u32 s4, s6, s20
	s_mul_i32 s5, s6, s20
	s_ashr_i32 s6, s2, 31
	v_mul_f32_e32 v31, v2, v31
	s_lshr_b32 s6, s6, 30
	v_mul_f32_e32 v32, v2, v32
	v_mul_f32_e32 v33, v2, v29
	;; [unrolled: 1-line block ×3, first 2 shown]
	v_perm_b32 v29, v1, v0, 0x1060504
	;;#ASMSTART
	v_med3_f32 v31, v31, v18, v37
v_med3_f32 v32, v32, v18, v37
v_cvt_pk_fp8_f32 v0, v31, v32
	;;#ASMEND
	;;#ASMSTART
	v_med3_f32 v33, v33, v18, v37
v_med3_f32 v30, v30, v18, v37
v_cvt_pk_fp8_f32 v1, v33, v30
	;;#ASMEND
	s_mul_i32 s3, s3, s20
	s_add_i32 s2, s2, s6
	v_perm_b32 v30, v0, v1, 0x1000504
	v_mul_f32_e32 v0, v2, v27
	v_mul_f32_e32 v1, v2, v28
	;; [unrolled: 1-line block ×4, first 2 shown]
	;;#ASMSTART
	v_med3_f32 v0, v0, v18, v37
v_med3_f32 v1, v1, v18, v37
v_cvt_pk_fp8_f32 v27, v0, v1
	;;#ASMEND
	s_add_i32 s4, s4, s3
	s_and_b32 s2, s2, -4
	v_mul_f32_e32 v23, v2, v23
	v_mul_f32_e32 v24, v2, v24
	;; [unrolled: 1-line block ×4, first 2 shown]
	;;#ASMSTART
	v_med3_f32 v25, v25, v18, v37
v_med3_f32 v26, v26, v18, v37
v_cvt_pk_fp8_f32 v0, v25, v26
	;;#ASMEND
	s_waitcnt lgkmcnt(0)
	s_add_u32 s0, s0, s5
	v_perm_b32 v31, v27, v0, 0x1000504
	;;#ASMSTART
	v_med3_f32 v23, v23, v18, v37
v_med3_f32 v24, v24, v18, v37
v_cvt_pk_fp8_f32 v0, v23, v24
	;;#ASMEND
	;;#ASMSTART
	v_med3_f32 v21, v21, v18, v37
v_med3_f32 v22, v22, v18, v37
v_cvt_pk_fp8_f32 v1, v21, v22
	;;#ASMEND
	v_perm_b32 v32, v0, v1, 0x1000504
	s_addc_u32 s1, s1, s4
	s_mov_b32 s3, -1
	s_and_b32 s1, s1, 0xffff
	v_mul_f32_e32 v0, v2, v19
	v_mul_f32_e32 v1, v2, v20
	;; [unrolled: 1-line block ×4, first 2 shown]
	buffer_store_b128 v[29:32], v17, s[0:3], 0 offen
	;;#ASMSTART
	s_nop 0
	;;#ASMEND
	;;#ASMSTART
	v_med3_f32 v0, v0, v18, v37
v_med3_f32 v1, v1, v18, v37
v_cvt_pk_fp8_f32 v19, v0, v1
	;;#ASMEND
	;;#ASMSTART
	v_med3_f32 v15, v15, v18, v37
v_med3_f32 v16, v16, v18, v37
v_cvt_pk_fp8_f32 v0, v15, v16
	;;#ASMEND
	v_perm_b32 v1, v0, v19, 0x5040100
	v_mul_f32_e32 v13, v2, v13
	v_mul_f32_e32 v14, v2, v14
	;; [unrolled: 1-line block ×4, first 2 shown]
	v_perm_b32 v0, v1, v0, 0x1060504
	;;#ASMSTART
	v_med3_f32 v13, v13, v18, v37
v_med3_f32 v14, v14, v18, v37
v_cvt_pk_fp8_f32 v1, v13, v14
	;;#ASMEND
	v_mul_f32_e32 v9, v2, v9
	v_mul_f32_e32 v10, v2, v10
	;;#ASMSTART
	v_med3_f32 v11, v11, v18, v37
v_med3_f32 v12, v12, v18, v37
v_cvt_pk_fp8_f32 v13, v11, v12
	;;#ASMEND
	v_mul_f32_e32 v7, v2, v7
	v_mul_f32_e32 v8, v2, v8
	;; [unrolled: 1-line block ×6, first 2 shown]
	;;#ASMSTART
	v_med3_f32 v9, v9, v18, v37
v_med3_f32 v10, v10, v18, v37
v_cvt_pk_fp8_f32 v2, v9, v10
	;;#ASMEND
	;;#ASMSTART
	v_med3_f32 v7, v7, v18, v37
v_med3_f32 v8, v8, v18, v37
v_cvt_pk_fp8_f32 v9, v7, v8
	;;#ASMEND
	;; [unrolled: 5-line block ×4, first 2 shown]
	v_perm_b32 v1, v1, v13, 0x1000504
	v_perm_b32 v2, v2, v9, 0x1000504
	v_perm_b32 v3, v7, v5, 0x1000504
	buffer_store_b128 v[0:3], v17, s[0:3], 16 offen
	;;#ASMSTART
	s_nop 0
	;;#ASMEND
.LBB87_44:
	s_nop 0
	s_sendmsg sendmsg(MSG_DEALLOC_VGPRS)
	s_endpgm
.LBB87_45:
                                        ; implicit-def: $vgpr1_vgpr2
	s_branch .LBB87_32
	.section	.rodata,"a",@progbits
	.p2align	6, 0x0
	.amdhsa_kernel _ZN5aiter24add_rmsnorm_quant_kernelIDF16_DB8_Li256ELi32ELb0ELb1ELb0ELi1EEEvPT0_PT_PfS5_S5_S5_diiiiiiib
		.amdhsa_group_segment_fixed_size 64
		.amdhsa_private_segment_fixed_size 0
		.amdhsa_kernarg_size 88
		.amdhsa_user_sgpr_count 15
		.amdhsa_user_sgpr_dispatch_ptr 0
		.amdhsa_user_sgpr_queue_ptr 0
		.amdhsa_user_sgpr_kernarg_segment_ptr 1
		.amdhsa_user_sgpr_dispatch_id 0
		.amdhsa_user_sgpr_private_segment_size 0
		.amdhsa_wavefront_size32 1
		.amdhsa_uses_dynamic_stack 0
		.amdhsa_enable_private_segment 0
		.amdhsa_system_sgpr_workgroup_id_x 1
		.amdhsa_system_sgpr_workgroup_id_y 0
		.amdhsa_system_sgpr_workgroup_id_z 0
		.amdhsa_system_sgpr_workgroup_info 0
		.amdhsa_system_vgpr_workitem_id 0
		.amdhsa_next_free_vgpr 79
		.amdhsa_next_free_sgpr 29
		.amdhsa_reserve_vcc 1
		.amdhsa_float_round_mode_32 0
		.amdhsa_float_round_mode_16_64 0
		.amdhsa_float_denorm_mode_32 3
		.amdhsa_float_denorm_mode_16_64 3
		.amdhsa_dx10_clamp 1
		.amdhsa_ieee_mode 1
		.amdhsa_fp16_overflow 0
		.amdhsa_workgroup_processor_mode 1
		.amdhsa_memory_ordered 1
		.amdhsa_forward_progress 0
		.amdhsa_shared_vgpr_count 0
		.amdhsa_exception_fp_ieee_invalid_op 0
		.amdhsa_exception_fp_denorm_src 0
		.amdhsa_exception_fp_ieee_div_zero 0
		.amdhsa_exception_fp_ieee_overflow 0
		.amdhsa_exception_fp_ieee_underflow 0
		.amdhsa_exception_fp_ieee_inexact 0
		.amdhsa_exception_int_div_zero 0
	.end_amdhsa_kernel
	.section	.text._ZN5aiter24add_rmsnorm_quant_kernelIDF16_DB8_Li256ELi32ELb0ELb1ELb0ELi1EEEvPT0_PT_PfS5_S5_S5_diiiiiiib,"axG",@progbits,_ZN5aiter24add_rmsnorm_quant_kernelIDF16_DB8_Li256ELi32ELb0ELb1ELb0ELi1EEEvPT0_PT_PfS5_S5_S5_diiiiiiib,comdat
.Lfunc_end87:
	.size	_ZN5aiter24add_rmsnorm_quant_kernelIDF16_DB8_Li256ELi32ELb0ELb1ELb0ELi1EEEvPT0_PT_PfS5_S5_S5_diiiiiiib, .Lfunc_end87-_ZN5aiter24add_rmsnorm_quant_kernelIDF16_DB8_Li256ELi32ELb0ELb1ELb0ELi1EEEvPT0_PT_PfS5_S5_S5_diiiiiiib
                                        ; -- End function
	.section	.AMDGPU.csdata,"",@progbits
; Kernel info:
; codeLenInByte = 5524
; NumSgprs: 31
; NumVgprs: 79
; ScratchSize: 0
; MemoryBound: 0
; FloatMode: 240
; IeeeMode: 1
; LDSByteSize: 64 bytes/workgroup (compile time only)
; SGPRBlocks: 3
; VGPRBlocks: 9
; NumSGPRsForWavesPerEU: 31
; NumVGPRsForWavesPerEU: 79
; Occupancy: 16
; WaveLimiterHint : 0
; COMPUTE_PGM_RSRC2:SCRATCH_EN: 0
; COMPUTE_PGM_RSRC2:USER_SGPR: 15
; COMPUTE_PGM_RSRC2:TRAP_HANDLER: 0
; COMPUTE_PGM_RSRC2:TGID_X_EN: 1
; COMPUTE_PGM_RSRC2:TGID_Y_EN: 0
; COMPUTE_PGM_RSRC2:TGID_Z_EN: 0
; COMPUTE_PGM_RSRC2:TIDIG_COMP_CNT: 0
	.section	.text._ZN5aiter24add_rmsnorm_quant_kernelItDB8_Li256ELi32ELb0ELb1ELb0ELi1EEEvPT0_PT_PfS5_S5_S5_diiiiiiib,"axG",@progbits,_ZN5aiter24add_rmsnorm_quant_kernelItDB8_Li256ELi32ELb0ELb1ELb0ELi1EEEvPT0_PT_PfS5_S5_S5_diiiiiiib,comdat
	.protected	_ZN5aiter24add_rmsnorm_quant_kernelItDB8_Li256ELi32ELb0ELb1ELb0ELi1EEEvPT0_PT_PfS5_S5_S5_diiiiiiib ; -- Begin function _ZN5aiter24add_rmsnorm_quant_kernelItDB8_Li256ELi32ELb0ELb1ELb0ELi1EEEvPT0_PT_PfS5_S5_S5_diiiiiiib
	.globl	_ZN5aiter24add_rmsnorm_quant_kernelItDB8_Li256ELi32ELb0ELb1ELb0ELi1EEEvPT0_PT_PfS5_S5_S5_diiiiiiib
	.p2align	8
	.type	_ZN5aiter24add_rmsnorm_quant_kernelItDB8_Li256ELi32ELb0ELb1ELb0ELi1EEEvPT0_PT_PfS5_S5_S5_diiiiiiib,@function
_ZN5aiter24add_rmsnorm_quant_kernelItDB8_Li256ELi32ELb0ELb1ELb0ELi1EEEvPT0_PT_PfS5_S5_S5_diiiiiiib: ; @_ZN5aiter24add_rmsnorm_quant_kernelItDB8_Li256ELi32ELb0ELb1ELb0ELi1EEEvPT0_PT_PfS5_S5_S5_diiiiiiib
; %bb.0:
	s_load_b128 s[4:7], s[0:1], 0x38
	s_mov_b32 s20, s15
	s_mov_b32 s21, 0
	s_waitcnt lgkmcnt(0)
	s_ashr_i32 s3, s4, 31
	s_mov_b32 s2, s4
	s_delay_alu instid0(SALU_CYCLE_1) | instskip(NEXT) | instid1(VALU_DEP_1)
	v_cmp_ge_i64_e64 s2, s[20:21], s[2:3]
	s_and_b32 vcc_lo, exec_lo, s2
	s_cbranch_vccnz .LBB88_44
; %bb.1:
	s_clause 0x1
	s_load_b128 s[8:11], s[0:1], 0x10
	s_load_b128 s[16:19], s[0:1], 0x28
	s_ashr_i32 s2, s6, 31
	s_mul_hi_u32 s3, s6, s20
	s_mul_i32 s7, s2, s20
	s_mul_i32 s2, s6, s20
	s_add_i32 s3, s3, s7
	v_lshlrev_b32_e32 v1, 6, v0
	s_lshl_b64 s[2:3], s[2:3], 1
	s_mov_b32 s15, -1
	v_and_b32_e32 v51, 31, v0
	s_mov_b32 s27, s15
	s_waitcnt lgkmcnt(0)
	s_add_u32 s12, s10, s2
	s_addc_u32 s2, s11, s3
	s_add_i32 s3, s5, 1
	s_and_b32 s13, s2, 0xffff
	s_lshr_b32 s6, s3, 31
	s_mov_b32 s24, s16
	s_add_i32 s3, s3, s6
	s_and_b32 s25, s17, 0xffff
	s_lshl_b32 s3, s3, 1
	v_cmp_eq_u32_e64 s2, 31, v51
	s_and_b32 s14, s3, -4
	s_clause 0x3
	buffer_load_b128 v[22:25], v1, s[12:15], 0 offen
	buffer_load_b128 v[30:33], v1, s[12:15], 16 offen
	;; [unrolled: 1-line block ×4, first 2 shown]
	s_mov_b32 s26, s14
	s_waitcnt vmcnt(3)
	v_lshrrev_b32_e32 v17, 16, v22
	v_and_b32_e32 v18, 0xffff, v22
	v_lshrrev_b32_e32 v22, 16, v23
	v_lshrrev_b32_e32 v26, 16, v25
	s_waitcnt vmcnt(2)
	v_lshrrev_b32_e32 v28, 16, v30
	v_cvt_f32_u32_e32 v19, v17
	v_cvt_f32_u32_e32 v20, v18
	;; [unrolled: 1-line block ×5, first 2 shown]
	v_mul_f32_e32 v18, v19, v19
	s_clause 0x3
	buffer_load_b128 v[13:16], v1, s[24:27], 0 offen
	buffer_load_b128 v[9:12], v1, s[24:27], 16 offen
	;; [unrolled: 1-line block ×4, first 2 shown]
	v_and_b32_e32 v17, 0xffff, v23
	v_lshrrev_b32_e32 v34, 16, v33
	s_waitcnt vmcnt(5)
	v_lshrrev_b32_e32 v36, 16, v38
	v_fmac_f32_e32 v18, v20, v20
	v_lshrrev_b32_e32 v42, 16, v41
	v_cvt_f32_u32_e32 v21, v17
	v_and_b32_e32 v17, 0xffff, v24
	v_lshrrev_b32_e32 v24, 16, v24
	v_cvt_f32_u32_e32 v34, v34
	v_cvt_f32_u32_e32 v36, v36
	v_fmac_f32_e32 v18, v21, v21
	v_cvt_f32_u32_e32 v23, v17
	v_and_b32_e32 v17, 0xffff, v25
	v_cvt_f32_u32_e32 v24, v24
	s_waitcnt vmcnt(4)
	v_lshrrev_b32_e32 v44, 16, v46
	v_fmac_f32_e32 v18, v22, v22
	v_cvt_f32_u32_e32 v42, v42
	v_cvt_f32_u32_e32 v25, v17
	v_and_b32_e32 v17, 0xffff, v30
	v_lshrrev_b32_e32 v30, 16, v31
	v_fmac_f32_e32 v18, v23, v23
	v_cvt_f32_u32_e32 v44, v44
	v_lshrrev_b32_e32 v50, 16, v49
	v_cvt_f32_u32_e32 v27, v17
	s_delay_alu instid0(VALU_DEP_4) | instskip(SKIP_1) | instid1(VALU_DEP_4)
	v_dual_fmac_f32 v18, v24, v24 :: v_dual_and_b32 v17, 0xffff, v31
	v_cvt_f32_u32_e32 v30, v30
	v_cvt_f32_u32_e32 v50, v50
	s_delay_alu instid0(VALU_DEP_3) | instskip(NEXT) | instid1(VALU_DEP_4)
	v_cvt_f32_u32_e32 v29, v17
	v_dual_fmac_f32 v18, v25, v25 :: v_dual_and_b32 v17, 0xffff, v32
	v_lshrrev_b32_e32 v32, 16, v32
	s_delay_alu instid0(VALU_DEP_2) | instskip(NEXT) | instid1(VALU_DEP_3)
	v_fmac_f32_e32 v18, v26, v26
	v_cvt_f32_u32_e32 v31, v17
	v_and_b32_e32 v17, 0xffff, v33
	s_delay_alu instid0(VALU_DEP_4) | instskip(NEXT) | instid1(VALU_DEP_4)
	v_cvt_f32_u32_e32 v32, v32
	v_fmac_f32_e32 v18, v27, v27
	s_delay_alu instid0(VALU_DEP_3) | instskip(SKIP_2) | instid1(VALU_DEP_4)
	v_cvt_f32_u32_e32 v33, v17
	v_and_b32_e32 v17, 0xffff, v38
	v_lshrrev_b32_e32 v38, 16, v39
	v_fmac_f32_e32 v18, v28, v28
	s_delay_alu instid0(VALU_DEP_3) | instskip(NEXT) | instid1(VALU_DEP_2)
	v_cvt_f32_u32_e32 v35, v17
	v_dual_fmac_f32 v18, v29, v29 :: v_dual_and_b32 v17, 0xffff, v39
	s_delay_alu instid0(VALU_DEP_4) | instskip(NEXT) | instid1(VALU_DEP_2)
	v_cvt_f32_u32_e32 v38, v38
	v_cvt_f32_u32_e32 v37, v17
	s_delay_alu instid0(VALU_DEP_3) | instskip(SKIP_1) | instid1(VALU_DEP_2)
	v_dual_fmac_f32 v18, v30, v30 :: v_dual_and_b32 v17, 0xffff, v40
	v_lshrrev_b32_e32 v40, 16, v40
	v_cvt_f32_u32_e32 v39, v17
	s_delay_alu instid0(VALU_DEP_3) | instskip(NEXT) | instid1(VALU_DEP_3)
	v_dual_fmac_f32 v18, v31, v31 :: v_dual_and_b32 v17, 0xffff, v41
	v_cvt_f32_u32_e32 v40, v40
	s_delay_alu instid0(VALU_DEP_2) | instskip(NEXT) | instid1(VALU_DEP_3)
	v_cvt_f32_u32_e32 v41, v17
	v_dual_fmac_f32 v18, v32, v32 :: v_dual_and_b32 v17, 0xffff, v46
	v_lshrrev_b32_e32 v46, 16, v47
	s_delay_alu instid0(VALU_DEP_2) | instskip(NEXT) | instid1(VALU_DEP_3)
	v_cvt_f32_u32_e32 v43, v17
	v_dual_fmac_f32 v18, v33, v33 :: v_dual_and_b32 v17, 0xffff, v47
	s_delay_alu instid0(VALU_DEP_3) | instskip(NEXT) | instid1(VALU_DEP_2)
	v_cvt_f32_u32_e32 v46, v46
	v_cvt_f32_u32_e32 v45, v17
	s_delay_alu instid0(VALU_DEP_3) | instskip(SKIP_1) | instid1(VALU_DEP_2)
	v_dual_fmac_f32 v18, v34, v34 :: v_dual_and_b32 v17, 0xffff, v48
	v_lshrrev_b32_e32 v48, 16, v48
	v_cvt_f32_u32_e32 v47, v17
	s_delay_alu instid0(VALU_DEP_3) | instskip(NEXT) | instid1(VALU_DEP_3)
	v_dual_fmac_f32 v18, v35, v35 :: v_dual_and_b32 v17, 0xffff, v49
	v_cvt_f32_u32_e32 v48, v48
	s_delay_alu instid0(VALU_DEP_2) | instskip(NEXT) | instid1(VALU_DEP_3)
	v_cvt_f32_u32_e32 v49, v17
	v_fmac_f32_e32 v18, v36, v36
	s_delay_alu instid0(VALU_DEP_1) | instskip(NEXT) | instid1(VALU_DEP_1)
	v_fmac_f32_e32 v18, v37, v37
	v_fmac_f32_e32 v18, v38, v38
	s_delay_alu instid0(VALU_DEP_1) | instskip(NEXT) | instid1(VALU_DEP_1)
	v_fmac_f32_e32 v18, v39, v39
	;; [unrolled: 3-line block ×7, first 2 shown]
	v_fmac_f32_e32 v18, v50, v50
	s_delay_alu instid0(VALU_DEP_1) | instskip(NEXT) | instid1(VALU_DEP_1)
	v_mov_b32_dpp v17, v18 quad_perm:[1,0,3,2] row_mask:0xf bank_mask:0xf
	v_add_f32_e32 v17, v18, v17
	s_delay_alu instid0(VALU_DEP_1) | instskip(NEXT) | instid1(VALU_DEP_1)
	v_mov_b32_dpp v18, v17 quad_perm:[2,3,0,1] row_mask:0xf bank_mask:0xf
	v_add_f32_e32 v17, v17, v18
	s_delay_alu instid0(VALU_DEP_1) | instskip(NEXT) | instid1(VALU_DEP_1)
	v_mov_b32_dpp v18, v17 row_xmask:7 row_mask:0xf bank_mask:0xf
	v_add_f32_e32 v17, v17, v18
	s_delay_alu instid0(VALU_DEP_1)
	v_mov_b32_dpp v18, v17 row_xmask:15 row_mask:0xf bank_mask:0xf
	s_and_saveexec_b32 s3, s2
	s_cbranch_execz .LBB88_3
; %bb.2:
	s_delay_alu instid0(VALU_DEP_1) | instskip(SKIP_2) | instid1(VALU_DEP_2)
	v_add_f32_e32 v17, v17, v18
	s_mov_b32 s6, 0x76543210
	v_lshrrev_b32_e32 v18, 3, v0
	v_permlanex16_b32 v51, v17, s6, 0xfedcba98 op_sel:[1,1]
	s_delay_alu instid0(VALU_DEP_1)
	v_dual_add_f32 v17, v17, v51 :: v_dual_and_b32 v18, 0x7c, v18
	ds_store_b32 v18, v17 offset:32
.LBB88_3:
	s_or_b32 exec_lo, exec_lo, s3
	v_and_b32_e32 v17, 7, v0
	s_waitcnt vmcnt(0) lgkmcnt(0)
	s_barrier
	buffer_gl0_inv
	v_cvt_f32_i32_e32 v52, s5
	v_lshlrev_b32_e32 v18, 2, v17
	v_mov_b32_e32 v68, 0x2edbe6ff
	ds_load_b32 v17, v18 offset:32
	s_clause 0x1
	s_load_b64 s[6:7], s[0:1], 0x4c
	s_load_b32 s10, s[0:1], 0x54
	s_waitcnt lgkmcnt(0)
	v_mov_b32_dpp v51, v17 quad_perm:[1,0,3,2] row_mask:0xf bank_mask:0xf
	s_cmp_lg_u32 s7, 0
	s_delay_alu instid0(VALU_DEP_1) | instskip(NEXT) | instid1(VALU_DEP_1)
	v_add_f32_e32 v17, v17, v51
	v_mov_b32_dpp v51, v17 quad_perm:[2,3,0,1] row_mask:0xf bank_mask:0xf
	s_delay_alu instid0(VALU_DEP_1) | instskip(NEXT) | instid1(VALU_DEP_1)
	v_add_f32_e32 v17, v17, v51
	v_mov_b32_dpp v51, v17 row_xmask:7 row_mask:0xf bank_mask:0xf
	s_delay_alu instid0(VALU_DEP_1) | instskip(NEXT) | instid1(VALU_DEP_1)
	v_add_f32_e32 v17, v17, v51
	v_div_scale_f32 v51, null, v52, v52, v17
	v_div_scale_f32 v55, vcc_lo, v17, v52, v17
	s_delay_alu instid0(VALU_DEP_2) | instskip(SKIP_2) | instid1(VALU_DEP_1)
	v_rcp_f32_e32 v53, v51
	s_waitcnt_depctr 0xfff
	v_fma_f32 v54, -v51, v53, 1.0
	v_fmac_f32_e32 v53, v54, v53
	s_delay_alu instid0(VALU_DEP_1) | instskip(NEXT) | instid1(VALU_DEP_1)
	v_mul_f32_e32 v54, v55, v53
	v_fma_f32 v56, -v51, v54, v55
	s_delay_alu instid0(VALU_DEP_1) | instskip(NEXT) | instid1(VALU_DEP_1)
	v_fmac_f32_e32 v54, v56, v53
	v_fma_f32 v51, -v51, v54, v55
	s_delay_alu instid0(VALU_DEP_1) | instskip(SKIP_2) | instid1(VALU_DEP_3)
	v_div_fmas_f32 v51, v51, v53, v54
	v_and_b32_e32 v54, 0xffff, v14
	v_lshrrev_b32_e32 v14, 16, v14
	v_div_fixup_f32 v17, v51, v52, v17
	s_delay_alu instid0(VALU_DEP_3) | instskip(NEXT) | instid1(VALU_DEP_3)
	v_cvt_f32_u32_e32 v54, v54
	v_cvt_f32_u32_e32 v14, v14
	s_delay_alu instid0(VALU_DEP_3) | instskip(SKIP_1) | instid1(VALU_DEP_2)
	v_cvt_f64_f32_e32 v[51:52], v17
	v_lshlrev_b32_e32 v17, 5, v0
	v_add_f64 v[51:52], v[51:52], s[18:19]
	s_delay_alu instid0(VALU_DEP_1) | instskip(SKIP_2) | instid1(VALU_DEP_2)
	v_cvt_f32_f64_e32 v51, v[51:52]
	v_and_b32_e32 v52, 0xffff, v15
	v_lshrrev_b32_e32 v15, 16, v15
	v_cvt_f32_u32_e32 v52, v52
	s_delay_alu instid0(VALU_DEP_2) | instskip(SKIP_4) | instid1(VALU_DEP_4)
	v_cvt_f32_u32_e32 v15, v15
	v_mul_f32_e32 v69, 0x4b800000, v51
	v_cmp_gt_f32_e32 vcc_lo, 0x800000, v51
	v_and_b32_e32 v58, 0xffff, v11
	v_lshrrev_b32_e32 v11, 16, v11
	v_cndmask_b32_e32 v51, v51, v69, vcc_lo
	s_delay_alu instid0(VALU_DEP_3) | instskip(NEXT) | instid1(VALU_DEP_3)
	v_cvt_f32_u32_e32 v58, v58
	v_cvt_f32_u32_e32 v11, v11
	s_delay_alu instid0(VALU_DEP_3) | instskip(SKIP_4) | instid1(VALU_DEP_3)
	v_rsq_f32_e32 v51, v51
	s_waitcnt_depctr 0xfff
	v_mul_f32_e32 v69, 0x45800000, v51
	v_and_b32_e32 v62, 0xffff, v7
	v_lshrrev_b32_e32 v7, 16, v7
	v_cndmask_b32_e32 v51, v51, v69, vcc_lo
	v_and_b32_e32 v53, 0xffff, v13
	v_lshrrev_b32_e32 v13, 16, v13
	v_and_b32_e32 v55, 0xffff, v16
	v_lshrrev_b32_e32 v16, 16, v16
	v_mul_f32_e32 v22, v51, v22
	v_dual_mul_f32 v28, v51, v28 :: v_dual_and_b32 v61, 0xffff, v6
	v_lshrrev_b32_e32 v6, 16, v6
	v_dual_mul_f32 v19, v51, v19 :: v_dual_and_b32 v56, 0xffff, v9
	v_lshrrev_b32_e32 v9, 16, v9
	;; [unrolled: 2-line block ×3, first 2 shown]
	v_dual_mul_f32 v26, v51, v26 :: v_dual_and_b32 v59, 0xffff, v12
	v_dual_mul_f32 v27, v51, v27 :: v_dual_and_b32 v64, 0xffff, v1
	v_lshrrev_b32_e32 v1, 16, v1
	v_mul_f32_e32 v20, v51, v20
	v_cvt_f32_u32_e32 v53, v53
	v_lshrrev_b32_e32 v12, 16, v12
	v_dual_mul_f32 v70, v51, v30 :: v_dual_and_b32 v63, 0xffff, v8
	v_lshrrev_b32_e32 v8, 16, v8
	v_dual_mul_f32 v72, v51, v32 :: v_dual_and_b32 v65, 0xffff, v2
	v_lshrrev_b32_e32 v2, 16, v2
	v_cvt_f32_u32_e32 v13, v13
	v_cvt_f32_u32_e32 v16, v16
	;; [unrolled: 1-line block ×3, first 2 shown]
	v_mul_f32_e32 v38, v51, v38
	v_dual_mul_f32 v23, v51, v23 :: v_dual_and_b32 v60, 0xffff, v5
	v_dual_mul_f32 v21, v51, v21 :: v_dual_and_b32 v66, 0xffff, v3
	v_lshrrev_b32_e32 v5, 16, v5
	v_cvt_f32_u32_e32 v55, v55
	v_mul_f32_e32 v25, v51, v25
	v_lshrrev_b32_e32 v3, 16, v3
	v_cvt_f32_u32_e32 v56, v56
	v_cvt_f32_u32_e32 v9, v9
	;; [unrolled: 1-line block ×5, first 2 shown]
	v_mul_f32_e32 v73, v51, v33
	v_dual_mul_f32 v75, v51, v35 :: v_dual_mul_f32 v28, v28, v9
	v_dual_mul_f32 v40, v51, v40 :: v_dual_mul_f32 v35, v20, v53
	;; [unrolled: 1-line block ×3, first 2 shown]
	v_dual_mul_f32 v74, v51, v34 :: v_dual_and_b32 v67, 0xffff, v4
	v_cvt_f32_u32_e32 v57, v57
	v_cvt_f32_u32_e32 v12, v12
	;; [unrolled: 1-line block ×6, first 2 shown]
	v_dual_mul_f32 v69, v51, v29 :: v_dual_mul_f32 v32, v24, v15
	v_dual_mul_f32 v71, v51, v31 :: v_dual_mul_f32 v30, v26, v16
	v_mul_f32_e32 v76, v51, v36
	v_mul_f32_e32 v39, v51, v39
	v_dual_mul_f32 v41, v51, v41 :: v_dual_mul_f32 v16, v38, v6
	v_mul_f32_e32 v46, v51, v46
	v_mul_f32_e32 v36, v19, v13
	;; [unrolled: 1-line block ×3, first 2 shown]
	v_dual_mul_f32 v42, v51, v42 :: v_dual_mul_f32 v29, v25, v55
	v_lshrrev_b32_e32 v4, 16, v4
	v_cvt_f32_u32_e32 v60, v60
	v_cvt_f32_u32_e32 v61, v61
	v_dual_mul_f32 v37, v51, v37 :: v_dual_mul_f32 v24, v72, v11
	v_cvt_f32_u32_e32 v7, v7
	v_cvt_f32_u32_e32 v65, v65
	v_mul_f32_e32 v45, v51, v45
	v_mul_f32_e32 v31, v23, v52
	v_cvt_f32_u32_e32 v5, v5
	v_cvt_f32_u32_e32 v64, v64
	v_mul_f32_e32 v43, v51, v43
	v_cvt_f32_u32_e32 v66, v66
	v_cvt_f32_u32_e32 v3, v3
	v_dual_mul_f32 v20, v76, v5 :: v_dual_mul_f32 v47, v51, v47
	v_mul_f32_e32 v26, v70, v10
	v_dual_mul_f32 v48, v51, v48 :: v_dual_mul_f32 v21, v73, v59
	v_dual_mul_f32 v27, v27, v56 :: v_dual_mul_f32 v10, v44, v1
	v_and_b32_e32 v1, 0x7fffffff, v35
	s_delay_alu instid0(VALU_DEP_3)
	v_mul_f32_e32 v6, v48, v3
	v_cvt_f32_u32_e32 v67, v67
	v_mul_f32_e32 v25, v69, v57
	v_dual_mul_f32 v49, v51, v49 :: v_dual_mul_f32 v22, v74, v12
	v_mul_f32_e32 v11, v41, v63
	v_dual_mul_f32 v13, v39, v62 :: v_dual_mul_f32 v12, v42, v8
	v_mul_f32_e32 v8, v46, v2
	v_and_b32_e32 v2, 0x7fffffff, v36
	;;#ASMSTART
	v_max3_f32 v1, v68, v1, v2

	;;#ASMEND
	v_cvt_f32_u32_e32 v4, v4
	v_dual_mul_f32 v50, v51, v50 :: v_dual_mul_f32 v15, v37, v61
	v_mul_f32_e32 v23, v71, v58
	v_dual_mul_f32 v19, v75, v60 :: v_dual_and_b32 v38, 0x7fffffff, v34
	v_and_b32_e32 v37, 0x7fffffff, v33
	;;#ASMSTART
	v_max3_f32 v1, v1, v37, v38

	;;#ASMEND
	v_dual_mul_f32 v14, v40, v7 :: v_dual_mul_f32 v7, v45, v65
	v_and_b32_e32 v40, 0x7fffffff, v32
	v_and_b32_e32 v39, 0x7fffffff, v31
	;;#ASMSTART
	v_max3_f32 v1, v1, v39, v40

	;;#ASMEND
	v_dual_mul_f32 v9, v43, v64 :: v_dual_and_b32 v42, 0x7fffffff, v30
	v_and_b32_e32 v41, 0x7fffffff, v29
	;;#ASMSTART
	v_max3_f32 v1, v1, v41, v42

	;;#ASMEND
	v_dual_mul_f32 v5, v47, v66 :: v_dual_and_b32 v44, 0x7fffffff, v28
	;; [unrolled: 6-line block ×4, first 2 shown]
	v_and_b32_e32 v48, 0x7fffffff, v24
	;;#ASMSTART
	v_max3_f32 v1, v1, v47, v48

	;;#ASMEND
	v_and_b32_e32 v49, 0x7fffffff, v21
	v_and_b32_e32 v50, 0x7fffffff, v22
	;;#ASMSTART
	v_max3_f32 v1, v1, v49, v50

	;;#ASMEND
	v_and_b32_e32 v51, 0x7fffffff, v19
	;; [unrolled: 6-line block ×8, first 2 shown]
	v_and_b32_e32 v64, 0x7fffffff, v6
	v_and_b32_e32 v65, 0x7fffffff, v3
	;; [unrolled: 1-line block ×3, first 2 shown]
	;;#ASMSTART
	v_max3_f32 v1, v1, v63, v64

	;;#ASMEND
	;;#ASMSTART
	v_max3_f32 v37, v1, v65, v66

	;;#ASMEND
	s_cbranch_scc0 .LBB88_10
; %bb.4:
	s_ashr_i32 s11, s7, 31
	s_delay_alu instid0(SALU_CYCLE_1) | instskip(NEXT) | instid1(SALU_CYCLE_1)
	s_lshr_b32 s3, s11, 27
	s_add_i32 s3, s7, s3
	s_delay_alu instid0(SALU_CYCLE_1) | instskip(NEXT) | instid1(SALU_CYCLE_1)
	s_ashr_i32 s3, s3, 5
	s_cmp_lt_i32 s3, 8
	s_cbranch_scc1 .LBB88_11
; %bb.5:
	s_cmp_lt_i32 s3, 16
	s_cbranch_scc1 .LBB88_12
; %bb.6:
	;; [unrolled: 3-line block ×3, first 2 shown]
	v_mov_b32_e32 v1, v37
	s_cmp_eq_u32 s3, 32
	s_cbranch_scc0 .LBB88_9
; %bb.8:
	s_delay_alu instid0(VALU_DEP_1) | instskip(SKIP_1) | instid1(VALU_DEP_1)
	v_mov_b32_dpp v1, v37 quad_perm:[1,0,3,2] row_mask:0xf bank_mask:0xf
	s_mov_b32 s12, 0x76543210
	v_cmp_gt_f32_e32 vcc_lo, v37, v1
	v_cndmask_b32_e32 v1, v1, v37, vcc_lo
	s_delay_alu instid0(VALU_DEP_1) | instskip(NEXT) | instid1(VALU_DEP_1)
	v_mov_b32_dpp v2, v1 quad_perm:[2,3,0,1] row_mask:0xf bank_mask:0xf
	v_cmp_gt_f32_e32 vcc_lo, v1, v2
	v_cndmask_b32_e32 v1, v2, v1, vcc_lo
	s_delay_alu instid0(VALU_DEP_1) | instskip(NEXT) | instid1(VALU_DEP_1)
	v_mov_b32_dpp v2, v1 row_xmask:7 row_mask:0xf bank_mask:0xf
	v_cmp_gt_f32_e32 vcc_lo, v1, v2
	v_cndmask_b32_e32 v1, v2, v1, vcc_lo
	s_delay_alu instid0(VALU_DEP_1) | instskip(NEXT) | instid1(VALU_DEP_1)
	v_mov_b32_dpp v2, v1 row_xmask:15 row_mask:0xf bank_mask:0xf
	v_cmp_gt_f32_e32 vcc_lo, v1, v2
	v_cndmask_b32_e32 v1, v2, v1, vcc_lo
	s_delay_alu instid0(VALU_DEP_1) | instskip(NEXT) | instid1(VALU_DEP_1)
	v_permlanex16_b32 v2, v1, s12, 0xfedcba98 op_sel:[1,1]
	v_cmp_gt_f32_e32 vcc_lo, v1, v2
	v_cndmask_b32_e32 v1, v2, v1, vcc_lo
.LBB88_9:
	s_mov_b32 s12, 0
	s_branch .LBB88_14
.LBB88_10:
	s_mov_b32 s3, 0
                                        ; implicit-def: $vgpr38
                                        ; implicit-def: $vgpr1_vgpr2
	s_and_b32 vcc_lo, exec_lo, s15
	s_cbranch_vccnz .LBB88_38
	s_branch .LBB88_41
.LBB88_11:
                                        ; implicit-def: $vgpr1
	s_branch .LBB88_21
.LBB88_12:
                                        ; implicit-def: $vgpr1
	s_branch .LBB88_18
.LBB88_13:
	s_mov_b32 s12, -1
                                        ; implicit-def: $vgpr1
.LBB88_14:
	s_delay_alu instid0(SALU_CYCLE_1)
	s_and_not1_b32 vcc_lo, exec_lo, s12
	s_cbranch_vccnz .LBB88_17
; %bb.15:
	v_mov_b32_e32 v1, v37
	s_cmp_eq_u32 s3, 16
	s_cbranch_scc0 .LBB88_17
; %bb.16:
	s_delay_alu instid0(VALU_DEP_1) | instskip(NEXT) | instid1(VALU_DEP_1)
	v_mov_b32_dpp v1, v37 quad_perm:[1,0,3,2] row_mask:0xf bank_mask:0xf
	v_cmp_gt_f32_e32 vcc_lo, v37, v1
	v_cndmask_b32_e32 v1, v1, v37, vcc_lo
	s_delay_alu instid0(VALU_DEP_1) | instskip(NEXT) | instid1(VALU_DEP_1)
	v_mov_b32_dpp v2, v1 quad_perm:[2,3,0,1] row_mask:0xf bank_mask:0xf
	v_cmp_gt_f32_e32 vcc_lo, v1, v2
	v_cndmask_b32_e32 v1, v2, v1, vcc_lo
	s_delay_alu instid0(VALU_DEP_1) | instskip(NEXT) | instid1(VALU_DEP_1)
	v_mov_b32_dpp v2, v1 row_half_mirror row_mask:0xf bank_mask:0xf
	v_cmp_gt_f32_e32 vcc_lo, v1, v2
	v_cndmask_b32_e32 v1, v2, v1, vcc_lo
	s_delay_alu instid0(VALU_DEP_1) | instskip(NEXT) | instid1(VALU_DEP_1)
	v_mov_b32_dpp v2, v1 row_mirror row_mask:0xf bank_mask:0xf
	v_cmp_gt_f32_e32 vcc_lo, v1, v2
	v_cndmask_b32_e32 v1, v2, v1, vcc_lo
.LBB88_17:
	s_cbranch_execnz .LBB88_20
.LBB88_18:
	v_mov_b32_e32 v1, v37
	s_cmp_eq_u32 s3, 8
	s_cbranch_scc0 .LBB88_20
; %bb.19:
	s_delay_alu instid0(VALU_DEP_1) | instskip(NEXT) | instid1(VALU_DEP_1)
	v_mov_b32_dpp v1, v37 quad_perm:[1,0,3,2] row_mask:0xf bank_mask:0xf
	v_cmp_gt_f32_e32 vcc_lo, v37, v1
	v_cndmask_b32_e32 v1, v1, v37, vcc_lo
	s_delay_alu instid0(VALU_DEP_1) | instskip(NEXT) | instid1(VALU_DEP_1)
	v_mov_b32_dpp v2, v1 quad_perm:[2,3,0,1] row_mask:0xf bank_mask:0xf
	v_cmp_gt_f32_e32 vcc_lo, v1, v2
	v_cndmask_b32_e32 v1, v2, v1, vcc_lo
	s_delay_alu instid0(VALU_DEP_1) | instskip(NEXT) | instid1(VALU_DEP_1)
	v_mov_b32_dpp v2, v1 row_half_mirror row_mask:0xf bank_mask:0xf
	v_cmp_gt_f32_e32 vcc_lo, v1, v2
	v_cndmask_b32_e32 v1, v2, v1, vcc_lo
.LBB88_20:
	s_cbranch_execnz .LBB88_28
.LBB88_21:
	s_cmp_lt_i32 s3, 4
	s_cbranch_scc1 .LBB88_24
; %bb.22:
	v_mov_b32_e32 v1, v37
	s_cmp_eq_u32 s3, 4
	s_cbranch_scc0 .LBB88_25
; %bb.23:
	s_delay_alu instid0(VALU_DEP_1) | instskip(NEXT) | instid1(VALU_DEP_1)
	v_mov_b32_dpp v1, v37 quad_perm:[1,0,3,2] row_mask:0xf bank_mask:0xf
	v_cmp_gt_f32_e32 vcc_lo, v37, v1
	v_cndmask_b32_e32 v1, v1, v37, vcc_lo
	s_delay_alu instid0(VALU_DEP_1) | instskip(NEXT) | instid1(VALU_DEP_1)
	v_mov_b32_dpp v2, v1 quad_perm:[2,3,0,1] row_mask:0xf bank_mask:0xf
	v_cmp_gt_f32_e32 vcc_lo, v1, v2
	v_cndmask_b32_e32 v1, v2, v1, vcc_lo
	s_cbranch_execz .LBB88_26
	s_branch .LBB88_28
.LBB88_24:
                                        ; implicit-def: $vgpr1
	s_branch .LBB88_26
.LBB88_25:
	s_cbranch_execnz .LBB88_28
.LBB88_26:
	v_mov_b32_e32 v1, v37
	s_cmp_lg_u32 s3, 2
	s_cbranch_scc1 .LBB88_28
; %bb.27:
	s_delay_alu instid0(VALU_DEP_1) | instskip(NEXT) | instid1(VALU_DEP_1)
	v_mov_b32_dpp v1, v37 quad_perm:[1,0,3,2] row_mask:0xf bank_mask:0xf
	v_cmp_gt_f32_e32 vcc_lo, v37, v1
	v_cndmask_b32_e32 v1, v1, v37, vcc_lo
.LBB88_28:
	v_cvt_f32_u32_e32 v2, s3
	s_sub_i32 s12, 0, s3
	s_mov_b32 s15, 0
	s_delay_alu instid0(VALU_DEP_1) | instskip(SKIP_2) | instid1(VALU_DEP_1)
	v_rcp_iflag_f32_e32 v2, v2
	s_waitcnt_depctr 0xfff
	v_mul_f32_e32 v2, 0x4f7ffffe, v2
	v_cvt_u32_f32_e32 v2, v2
	s_delay_alu instid0(VALU_DEP_1) | instskip(NEXT) | instid1(VALU_DEP_1)
	v_mul_lo_u32 v38, s12, v2
	v_mul_hi_u32 v38, v2, v38
	s_delay_alu instid0(VALU_DEP_1) | instskip(NEXT) | instid1(VALU_DEP_1)
	v_add_nc_u32_e32 v2, v2, v38
	v_mul_hi_u32 v2, v0, v2
	s_delay_alu instid0(VALU_DEP_1) | instskip(NEXT) | instid1(VALU_DEP_1)
	v_mul_lo_u32 v38, v2, s3
	v_sub_nc_u32_e32 v38, v0, v38
	s_delay_alu instid0(VALU_DEP_1) | instskip(SKIP_1) | instid1(VALU_DEP_2)
	v_subrev_nc_u32_e32 v40, s3, v38
	v_cmp_le_u32_e32 vcc_lo, s3, v38
	v_dual_cndmask_b32 v38, v38, v40 :: v_dual_add_nc_u32 v39, 1, v2
	s_delay_alu instid0(VALU_DEP_1) | instskip(NEXT) | instid1(VALU_DEP_2)
	v_cndmask_b32_e32 v2, v2, v39, vcc_lo
	v_cmp_le_u32_e32 vcc_lo, s3, v38
	s_delay_alu instid0(VALU_DEP_2) | instskip(NEXT) | instid1(VALU_DEP_1)
	v_dual_mul_f32 v38, 0x3b124925, v1 :: v_dual_add_nc_u32 v39, 1, v2
	v_cndmask_b32_e32 v39, v2, v39, vcc_lo
	v_cmp_gt_u32_e32 vcc_lo, s5, v17
	s_delay_alu instid0(VALU_DEP_2) | instskip(NEXT) | instid1(VALU_DEP_1)
	v_mul_lo_u32 v2, v39, s3
	v_sub_nc_u32_e32 v2, v0, v2
	s_delay_alu instid0(VALU_DEP_1) | instskip(NEXT) | instid1(VALU_DEP_1)
	v_cmp_eq_u32_e64 s3, 0, v2
                                        ; implicit-def: $vgpr1_vgpr2
	s_and_b32 s12, s3, vcc_lo
	s_mov_b32 s3, 0
	s_and_saveexec_b32 s13, s12
	s_delay_alu instid0(SALU_CYCLE_1)
	s_xor_b32 s14, exec_lo, s13
	s_cbranch_execz .LBB88_37
; %bb.29:
	s_bitcmp0_b32 s10, 0
	s_mov_b32 s16, 0
	s_cbranch_scc0 .LBB88_34
; %bb.30:
	s_ashr_i32 s3, s5, 31
	s_mul_hi_u32 s10, s5, s20
	s_mul_i32 s3, s3, s20
	s_mul_i32 s12, s5, s20
	s_add_i32 s13, s10, s3
	s_mov_b32 s10, s7
	s_delay_alu instid0(SALU_CYCLE_1) | instskip(NEXT) | instid1(SALU_CYCLE_1)
	s_or_b64 s[18:19], s[12:13], s[10:11]
	s_mov_b32 s17, s19
	s_delay_alu instid0(SALU_CYCLE_1)
	s_cmp_lg_u64 s[16:17], 0
	s_cbranch_scc0 .LBB88_45
; %bb.31:
	s_add_u32 s18, s10, s11
	s_mov_b32 s16, s11
	s_mov_b32 s17, s11
	s_addc_u32 s19, s11, s11
	s_delay_alu instid0(SALU_CYCLE_1) | instskip(NEXT) | instid1(SALU_CYCLE_1)
	s_xor_b64 s[18:19], s[18:19], s[16:17]
	v_cvt_f32_u32_e32 v1, s18
	v_cvt_f32_u32_e32 v2, s19
	s_sub_u32 s11, 0, s18
	s_subb_u32 s22, 0, s19
	s_delay_alu instid0(VALU_DEP_1) | instskip(NEXT) | instid1(VALU_DEP_1)
	v_fmamk_f32 v1, v2, 0x4f800000, v1
	v_rcp_f32_e32 v1, v1
	s_waitcnt_depctr 0xfff
	v_mul_f32_e32 v1, 0x5f7ffffc, v1
	s_delay_alu instid0(VALU_DEP_1) | instskip(NEXT) | instid1(VALU_DEP_1)
	v_mul_f32_e32 v2, 0x2f800000, v1
	v_trunc_f32_e32 v2, v2
	s_delay_alu instid0(VALU_DEP_1) | instskip(SKIP_1) | instid1(VALU_DEP_2)
	v_fmamk_f32 v1, v2, 0xcf800000, v1
	v_cvt_u32_f32_e32 v2, v2
	v_cvt_u32_f32_e32 v1, v1
	s_delay_alu instid0(VALU_DEP_2) | instskip(NEXT) | instid1(VALU_DEP_2)
	v_readfirstlane_b32 s3, v2
	v_readfirstlane_b32 s7, v1
	s_delay_alu instid0(VALU_DEP_2) | instskip(NEXT) | instid1(VALU_DEP_1)
	s_mul_i32 s23, s11, s3
	s_mul_hi_u32 s25, s11, s7
	s_mul_i32 s24, s22, s7
	s_add_i32 s23, s25, s23
	s_mul_i32 s26, s11, s7
	s_add_i32 s23, s23, s24
	s_mul_hi_u32 s25, s7, s26
	s_mul_hi_u32 s27, s3, s26
	s_mul_i32 s24, s3, s26
	s_mul_hi_u32 s26, s7, s23
	s_mul_i32 s7, s7, s23
	s_mul_hi_u32 s28, s3, s23
	s_add_u32 s7, s25, s7
	s_addc_u32 s25, 0, s26
	s_add_u32 s7, s7, s24
	s_mul_i32 s23, s3, s23
	s_addc_u32 s7, s25, s27
	s_addc_u32 s24, s28, 0
	s_add_u32 s7, s7, s23
	s_addc_u32 s23, 0, s24
	v_add_co_u32 v1, s7, v1, s7
	s_delay_alu instid0(VALU_DEP_1) | instskip(SKIP_1) | instid1(VALU_DEP_1)
	s_cmp_lg_u32 s7, 0
	s_addc_u32 s3, s3, s23
	v_readfirstlane_b32 s7, v1
	s_mul_i32 s23, s11, s3
	s_delay_alu instid0(VALU_DEP_1)
	s_mul_hi_u32 s24, s11, s7
	s_mul_i32 s22, s22, s7
	s_add_i32 s23, s24, s23
	s_mul_i32 s11, s11, s7
	s_add_i32 s23, s23, s22
	s_mul_hi_u32 s24, s3, s11
	s_mul_i32 s25, s3, s11
	s_mul_hi_u32 s11, s7, s11
	s_mul_hi_u32 s26, s7, s23
	s_mul_i32 s7, s7, s23
	s_mul_hi_u32 s22, s3, s23
	s_add_u32 s7, s11, s7
	s_addc_u32 s11, 0, s26
	s_add_u32 s7, s7, s25
	s_mul_i32 s23, s3, s23
	s_addc_u32 s7, s11, s24
	s_addc_u32 s11, s22, 0
	s_add_u32 s7, s7, s23
	s_addc_u32 s11, 0, s11
	v_add_co_u32 v1, s7, v1, s7
	s_delay_alu instid0(VALU_DEP_1) | instskip(SKIP_2) | instid1(VALU_DEP_1)
	s_cmp_lg_u32 s7, 0
	s_addc_u32 s3, s3, s11
	s_ashr_i32 s22, s13, 31
	v_readfirstlane_b32 s7, v1
	s_add_u32 s24, s12, s22
	s_mov_b32 s23, s22
	s_addc_u32 s25, s13, s22
	s_delay_alu instid0(SALU_CYCLE_1) | instskip(NEXT) | instid1(SALU_CYCLE_1)
	s_xor_b64 s[24:25], s[24:25], s[22:23]
	s_mul_i32 s13, s24, s3
	s_mul_hi_u32 s26, s24, s7
	s_mul_hi_u32 s11, s24, s3
	;; [unrolled: 1-line block ×3, first 2 shown]
	s_mul_i32 s7, s25, s7
	s_add_u32 s13, s26, s13
	s_addc_u32 s11, 0, s11
	s_mul_hi_u32 s27, s25, s3
	s_add_u32 s7, s13, s7
	s_mul_i32 s3, s25, s3
	s_addc_u32 s7, s11, s28
	s_addc_u32 s11, s27, 0
	s_add_u32 s7, s7, s3
	s_addc_u32 s11, 0, s11
	s_mul_i32 s27, s18, s7
	s_mul_hi_u32 s3, s18, s7
	s_mul_i32 s26, s18, s11
	v_sub_co_u32 v1, s24, s24, s27
	s_mul_i32 s13, s19, s7
	s_add_i32 s3, s3, s26
	s_delay_alu instid0(SALU_CYCLE_1) | instskip(NEXT) | instid1(VALU_DEP_1)
	s_add_i32 s3, s3, s13
	v_sub_co_u32 v2, s26, v1, s18
	s_sub_i32 s13, s25, s3
	s_cmp_lg_u32 s24, 0
	s_subb_u32 s13, s13, s19
	s_cmp_lg_u32 s26, 0
	v_cmp_le_u32_e32 vcc_lo, s18, v2
	s_subb_u32 s13, s13, 0
	s_delay_alu instid0(SALU_CYCLE_1)
	s_cmp_ge_u32 s13, s19
	v_cndmask_b32_e64 v2, 0, -1, vcc_lo
	s_cselect_b32 s26, -1, 0
	s_cmp_eq_u32 s13, s19
	s_cselect_b32 vcc_lo, -1, 0
	s_add_u32 s13, s7, 1
	v_cndmask_b32_e32 v2, s26, v2, vcc_lo
	s_addc_u32 s26, s11, 0
	s_add_u32 s27, s7, 2
	s_addc_u32 s28, s11, 0
	s_cmp_lg_u32 s24, 0
	v_cmp_le_u32_e32 vcc_lo, s18, v1
	s_subb_u32 s3, s25, s3
	v_mov_b32_e32 v40, s27
	s_cmp_ge_u32 s3, s19
	v_cndmask_b32_e64 v1, 0, -1, vcc_lo
	s_cselect_b32 s18, -1, 0
	s_cmp_eq_u32 s3, s19
	v_cmp_ne_u32_e32 vcc_lo, 0, v2
	v_mov_b32_e32 v2, s28
	s_cselect_b32 s3, -1, 0
	s_xor_b64 s[16:17], s[22:23], s[16:17]
	v_cndmask_b32_e64 v1, s18, v1, s3
	v_cndmask_b32_e32 v40, s13, v40, vcc_lo
	v_cndmask_b32_e32 v2, s26, v2, vcc_lo
	s_delay_alu instid0(VALU_DEP_3) | instskip(NEXT) | instid1(VALU_DEP_2)
	v_cmp_ne_u32_e32 vcc_lo, 0, v1
	v_cndmask_b32_e32 v1, s11, v2, vcc_lo
	s_delay_alu instid0(VALU_DEP_4) | instskip(NEXT) | instid1(VALU_DEP_2)
	v_cndmask_b32_e32 v2, s7, v40, vcc_lo
	v_xor_b32_e32 v40, s17, v1
	s_delay_alu instid0(VALU_DEP_2) | instskip(NEXT) | instid1(VALU_DEP_1)
	v_xor_b32_e32 v2, s16, v2
	v_sub_co_u32 v1, vcc_lo, v2, s16
	s_delay_alu instid0(VALU_DEP_3)
	v_subrev_co_ci_u32_e32 v2, vcc_lo, s17, v40, vcc_lo
	s_cbranch_execnz .LBB88_33
.LBB88_32:
	v_cvt_f32_u32_e32 v1, s10
	s_sub_i32 s7, 0, s10
	s_delay_alu instid0(VALU_DEP_1) | instskip(SKIP_2) | instid1(VALU_DEP_1)
	v_rcp_iflag_f32_e32 v1, v1
	s_waitcnt_depctr 0xfff
	v_mul_f32_e32 v1, 0x4f7ffffe, v1
	v_cvt_u32_f32_e32 v1, v1
	s_delay_alu instid0(VALU_DEP_1) | instskip(NEXT) | instid1(VALU_DEP_1)
	v_readfirstlane_b32 s3, v1
	s_mul_i32 s7, s7, s3
	s_delay_alu instid0(SALU_CYCLE_1) | instskip(NEXT) | instid1(SALU_CYCLE_1)
	s_mul_hi_u32 s7, s3, s7
	s_add_i32 s3, s3, s7
	s_delay_alu instid0(SALU_CYCLE_1) | instskip(NEXT) | instid1(SALU_CYCLE_1)
	s_mul_hi_u32 s3, s12, s3
	s_mul_i32 s7, s3, s10
	s_add_i32 s11, s3, 1
	s_sub_i32 s7, s12, s7
	s_delay_alu instid0(SALU_CYCLE_1)
	s_sub_i32 s12, s7, s10
	s_cmp_ge_u32 s7, s10
	s_cselect_b32 s3, s11, s3
	s_cselect_b32 s7, s12, s7
	s_add_i32 s12, s3, 1
	s_cmp_ge_u32 s7, s10
	s_mov_b32 s11, 0
	s_cselect_b32 s10, s12, s3
	s_delay_alu instid0(SALU_CYCLE_1)
	v_dual_mov_b32 v1, s10 :: v_dual_mov_b32 v2, s11
.LBB88_33:
	s_delay_alu instid0(VALU_DEP_1) | instskip(NEXT) | instid1(VALU_DEP_2)
	v_add_co_u32 v1, vcc_lo, v1, v39
	v_add_co_ci_u32_e32 v2, vcc_lo, 0, v2, vcc_lo
	s_branch .LBB88_36
.LBB88_34:
                                        ; implicit-def: $vgpr1_vgpr2
	s_cbranch_execz .LBB88_36
; %bb.35:
	v_mul_lo_u32 v1, v39, s4
	s_delay_alu instid0(VALU_DEP_1) | instskip(SKIP_1) | instid1(VALU_DEP_2)
	v_ashrrev_i32_e32 v2, 31, v1
	v_add_co_u32 v1, vcc_lo, v1, s20
	v_add_co_ci_u32_e32 v2, vcc_lo, 0, v2, vcc_lo
.LBB88_36:
	s_mov_b32 s3, exec_lo
.LBB88_37:
	s_or_b32 exec_lo, exec_lo, s14
	s_delay_alu instid0(SALU_CYCLE_1)
	s_and_b32 vcc_lo, exec_lo, s15
	s_cbranch_vccz .LBB88_41
.LBB88_38:
	v_mov_b32_dpp v1, v37 quad_perm:[1,0,3,2] row_mask:0xf bank_mask:0xf
	s_delay_alu instid0(VALU_DEP_1) | instskip(SKIP_1) | instid1(VALU_DEP_1)
	v_cmp_gt_f32_e32 vcc_lo, v37, v1
	v_cndmask_b32_e32 v1, v1, v37, vcc_lo
	v_mov_b32_dpp v2, v1 quad_perm:[2,3,0,1] row_mask:0xf bank_mask:0xf
	s_delay_alu instid0(VALU_DEP_1) | instskip(SKIP_1) | instid1(VALU_DEP_1)
	v_cmp_gt_f32_e32 vcc_lo, v1, v2
	v_cndmask_b32_e32 v1, v2, v1, vcc_lo
	v_mov_b32_dpp v2, v1 row_xmask:7 row_mask:0xf bank_mask:0xf
	s_delay_alu instid0(VALU_DEP_1) | instskip(SKIP_1) | instid1(VALU_DEP_1)
	v_cmp_gt_f32_e32 vcc_lo, v1, v2
	v_cndmask_b32_e32 v1, v2, v1, vcc_lo
	v_mov_b32_dpp v2, v1 row_xmask:15 row_mask:0xf bank_mask:0xf
	s_delay_alu instid0(VALU_DEP_1)
	v_cmp_gt_f32_e32 vcc_lo, v1, v2
	s_and_saveexec_b32 s3, s2
	s_cbranch_execz .LBB88_40
; %bb.39:
	v_cndmask_b32_e32 v1, v2, v1, vcc_lo
	v_lshrrev_b32_e32 v2, 3, v0
	s_mov_b32 s2, 0x76543210
	s_delay_alu instid0(VALU_DEP_1) | instskip(NEXT) | instid1(VALU_DEP_3)
	v_and_b32_e32 v2, 0x7c, v2
	v_permlanex16_b32 v37, v1, s2, 0xfedcba98 op_sel:[1,1]
	s_delay_alu instid0(VALU_DEP_1)
	v_cmp_gt_f32_e32 vcc_lo, v1, v37
	v_cndmask_b32_e32 v1, v37, v1, vcc_lo
	ds_store_b32 v2, v1
.LBB88_40:
	s_or_b32 exec_lo, exec_lo, s3
	s_waitcnt lgkmcnt(0)
	s_barrier
	buffer_gl0_inv
	ds_load_b32 v1, v18
	v_cmp_eq_u32_e64 s3, 0, v0
	s_waitcnt lgkmcnt(0)
	v_mov_b32_dpp v2, v1 quad_perm:[1,0,3,2] row_mask:0xf bank_mask:0xf
	s_delay_alu instid0(VALU_DEP_1) | instskip(SKIP_1) | instid1(VALU_DEP_1)
	v_cmp_gt_f32_e32 vcc_lo, v1, v2
	v_cndmask_b32_e32 v1, v2, v1, vcc_lo
	v_mov_b32_dpp v2, v1 quad_perm:[2,3,0,1] row_mask:0xf bank_mask:0xf
	s_delay_alu instid0(VALU_DEP_1) | instskip(SKIP_1) | instid1(VALU_DEP_1)
	v_cmp_gt_f32_e32 vcc_lo, v1, v2
	v_cndmask_b32_e32 v1, v2, v1, vcc_lo
	v_mov_b32_dpp v2, v1 row_xmask:7 row_mask:0xf bank_mask:0xf
	s_delay_alu instid0(VALU_DEP_1) | instskip(SKIP_1) | instid1(VALU_DEP_1)
	v_cmp_gt_f32_e32 vcc_lo, v1, v2
	v_cndmask_b32_e32 v1, v2, v1, vcc_lo
	v_dual_mul_f32 v38, 0x3b124925, v1 :: v_dual_mov_b32 v1, s20
	v_mov_b32_e32 v2, s21
.LBB88_41:
	s_and_saveexec_b32 s2, s3
	s_cbranch_execz .LBB88_43
; %bb.42:
	s_delay_alu instid0(VALU_DEP_1) | instskip(NEXT) | instid1(VALU_DEP_1)
	v_lshlrev_b64 v[0:1], 2, v[1:2]
	v_add_co_u32 v0, vcc_lo, s8, v0
	s_delay_alu instid0(VALU_DEP_2)
	v_add_co_ci_u32_e32 v1, vcc_lo, s9, v1, vcc_lo
	global_store_b32 v[0:1], v38, off
.LBB88_43:
	s_or_b32 exec_lo, exec_lo, s2
	s_load_b64 s[0:1], s[0:1], 0x0
	;;#ASMSTART
	v_rcp_f32 v2, v38
	;;#ASMEND
	v_dual_mov_b32 v18, 0xc3e00000 :: v_dual_mul_f32 v1, v2, v36
	v_dual_mov_b32 v37, 0x43e00000 :: v_dual_mul_f32 v0, v2, v35
	v_mul_f32_e32 v33, v2, v33
	v_mul_f32_e32 v34, v2, v34
	;;#ASMSTART
	v_med3_f32 v0, v0, v18, v37
v_med3_f32 v1, v1, v18, v37
v_cvt_pk_fp8_f32 v35, v0, v1
	;;#ASMEND
	s_add_i32 s2, s5, 3
	;;#ASMSTART
	v_med3_f32 v33, v33, v18, v37
v_med3_f32 v34, v34, v18, v37
v_cvt_pk_fp8_f32 v0, v33, v34
	;;#ASMEND
	v_perm_b32 v1, v0, v35, 0x5040100
	s_ashr_i32 s3, s6, 31
	s_mul_hi_u32 s4, s6, s20
	s_mul_i32 s5, s6, s20
	s_ashr_i32 s6, s2, 31
	v_mul_f32_e32 v31, v2, v31
	s_lshr_b32 s6, s6, 30
	v_mul_f32_e32 v32, v2, v32
	v_mul_f32_e32 v33, v2, v29
	;; [unrolled: 1-line block ×3, first 2 shown]
	v_perm_b32 v29, v1, v0, 0x1060504
	;;#ASMSTART
	v_med3_f32 v31, v31, v18, v37
v_med3_f32 v32, v32, v18, v37
v_cvt_pk_fp8_f32 v0, v31, v32
	;;#ASMEND
	;;#ASMSTART
	v_med3_f32 v33, v33, v18, v37
v_med3_f32 v30, v30, v18, v37
v_cvt_pk_fp8_f32 v1, v33, v30
	;;#ASMEND
	s_mul_i32 s3, s3, s20
	s_add_i32 s2, s2, s6
	v_perm_b32 v30, v0, v1, 0x1000504
	v_mul_f32_e32 v0, v2, v27
	v_mul_f32_e32 v1, v2, v28
	;; [unrolled: 1-line block ×4, first 2 shown]
	;;#ASMSTART
	v_med3_f32 v0, v0, v18, v37
v_med3_f32 v1, v1, v18, v37
v_cvt_pk_fp8_f32 v27, v0, v1
	;;#ASMEND
	s_add_i32 s4, s4, s3
	s_and_b32 s2, s2, -4
	v_mul_f32_e32 v23, v2, v23
	v_mul_f32_e32 v24, v2, v24
	;; [unrolled: 1-line block ×4, first 2 shown]
	;;#ASMSTART
	v_med3_f32 v25, v25, v18, v37
v_med3_f32 v26, v26, v18, v37
v_cvt_pk_fp8_f32 v0, v25, v26
	;;#ASMEND
	s_waitcnt lgkmcnt(0)
	s_add_u32 s0, s0, s5
	v_perm_b32 v31, v27, v0, 0x1000504
	;;#ASMSTART
	v_med3_f32 v23, v23, v18, v37
v_med3_f32 v24, v24, v18, v37
v_cvt_pk_fp8_f32 v0, v23, v24
	;;#ASMEND
	;;#ASMSTART
	v_med3_f32 v21, v21, v18, v37
v_med3_f32 v22, v22, v18, v37
v_cvt_pk_fp8_f32 v1, v21, v22
	;;#ASMEND
	v_perm_b32 v32, v0, v1, 0x1000504
	s_addc_u32 s1, s1, s4
	s_mov_b32 s3, -1
	s_and_b32 s1, s1, 0xffff
	v_mul_f32_e32 v0, v2, v19
	v_mul_f32_e32 v1, v2, v20
	;; [unrolled: 1-line block ×4, first 2 shown]
	buffer_store_b128 v[29:32], v17, s[0:3], 0 offen
	;;#ASMSTART
	s_nop 0
	;;#ASMEND
	;;#ASMSTART
	v_med3_f32 v0, v0, v18, v37
v_med3_f32 v1, v1, v18, v37
v_cvt_pk_fp8_f32 v19, v0, v1
	;;#ASMEND
	;;#ASMSTART
	v_med3_f32 v15, v15, v18, v37
v_med3_f32 v16, v16, v18, v37
v_cvt_pk_fp8_f32 v0, v15, v16
	;;#ASMEND
	v_perm_b32 v1, v0, v19, 0x5040100
	v_mul_f32_e32 v13, v2, v13
	v_mul_f32_e32 v14, v2, v14
	;; [unrolled: 1-line block ×4, first 2 shown]
	v_perm_b32 v0, v1, v0, 0x1060504
	;;#ASMSTART
	v_med3_f32 v13, v13, v18, v37
v_med3_f32 v14, v14, v18, v37
v_cvt_pk_fp8_f32 v1, v13, v14
	;;#ASMEND
	v_mul_f32_e32 v9, v2, v9
	v_mul_f32_e32 v10, v2, v10
	;;#ASMSTART
	v_med3_f32 v11, v11, v18, v37
v_med3_f32 v12, v12, v18, v37
v_cvt_pk_fp8_f32 v13, v11, v12
	;;#ASMEND
	v_mul_f32_e32 v7, v2, v7
	v_mul_f32_e32 v8, v2, v8
	;; [unrolled: 1-line block ×6, first 2 shown]
	;;#ASMSTART
	v_med3_f32 v9, v9, v18, v37
v_med3_f32 v10, v10, v18, v37
v_cvt_pk_fp8_f32 v2, v9, v10
	;;#ASMEND
	;;#ASMSTART
	v_med3_f32 v7, v7, v18, v37
v_med3_f32 v8, v8, v18, v37
v_cvt_pk_fp8_f32 v9, v7, v8
	;;#ASMEND
	;; [unrolled: 5-line block ×4, first 2 shown]
	v_perm_b32 v1, v1, v13, 0x1000504
	v_perm_b32 v2, v2, v9, 0x1000504
	;; [unrolled: 1-line block ×3, first 2 shown]
	buffer_store_b128 v[0:3], v17, s[0:3], 16 offen
	;;#ASMSTART
	s_nop 0
	;;#ASMEND
.LBB88_44:
	s_nop 0
	s_sendmsg sendmsg(MSG_DEALLOC_VGPRS)
	s_endpgm
.LBB88_45:
                                        ; implicit-def: $vgpr1_vgpr2
	s_branch .LBB88_32
	.section	.rodata,"a",@progbits
	.p2align	6, 0x0
	.amdhsa_kernel _ZN5aiter24add_rmsnorm_quant_kernelItDB8_Li256ELi32ELb0ELb1ELb0ELi1EEEvPT0_PT_PfS5_S5_S5_diiiiiiib
		.amdhsa_group_segment_fixed_size 64
		.amdhsa_private_segment_fixed_size 0
		.amdhsa_kernarg_size 88
		.amdhsa_user_sgpr_count 15
		.amdhsa_user_sgpr_dispatch_ptr 0
		.amdhsa_user_sgpr_queue_ptr 0
		.amdhsa_user_sgpr_kernarg_segment_ptr 1
		.amdhsa_user_sgpr_dispatch_id 0
		.amdhsa_user_sgpr_private_segment_size 0
		.amdhsa_wavefront_size32 1
		.amdhsa_uses_dynamic_stack 0
		.amdhsa_enable_private_segment 0
		.amdhsa_system_sgpr_workgroup_id_x 1
		.amdhsa_system_sgpr_workgroup_id_y 0
		.amdhsa_system_sgpr_workgroup_id_z 0
		.amdhsa_system_sgpr_workgroup_info 0
		.amdhsa_system_vgpr_workitem_id 0
		.amdhsa_next_free_vgpr 77
		.amdhsa_next_free_sgpr 29
		.amdhsa_reserve_vcc 1
		.amdhsa_float_round_mode_32 0
		.amdhsa_float_round_mode_16_64 0
		.amdhsa_float_denorm_mode_32 3
		.amdhsa_float_denorm_mode_16_64 3
		.amdhsa_dx10_clamp 1
		.amdhsa_ieee_mode 1
		.amdhsa_fp16_overflow 0
		.amdhsa_workgroup_processor_mode 1
		.amdhsa_memory_ordered 1
		.amdhsa_forward_progress 0
		.amdhsa_shared_vgpr_count 0
		.amdhsa_exception_fp_ieee_invalid_op 0
		.amdhsa_exception_fp_denorm_src 0
		.amdhsa_exception_fp_ieee_div_zero 0
		.amdhsa_exception_fp_ieee_overflow 0
		.amdhsa_exception_fp_ieee_underflow 0
		.amdhsa_exception_fp_ieee_inexact 0
		.amdhsa_exception_int_div_zero 0
	.end_amdhsa_kernel
	.section	.text._ZN5aiter24add_rmsnorm_quant_kernelItDB8_Li256ELi32ELb0ELb1ELb0ELi1EEEvPT0_PT_PfS5_S5_S5_diiiiiiib,"axG",@progbits,_ZN5aiter24add_rmsnorm_quant_kernelItDB8_Li256ELi32ELb0ELb1ELb0ELi1EEEvPT0_PT_PfS5_S5_S5_diiiiiiib,comdat
.Lfunc_end88:
	.size	_ZN5aiter24add_rmsnorm_quant_kernelItDB8_Li256ELi32ELb0ELb1ELb0ELi1EEEvPT0_PT_PfS5_S5_S5_diiiiiiib, .Lfunc_end88-_ZN5aiter24add_rmsnorm_quant_kernelItDB8_Li256ELi32ELb0ELb1ELb0ELi1EEEvPT0_PT_PfS5_S5_S5_diiiiiiib
                                        ; -- End function
	.section	.AMDGPU.csdata,"",@progbits
; Kernel info:
; codeLenInByte = 5676
; NumSgprs: 31
; NumVgprs: 77
; ScratchSize: 0
; MemoryBound: 0
; FloatMode: 240
; IeeeMode: 1
; LDSByteSize: 64 bytes/workgroup (compile time only)
; SGPRBlocks: 3
; VGPRBlocks: 9
; NumSGPRsForWavesPerEU: 31
; NumVGPRsForWavesPerEU: 77
; Occupancy: 16
; WaveLimiterHint : 0
; COMPUTE_PGM_RSRC2:SCRATCH_EN: 0
; COMPUTE_PGM_RSRC2:USER_SGPR: 15
; COMPUTE_PGM_RSRC2:TRAP_HANDLER: 0
; COMPUTE_PGM_RSRC2:TGID_X_EN: 1
; COMPUTE_PGM_RSRC2:TGID_Y_EN: 0
; COMPUTE_PGM_RSRC2:TGID_Z_EN: 0
; COMPUTE_PGM_RSRC2:TIDIG_COMP_CNT: 0
	.section	.text._ZN5aiter24add_rmsnorm_quant_kernelIDF16_aLi64ELi8ELb0ELb1ELb1ELi1EEEvPT0_PT_PfS4_S4_S4_diiiiiiib,"axG",@progbits,_ZN5aiter24add_rmsnorm_quant_kernelIDF16_aLi64ELi8ELb0ELb1ELb1ELi1EEEvPT0_PT_PfS4_S4_S4_diiiiiiib,comdat
	.protected	_ZN5aiter24add_rmsnorm_quant_kernelIDF16_aLi64ELi8ELb0ELb1ELb1ELi1EEEvPT0_PT_PfS4_S4_S4_diiiiiiib ; -- Begin function _ZN5aiter24add_rmsnorm_quant_kernelIDF16_aLi64ELi8ELb0ELb1ELb1ELi1EEEvPT0_PT_PfS4_S4_S4_diiiiiiib
	.globl	_ZN5aiter24add_rmsnorm_quant_kernelIDF16_aLi64ELi8ELb0ELb1ELb1ELi1EEEvPT0_PT_PfS4_S4_S4_diiiiiiib
	.p2align	8
	.type	_ZN5aiter24add_rmsnorm_quant_kernelIDF16_aLi64ELi8ELb0ELb1ELb1ELi1EEEvPT0_PT_PfS4_S4_S4_diiiiiiib,@function
_ZN5aiter24add_rmsnorm_quant_kernelIDF16_aLi64ELi8ELb0ELb1ELb1ELi1EEEvPT0_PT_PfS4_S4_S4_diiiiiiib: ; @_ZN5aiter24add_rmsnorm_quant_kernelIDF16_aLi64ELi8ELb0ELb1ELb1ELi1EEEvPT0_PT_PfS4_S4_S4_diiiiiiib
; %bb.0:
	s_load_b128 s[4:7], s[0:1], 0x38
	s_mov_b32 s20, s15
	s_mov_b32 s21, 0
	s_waitcnt lgkmcnt(0)
	s_ashr_i32 s3, s4, 31
	s_mov_b32 s2, s4
	s_delay_alu instid0(SALU_CYCLE_1) | instskip(NEXT) | instid1(VALU_DEP_1)
	v_cmp_ge_i64_e64 s2, s[20:21], s[2:3]
	s_and_b32 vcc_lo, exec_lo, s2
	s_cbranch_vccnz .LBB89_44
; %bb.1:
	s_clause 0x1
	s_load_b128 s[8:11], s[0:1], 0x10
	s_load_b128 s[16:19], s[0:1], 0x28
	s_ashr_i32 s2, s6, 31
	s_mul_hi_u32 s3, s6, s20
	s_mul_i32 s7, s2, s20
	s_mul_i32 s2, s6, s20
	s_add_i32 s3, s3, s7
	v_lshlrev_b32_e32 v1, 4, v0
	s_lshl_b64 s[2:3], s[2:3], 1
	s_mov_b32 s15, -1
	v_and_b32_e32 v15, 31, v0
	s_mov_b32 s27, s15
	s_waitcnt lgkmcnt(0)
	s_add_u32 s12, s10, s2
	s_addc_u32 s2, s11, s3
	s_add_i32 s3, s5, 1
	s_and_b32 s13, s2, 0xffff
	s_lshr_b32 s6, s3, 31
	s_mov_b32 s24, s16
	s_add_i32 s3, s3, s6
	s_and_b32 s25, s17, 0xffff
	s_lshl_b32 s3, s3, 1
	v_cmp_eq_u32_e64 s2, 31, v15
	s_and_b32 s14, s3, -4
	buffer_load_b128 v[9:12], v1, s[12:15], 0 offen glc slc
	s_mov_b32 s26, s14
	buffer_load_b128 v[1:4], v1, s[24:27], 0 offen
	s_waitcnt vmcnt(1)
	v_lshrrev_b32_e32 v5, 16, v9
	v_lshrrev_b32_e32 v13, 16, v10
	v_lshrrev_b32_e32 v16, 16, v11
	v_lshrrev_b32_e32 v17, 16, v12
	v_cvt_f32_f16_e32 v8, v10
	v_cvt_f32_f16_e32 v7, v5
	;; [unrolled: 1-line block ×4, first 2 shown]
	s_delay_alu instid0(VALU_DEP_3) | instskip(NEXT) | instid1(VALU_DEP_1)
	v_mul_f32_e32 v5, v7, v7
	v_fma_mix_f32 v5, v9, v9, v5 op_sel_hi:[1,1,0]
	v_cvt_f32_f16_e32 v9, v9
	s_delay_alu instid0(VALU_DEP_2) | instskip(NEXT) | instid1(VALU_DEP_1)
	v_fma_mix_f32 v5, v10, v10, v5 op_sel_hi:[1,1,0]
	v_fma_mix_f32 v5, v10, v10, v5 op_sel:[1,1,0] op_sel_hi:[1,1,0]
	v_cvt_f32_f16_e32 v10, v11
	s_delay_alu instid0(VALU_DEP_2) | instskip(NEXT) | instid1(VALU_DEP_1)
	v_fma_mix_f32 v5, v11, v11, v5 op_sel_hi:[1,1,0]
	v_fma_mix_f32 v5, v11, v11, v5 op_sel:[1,1,0] op_sel_hi:[1,1,0]
	;; [unrolled: 4-line block ×3, first 2 shown]
	v_cvt_f32_f16_e32 v12, v17
	s_delay_alu instid0(VALU_DEP_2) | instskip(NEXT) | instid1(VALU_DEP_1)
	v_mov_b32_dpp v6, v5 quad_perm:[1,0,3,2] row_mask:0xf bank_mask:0xf
	v_add_f32_e32 v5, v5, v6
	s_delay_alu instid0(VALU_DEP_1) | instskip(NEXT) | instid1(VALU_DEP_1)
	v_mov_b32_dpp v6, v5 quad_perm:[2,3,0,1] row_mask:0xf bank_mask:0xf
	v_add_f32_e32 v5, v5, v6
	s_delay_alu instid0(VALU_DEP_1) | instskip(NEXT) | instid1(VALU_DEP_1)
	v_mov_b32_dpp v6, v5 row_xmask:7 row_mask:0xf bank_mask:0xf
	v_add_f32_e32 v5, v5, v6
	s_delay_alu instid0(VALU_DEP_1)
	v_mov_b32_dpp v6, v5 row_xmask:15 row_mask:0xf bank_mask:0xf
	s_and_saveexec_b32 s3, s2
	s_cbranch_execz .LBB89_3
; %bb.2:
	s_delay_alu instid0(VALU_DEP_1) | instskip(SKIP_2) | instid1(VALU_DEP_2)
	v_add_f32_e32 v5, v5, v6
	s_mov_b32 s6, 0x76543210
	v_lshrrev_b32_e32 v6, 3, v0
	v_permlanex16_b32 v15, v5, s6, 0xfedcba98 op_sel:[1,1]
	s_delay_alu instid0(VALU_DEP_1)
	v_dual_add_f32 v5, v5, v15 :: v_dual_and_b32 v6, 0x7c, v6
	ds_store_b32 v6, v5 offset:8
.LBB89_3:
	s_or_b32 exec_lo, exec_lo, s3
	v_and_b32_e32 v5, 1, v0
	s_waitcnt vmcnt(0) lgkmcnt(0)
	s_barrier
	buffer_gl0_inv
	v_cvt_f32_i32_e32 v16, s5
	v_lshlrev_b32_e32 v6, 2, v5
	ds_load_b32 v5, v6 offset:8
	s_clause 0x1
	s_load_b64 s[6:7], s[0:1], 0x4c
	s_load_b32 s10, s[0:1], 0x54
	s_waitcnt lgkmcnt(0)
	s_cmp_lg_u32 s7, 0
	v_mov_b32_dpp v15, v5 quad_perm:[1,0,3,2] row_mask:0xf bank_mask:0xf
	s_delay_alu instid0(VALU_DEP_1) | instskip(NEXT) | instid1(VALU_DEP_1)
	v_add_f32_e32 v5, v5, v15
	v_div_scale_f32 v15, null, v16, v16, v5
	v_div_scale_f32 v19, vcc_lo, v5, v16, v5
	s_delay_alu instid0(VALU_DEP_2) | instskip(SKIP_2) | instid1(VALU_DEP_1)
	v_rcp_f32_e32 v17, v15
	s_waitcnt_depctr 0xfff
	v_fma_f32 v18, -v15, v17, 1.0
	v_fmac_f32_e32 v17, v18, v17
	s_delay_alu instid0(VALU_DEP_1) | instskip(NEXT) | instid1(VALU_DEP_1)
	v_mul_f32_e32 v18, v19, v17
	v_fma_f32 v20, -v15, v18, v19
	s_delay_alu instid0(VALU_DEP_1) | instskip(SKIP_2) | instid1(VALU_DEP_3)
	v_fmac_f32_e32 v18, v20, v17
	v_cvt_f32_f16_e32 v20, v4
	v_lshrrev_b32_e32 v4, 16, v4
	v_fma_f32 v15, -v15, v18, v19
	s_delay_alu instid0(VALU_DEP_2) | instskip(NEXT) | instid1(VALU_DEP_2)
	v_cvt_f32_f16_e32 v4, v4
	v_div_fmas_f32 v15, v15, v17, v18
	v_cvt_f32_f16_e32 v17, v2
	v_lshrrev_b32_e32 v2, 16, v2
	v_cvt_f32_f16_e32 v18, v3
	v_lshrrev_b32_e32 v3, 16, v3
	v_div_fixup_f32 v5, v15, v16, v5
	s_delay_alu instid0(VALU_DEP_4) | instskip(NEXT) | instid1(VALU_DEP_3)
	v_cvt_f32_f16_e32 v2, v2
	v_cvt_f32_f16_e32 v3, v3
	s_delay_alu instid0(VALU_DEP_3) | instskip(NEXT) | instid1(VALU_DEP_1)
	v_cvt_f64_f32_e32 v[15:16], v5
	v_add_f64 v[15:16], v[15:16], s[18:19]
	s_delay_alu instid0(VALU_DEP_1) | instskip(SKIP_2) | instid1(VALU_DEP_1)
	v_cvt_f32_f64_e32 v5, v[15:16]
	v_cvt_f32_f16_e32 v16, v1
	v_lshrrev_b32_e32 v1, 16, v1
	v_cvt_f32_f16_e32 v1, v1
	s_delay_alu instid0(VALU_DEP_4) | instskip(SKIP_1) | instid1(VALU_DEP_2)
	v_mul_f32_e32 v15, 0x4b800000, v5
	v_cmp_gt_f32_e32 vcc_lo, 0x800000, v5
	v_cndmask_b32_e32 v5, v5, v15, vcc_lo
	s_delay_alu instid0(VALU_DEP_1) | instskip(SKIP_2) | instid1(VALU_DEP_1)
	v_rsq_f32_e32 v15, v5
	s_waitcnt_depctr 0xfff
	v_mul_f32_e32 v19, 0x45800000, v15
	v_cndmask_b32_e32 v15, v15, v19, vcc_lo
	s_delay_alu instid0(VALU_DEP_1) | instskip(SKIP_1) | instid1(VALU_DEP_2)
	v_dual_mul_f32 v14, v15, v14 :: v_dual_lshlrev_b32 v5, 3, v0
	v_mul_f32_e32 v19, v15, v10
	v_mul_f32_e32 v10, v14, v2
	s_delay_alu instid0(VALU_DEP_1)
	v_and_b32_e32 v14, 0x7fffffff, v10
	v_mul_f32_e32 v8, v15, v8
	v_mul_f32_e32 v13, v15, v13
	;; [unrolled: 1-line block ×3, first 2 shown]
	v_dual_mov_b32 v21, 0x2edbe6ff :: v_dual_mul_f32 v22, v15, v11
	v_mul_f32_e32 v7, v15, v7
	v_mul_f32_e32 v15, v15, v12
	s_delay_alu instid0(VALU_DEP_4) | instskip(NEXT) | instid1(VALU_DEP_4)
	v_dual_mul_f32 v12, v9, v16 :: v_dual_mul_f32 v9, v8, v17
	v_dual_mul_f32 v8, v13, v3 :: v_dual_mul_f32 v3, v22, v20
	s_delay_alu instid0(VALU_DEP_2) | instskip(NEXT) | instid1(VALU_DEP_2)
	v_dual_mul_f32 v4, v15, v4 :: v_dual_and_b32 v13, 0x7fffffff, v9
	v_dual_mul_f32 v11, v7, v1 :: v_dual_and_b32 v16, 0x7fffffff, v8
	s_delay_alu instid0(VALU_DEP_4) | instskip(NEXT) | instid1(VALU_DEP_4)
	v_and_b32_e32 v1, 0x7fffffff, v12
	v_and_b32_e32 v17, 0x7fffffff, v3
	s_delay_alu instid0(VALU_DEP_3) | instskip(SKIP_3) | instid1(VALU_DEP_2)
	v_dual_mul_f32 v7, v19, v18 :: v_dual_and_b32 v2, 0x7fffffff, v11
	;;#ASMSTART
	v_max3_f32 v1, v21, v1, v2

	;;#ASMEND
	;;#ASMSTART
	v_max3_f32 v1, v1, v13, v14

	;;#ASMEND
	v_and_b32_e32 v18, 0x7fffffff, v4
	v_and_b32_e32 v15, 0x7fffffff, v7
	;;#ASMSTART
	v_max3_f32 v1, v1, v15, v16

	;;#ASMEND
	;;#ASMSTART
	v_max3_f32 v13, v1, v17, v18

	;;#ASMEND
	s_cbranch_scc0 .LBB89_10
; %bb.4:
	s_ashr_i32 s11, s7, 31
	s_delay_alu instid0(SALU_CYCLE_1) | instskip(NEXT) | instid1(SALU_CYCLE_1)
	s_lshr_b32 s3, s11, 29
	s_add_i32 s3, s7, s3
	s_delay_alu instid0(SALU_CYCLE_1) | instskip(NEXT) | instid1(SALU_CYCLE_1)
	s_ashr_i32 s3, s3, 3
	s_cmp_lt_i32 s3, 8
	s_cbranch_scc1 .LBB89_11
; %bb.5:
	s_cmp_lt_i32 s3, 16
	s_cbranch_scc1 .LBB89_12
; %bb.6:
	;; [unrolled: 3-line block ×3, first 2 shown]
	v_mov_b32_e32 v1, v13
	s_cmp_eq_u32 s3, 32
	s_cbranch_scc0 .LBB89_9
; %bb.8:
	s_delay_alu instid0(VALU_DEP_1) | instskip(SKIP_1) | instid1(VALU_DEP_1)
	v_mov_b32_dpp v1, v13 quad_perm:[1,0,3,2] row_mask:0xf bank_mask:0xf
	s_mov_b32 s12, 0x76543210
	v_cmp_gt_f32_e32 vcc_lo, v13, v1
	v_cndmask_b32_e32 v1, v1, v13, vcc_lo
	s_delay_alu instid0(VALU_DEP_1) | instskip(NEXT) | instid1(VALU_DEP_1)
	v_mov_b32_dpp v2, v1 quad_perm:[2,3,0,1] row_mask:0xf bank_mask:0xf
	v_cmp_gt_f32_e32 vcc_lo, v1, v2
	v_cndmask_b32_e32 v1, v2, v1, vcc_lo
	s_delay_alu instid0(VALU_DEP_1) | instskip(NEXT) | instid1(VALU_DEP_1)
	v_mov_b32_dpp v2, v1 row_xmask:7 row_mask:0xf bank_mask:0xf
	v_cmp_gt_f32_e32 vcc_lo, v1, v2
	v_cndmask_b32_e32 v1, v2, v1, vcc_lo
	s_delay_alu instid0(VALU_DEP_1) | instskip(NEXT) | instid1(VALU_DEP_1)
	v_mov_b32_dpp v2, v1 row_xmask:15 row_mask:0xf bank_mask:0xf
	v_cmp_gt_f32_e32 vcc_lo, v1, v2
	v_cndmask_b32_e32 v1, v2, v1, vcc_lo
	s_delay_alu instid0(VALU_DEP_1) | instskip(NEXT) | instid1(VALU_DEP_1)
	v_permlanex16_b32 v2, v1, s12, 0xfedcba98 op_sel:[1,1]
	v_cmp_gt_f32_e32 vcc_lo, v1, v2
	v_cndmask_b32_e32 v1, v2, v1, vcc_lo
.LBB89_9:
	s_mov_b32 s12, 0
	s_branch .LBB89_14
.LBB89_10:
	s_mov_b32 s3, 0
                                        ; implicit-def: $vgpr14
                                        ; implicit-def: $vgpr1_vgpr2
	s_and_b32 vcc_lo, exec_lo, s15
	s_cbranch_vccnz .LBB89_38
	s_branch .LBB89_41
.LBB89_11:
                                        ; implicit-def: $vgpr1
	s_branch .LBB89_21
.LBB89_12:
                                        ; implicit-def: $vgpr1
	s_branch .LBB89_18
.LBB89_13:
	s_mov_b32 s12, -1
                                        ; implicit-def: $vgpr1
.LBB89_14:
	s_delay_alu instid0(SALU_CYCLE_1)
	s_and_not1_b32 vcc_lo, exec_lo, s12
	s_cbranch_vccnz .LBB89_17
; %bb.15:
	v_mov_b32_e32 v1, v13
	s_cmp_eq_u32 s3, 16
	s_cbranch_scc0 .LBB89_17
; %bb.16:
	s_delay_alu instid0(VALU_DEP_1) | instskip(NEXT) | instid1(VALU_DEP_1)
	v_mov_b32_dpp v1, v13 quad_perm:[1,0,3,2] row_mask:0xf bank_mask:0xf
	v_cmp_gt_f32_e32 vcc_lo, v13, v1
	v_cndmask_b32_e32 v1, v1, v13, vcc_lo
	s_delay_alu instid0(VALU_DEP_1) | instskip(NEXT) | instid1(VALU_DEP_1)
	v_mov_b32_dpp v2, v1 quad_perm:[2,3,0,1] row_mask:0xf bank_mask:0xf
	v_cmp_gt_f32_e32 vcc_lo, v1, v2
	v_cndmask_b32_e32 v1, v2, v1, vcc_lo
	s_delay_alu instid0(VALU_DEP_1) | instskip(NEXT) | instid1(VALU_DEP_1)
	v_mov_b32_dpp v2, v1 row_half_mirror row_mask:0xf bank_mask:0xf
	v_cmp_gt_f32_e32 vcc_lo, v1, v2
	v_cndmask_b32_e32 v1, v2, v1, vcc_lo
	s_delay_alu instid0(VALU_DEP_1) | instskip(NEXT) | instid1(VALU_DEP_1)
	v_mov_b32_dpp v2, v1 row_mirror row_mask:0xf bank_mask:0xf
	v_cmp_gt_f32_e32 vcc_lo, v1, v2
	v_cndmask_b32_e32 v1, v2, v1, vcc_lo
.LBB89_17:
	s_cbranch_execnz .LBB89_20
.LBB89_18:
	v_mov_b32_e32 v1, v13
	s_cmp_eq_u32 s3, 8
	s_cbranch_scc0 .LBB89_20
; %bb.19:
	s_delay_alu instid0(VALU_DEP_1) | instskip(NEXT) | instid1(VALU_DEP_1)
	v_mov_b32_dpp v1, v13 quad_perm:[1,0,3,2] row_mask:0xf bank_mask:0xf
	v_cmp_gt_f32_e32 vcc_lo, v13, v1
	v_cndmask_b32_e32 v1, v1, v13, vcc_lo
	s_delay_alu instid0(VALU_DEP_1) | instskip(NEXT) | instid1(VALU_DEP_1)
	v_mov_b32_dpp v2, v1 quad_perm:[2,3,0,1] row_mask:0xf bank_mask:0xf
	v_cmp_gt_f32_e32 vcc_lo, v1, v2
	v_cndmask_b32_e32 v1, v2, v1, vcc_lo
	s_delay_alu instid0(VALU_DEP_1) | instskip(NEXT) | instid1(VALU_DEP_1)
	v_mov_b32_dpp v2, v1 row_half_mirror row_mask:0xf bank_mask:0xf
	v_cmp_gt_f32_e32 vcc_lo, v1, v2
	v_cndmask_b32_e32 v1, v2, v1, vcc_lo
.LBB89_20:
	s_cbranch_execnz .LBB89_28
.LBB89_21:
	s_cmp_lt_i32 s3, 4
	s_cbranch_scc1 .LBB89_24
; %bb.22:
	v_mov_b32_e32 v1, v13
	s_cmp_eq_u32 s3, 4
	s_cbranch_scc0 .LBB89_25
; %bb.23:
	s_delay_alu instid0(VALU_DEP_1) | instskip(NEXT) | instid1(VALU_DEP_1)
	v_mov_b32_dpp v1, v13 quad_perm:[1,0,3,2] row_mask:0xf bank_mask:0xf
	v_cmp_gt_f32_e32 vcc_lo, v13, v1
	v_cndmask_b32_e32 v1, v1, v13, vcc_lo
	s_delay_alu instid0(VALU_DEP_1) | instskip(NEXT) | instid1(VALU_DEP_1)
	v_mov_b32_dpp v2, v1 quad_perm:[2,3,0,1] row_mask:0xf bank_mask:0xf
	v_cmp_gt_f32_e32 vcc_lo, v1, v2
	v_cndmask_b32_e32 v1, v2, v1, vcc_lo
	s_cbranch_execz .LBB89_26
	s_branch .LBB89_28
.LBB89_24:
                                        ; implicit-def: $vgpr1
	s_branch .LBB89_26
.LBB89_25:
	s_cbranch_execnz .LBB89_28
.LBB89_26:
	v_mov_b32_e32 v1, v13
	s_cmp_lg_u32 s3, 2
	s_cbranch_scc1 .LBB89_28
; %bb.27:
	s_delay_alu instid0(VALU_DEP_1) | instskip(NEXT) | instid1(VALU_DEP_1)
	v_mov_b32_dpp v1, v13 quad_perm:[1,0,3,2] row_mask:0xf bank_mask:0xf
	v_cmp_gt_f32_e32 vcc_lo, v13, v1
	v_cndmask_b32_e32 v1, v1, v13, vcc_lo
.LBB89_28:
	v_cvt_f32_u32_e32 v2, s3
	s_sub_i32 s12, 0, s3
	s_mov_b32 s15, 0
	s_delay_alu instid0(VALU_DEP_1) | instskip(SKIP_2) | instid1(VALU_DEP_1)
	v_rcp_iflag_f32_e32 v2, v2
	s_waitcnt_depctr 0xfff
	v_mul_f32_e32 v2, 0x4f7ffffe, v2
	v_cvt_u32_f32_e32 v2, v2
	s_delay_alu instid0(VALU_DEP_1) | instskip(NEXT) | instid1(VALU_DEP_1)
	v_mul_lo_u32 v14, s12, v2
	v_mul_hi_u32 v14, v2, v14
	s_delay_alu instid0(VALU_DEP_1) | instskip(NEXT) | instid1(VALU_DEP_1)
	v_add_nc_u32_e32 v2, v2, v14
	v_mul_hi_u32 v2, v0, v2
	s_delay_alu instid0(VALU_DEP_1) | instskip(NEXT) | instid1(VALU_DEP_1)
	v_mul_lo_u32 v14, v2, s3
	v_sub_nc_u32_e32 v14, v0, v14
	s_delay_alu instid0(VALU_DEP_1) | instskip(SKIP_1) | instid1(VALU_DEP_2)
	v_subrev_nc_u32_e32 v16, s3, v14
	v_cmp_le_u32_e32 vcc_lo, s3, v14
	v_dual_cndmask_b32 v14, v14, v16 :: v_dual_add_nc_u32 v15, 1, v2
	s_delay_alu instid0(VALU_DEP_1) | instskip(NEXT) | instid1(VALU_DEP_2)
	v_cndmask_b32_e32 v2, v2, v15, vcc_lo
	v_cmp_le_u32_e32 vcc_lo, s3, v14
	s_delay_alu instid0(VALU_DEP_2) | instskip(NEXT) | instid1(VALU_DEP_1)
	v_dual_mul_f32 v14, 0x3c010204, v1 :: v_dual_add_nc_u32 v15, 1, v2
	v_cndmask_b32_e32 v15, v2, v15, vcc_lo
	v_cmp_gt_u32_e32 vcc_lo, s5, v5
	s_delay_alu instid0(VALU_DEP_2) | instskip(NEXT) | instid1(VALU_DEP_1)
	v_mul_lo_u32 v2, v15, s3
	v_sub_nc_u32_e32 v2, v0, v2
	s_delay_alu instid0(VALU_DEP_1) | instskip(NEXT) | instid1(VALU_DEP_1)
	v_cmp_eq_u32_e64 s3, 0, v2
                                        ; implicit-def: $vgpr1_vgpr2
	s_and_b32 s12, s3, vcc_lo
	s_mov_b32 s3, 0
	s_and_saveexec_b32 s13, s12
	s_delay_alu instid0(SALU_CYCLE_1)
	s_xor_b32 s14, exec_lo, s13
	s_cbranch_execz .LBB89_37
; %bb.29:
	s_bitcmp0_b32 s10, 0
	s_mov_b32 s16, 0
	s_cbranch_scc0 .LBB89_34
; %bb.30:
	s_ashr_i32 s3, s5, 31
	s_mul_hi_u32 s10, s5, s20
	s_mul_i32 s3, s3, s20
	s_mul_i32 s12, s5, s20
	s_add_i32 s13, s10, s3
	s_mov_b32 s10, s7
	s_delay_alu instid0(SALU_CYCLE_1) | instskip(NEXT) | instid1(SALU_CYCLE_1)
	s_or_b64 s[18:19], s[12:13], s[10:11]
	s_mov_b32 s17, s19
	s_delay_alu instid0(SALU_CYCLE_1)
	s_cmp_lg_u64 s[16:17], 0
	s_cbranch_scc0 .LBB89_45
; %bb.31:
	s_add_u32 s18, s10, s11
	s_mov_b32 s16, s11
	s_mov_b32 s17, s11
	s_addc_u32 s19, s11, s11
	s_delay_alu instid0(SALU_CYCLE_1) | instskip(NEXT) | instid1(SALU_CYCLE_1)
	s_xor_b64 s[18:19], s[18:19], s[16:17]
	v_cvt_f32_u32_e32 v1, s18
	v_cvt_f32_u32_e32 v2, s19
	s_sub_u32 s11, 0, s18
	s_subb_u32 s22, 0, s19
	s_delay_alu instid0(VALU_DEP_1) | instskip(NEXT) | instid1(VALU_DEP_1)
	v_fmamk_f32 v1, v2, 0x4f800000, v1
	v_rcp_f32_e32 v1, v1
	s_waitcnt_depctr 0xfff
	v_mul_f32_e32 v1, 0x5f7ffffc, v1
	s_delay_alu instid0(VALU_DEP_1) | instskip(NEXT) | instid1(VALU_DEP_1)
	v_mul_f32_e32 v2, 0x2f800000, v1
	v_trunc_f32_e32 v2, v2
	s_delay_alu instid0(VALU_DEP_1) | instskip(SKIP_1) | instid1(VALU_DEP_2)
	v_fmamk_f32 v1, v2, 0xcf800000, v1
	v_cvt_u32_f32_e32 v2, v2
	v_cvt_u32_f32_e32 v1, v1
	s_delay_alu instid0(VALU_DEP_2) | instskip(NEXT) | instid1(VALU_DEP_2)
	v_readfirstlane_b32 s3, v2
	v_readfirstlane_b32 s7, v1
	s_delay_alu instid0(VALU_DEP_2) | instskip(NEXT) | instid1(VALU_DEP_1)
	s_mul_i32 s23, s11, s3
	s_mul_hi_u32 s25, s11, s7
	s_mul_i32 s24, s22, s7
	s_add_i32 s23, s25, s23
	s_mul_i32 s26, s11, s7
	s_add_i32 s23, s23, s24
	s_mul_hi_u32 s25, s7, s26
	s_mul_hi_u32 s27, s3, s26
	s_mul_i32 s24, s3, s26
	s_mul_hi_u32 s26, s7, s23
	s_mul_i32 s7, s7, s23
	s_mul_hi_u32 s28, s3, s23
	s_add_u32 s7, s25, s7
	s_addc_u32 s25, 0, s26
	s_add_u32 s7, s7, s24
	s_mul_i32 s23, s3, s23
	s_addc_u32 s7, s25, s27
	s_addc_u32 s24, s28, 0
	s_add_u32 s7, s7, s23
	s_addc_u32 s23, 0, s24
	v_add_co_u32 v1, s7, v1, s7
	s_delay_alu instid0(VALU_DEP_1) | instskip(SKIP_1) | instid1(VALU_DEP_1)
	s_cmp_lg_u32 s7, 0
	s_addc_u32 s3, s3, s23
	v_readfirstlane_b32 s7, v1
	s_mul_i32 s23, s11, s3
	s_delay_alu instid0(VALU_DEP_1)
	s_mul_hi_u32 s24, s11, s7
	s_mul_i32 s22, s22, s7
	s_add_i32 s23, s24, s23
	s_mul_i32 s11, s11, s7
	s_add_i32 s23, s23, s22
	s_mul_hi_u32 s24, s3, s11
	s_mul_i32 s25, s3, s11
	s_mul_hi_u32 s11, s7, s11
	s_mul_hi_u32 s26, s7, s23
	s_mul_i32 s7, s7, s23
	s_mul_hi_u32 s22, s3, s23
	s_add_u32 s7, s11, s7
	s_addc_u32 s11, 0, s26
	s_add_u32 s7, s7, s25
	s_mul_i32 s23, s3, s23
	s_addc_u32 s7, s11, s24
	s_addc_u32 s11, s22, 0
	s_add_u32 s7, s7, s23
	s_addc_u32 s11, 0, s11
	v_add_co_u32 v1, s7, v1, s7
	s_delay_alu instid0(VALU_DEP_1) | instskip(SKIP_2) | instid1(VALU_DEP_1)
	s_cmp_lg_u32 s7, 0
	s_addc_u32 s3, s3, s11
	s_ashr_i32 s22, s13, 31
	v_readfirstlane_b32 s7, v1
	s_add_u32 s24, s12, s22
	s_mov_b32 s23, s22
	s_addc_u32 s25, s13, s22
	s_delay_alu instid0(SALU_CYCLE_1) | instskip(NEXT) | instid1(SALU_CYCLE_1)
	s_xor_b64 s[24:25], s[24:25], s[22:23]
	s_mul_i32 s13, s24, s3
	s_mul_hi_u32 s26, s24, s7
	s_mul_hi_u32 s11, s24, s3
	;; [unrolled: 1-line block ×3, first 2 shown]
	s_mul_i32 s7, s25, s7
	s_add_u32 s13, s26, s13
	s_addc_u32 s11, 0, s11
	s_mul_hi_u32 s27, s25, s3
	s_add_u32 s7, s13, s7
	s_mul_i32 s3, s25, s3
	s_addc_u32 s7, s11, s28
	s_addc_u32 s11, s27, 0
	s_add_u32 s7, s7, s3
	s_addc_u32 s11, 0, s11
	s_mul_i32 s27, s18, s7
	s_mul_hi_u32 s3, s18, s7
	s_mul_i32 s26, s18, s11
	v_sub_co_u32 v1, s24, s24, s27
	s_mul_i32 s13, s19, s7
	s_add_i32 s3, s3, s26
	s_delay_alu instid0(SALU_CYCLE_1) | instskip(NEXT) | instid1(VALU_DEP_1)
	s_add_i32 s3, s3, s13
	v_sub_co_u32 v2, s26, v1, s18
	s_sub_i32 s13, s25, s3
	s_cmp_lg_u32 s24, 0
	s_subb_u32 s13, s13, s19
	s_cmp_lg_u32 s26, 0
	v_cmp_le_u32_e32 vcc_lo, s18, v2
	s_subb_u32 s13, s13, 0
	s_delay_alu instid0(SALU_CYCLE_1)
	s_cmp_ge_u32 s13, s19
	v_cndmask_b32_e64 v2, 0, -1, vcc_lo
	s_cselect_b32 s26, -1, 0
	s_cmp_eq_u32 s13, s19
	s_cselect_b32 vcc_lo, -1, 0
	s_add_u32 s13, s7, 1
	v_cndmask_b32_e32 v2, s26, v2, vcc_lo
	s_addc_u32 s26, s11, 0
	s_add_u32 s27, s7, 2
	s_addc_u32 s28, s11, 0
	s_cmp_lg_u32 s24, 0
	v_cmp_le_u32_e32 vcc_lo, s18, v1
	s_subb_u32 s3, s25, s3
	v_mov_b32_e32 v16, s27
	s_cmp_ge_u32 s3, s19
	v_cndmask_b32_e64 v1, 0, -1, vcc_lo
	s_cselect_b32 s18, -1, 0
	s_cmp_eq_u32 s3, s19
	v_cmp_ne_u32_e32 vcc_lo, 0, v2
	v_mov_b32_e32 v2, s28
	s_cselect_b32 s3, -1, 0
	s_xor_b64 s[16:17], s[22:23], s[16:17]
	v_cndmask_b32_e64 v1, s18, v1, s3
	v_cndmask_b32_e32 v16, s13, v16, vcc_lo
	v_cndmask_b32_e32 v2, s26, v2, vcc_lo
	s_delay_alu instid0(VALU_DEP_3) | instskip(NEXT) | instid1(VALU_DEP_2)
	v_cmp_ne_u32_e32 vcc_lo, 0, v1
	v_cndmask_b32_e32 v1, s11, v2, vcc_lo
	s_delay_alu instid0(VALU_DEP_4) | instskip(NEXT) | instid1(VALU_DEP_2)
	v_cndmask_b32_e32 v2, s7, v16, vcc_lo
	v_xor_b32_e32 v16, s17, v1
	s_delay_alu instid0(VALU_DEP_2) | instskip(NEXT) | instid1(VALU_DEP_1)
	v_xor_b32_e32 v2, s16, v2
	v_sub_co_u32 v1, vcc_lo, v2, s16
	s_delay_alu instid0(VALU_DEP_3)
	v_subrev_co_ci_u32_e32 v2, vcc_lo, s17, v16, vcc_lo
	s_cbranch_execnz .LBB89_33
.LBB89_32:
	v_cvt_f32_u32_e32 v1, s10
	s_sub_i32 s7, 0, s10
	s_delay_alu instid0(VALU_DEP_1) | instskip(SKIP_2) | instid1(VALU_DEP_1)
	v_rcp_iflag_f32_e32 v1, v1
	s_waitcnt_depctr 0xfff
	v_mul_f32_e32 v1, 0x4f7ffffe, v1
	v_cvt_u32_f32_e32 v1, v1
	s_delay_alu instid0(VALU_DEP_1) | instskip(NEXT) | instid1(VALU_DEP_1)
	v_readfirstlane_b32 s3, v1
	s_mul_i32 s7, s7, s3
	s_delay_alu instid0(SALU_CYCLE_1) | instskip(NEXT) | instid1(SALU_CYCLE_1)
	s_mul_hi_u32 s7, s3, s7
	s_add_i32 s3, s3, s7
	s_delay_alu instid0(SALU_CYCLE_1) | instskip(NEXT) | instid1(SALU_CYCLE_1)
	s_mul_hi_u32 s3, s12, s3
	s_mul_i32 s7, s3, s10
	s_add_i32 s11, s3, 1
	s_sub_i32 s7, s12, s7
	s_delay_alu instid0(SALU_CYCLE_1)
	s_sub_i32 s12, s7, s10
	s_cmp_ge_u32 s7, s10
	s_cselect_b32 s3, s11, s3
	s_cselect_b32 s7, s12, s7
	s_add_i32 s12, s3, 1
	s_cmp_ge_u32 s7, s10
	s_mov_b32 s11, 0
	s_cselect_b32 s10, s12, s3
	s_delay_alu instid0(SALU_CYCLE_1)
	v_dual_mov_b32 v1, s10 :: v_dual_mov_b32 v2, s11
.LBB89_33:
	s_delay_alu instid0(VALU_DEP_1) | instskip(NEXT) | instid1(VALU_DEP_2)
	v_add_co_u32 v1, vcc_lo, v1, v15
	v_add_co_ci_u32_e32 v2, vcc_lo, 0, v2, vcc_lo
	s_branch .LBB89_36
.LBB89_34:
                                        ; implicit-def: $vgpr1_vgpr2
	s_cbranch_execz .LBB89_36
; %bb.35:
	v_mul_lo_u32 v1, v15, s4
	s_delay_alu instid0(VALU_DEP_1) | instskip(SKIP_1) | instid1(VALU_DEP_2)
	v_ashrrev_i32_e32 v2, 31, v1
	v_add_co_u32 v1, vcc_lo, v1, s20
	v_add_co_ci_u32_e32 v2, vcc_lo, 0, v2, vcc_lo
.LBB89_36:
	s_mov_b32 s3, exec_lo
.LBB89_37:
	s_or_b32 exec_lo, exec_lo, s14
	s_delay_alu instid0(SALU_CYCLE_1)
	s_and_b32 vcc_lo, exec_lo, s15
	s_cbranch_vccz .LBB89_41
.LBB89_38:
	v_mov_b32_dpp v1, v13 quad_perm:[1,0,3,2] row_mask:0xf bank_mask:0xf
	s_delay_alu instid0(VALU_DEP_1) | instskip(SKIP_1) | instid1(VALU_DEP_1)
	v_cmp_gt_f32_e32 vcc_lo, v13, v1
	v_cndmask_b32_e32 v1, v1, v13, vcc_lo
	v_mov_b32_dpp v2, v1 quad_perm:[2,3,0,1] row_mask:0xf bank_mask:0xf
	s_delay_alu instid0(VALU_DEP_1) | instskip(SKIP_1) | instid1(VALU_DEP_1)
	v_cmp_gt_f32_e32 vcc_lo, v1, v2
	v_cndmask_b32_e32 v1, v2, v1, vcc_lo
	v_mov_b32_dpp v2, v1 row_xmask:7 row_mask:0xf bank_mask:0xf
	s_delay_alu instid0(VALU_DEP_1) | instskip(SKIP_1) | instid1(VALU_DEP_1)
	v_cmp_gt_f32_e32 vcc_lo, v1, v2
	v_cndmask_b32_e32 v1, v2, v1, vcc_lo
	v_mov_b32_dpp v2, v1 row_xmask:15 row_mask:0xf bank_mask:0xf
	s_delay_alu instid0(VALU_DEP_1)
	v_cmp_gt_f32_e32 vcc_lo, v1, v2
	s_and_saveexec_b32 s3, s2
	s_cbranch_execz .LBB89_40
; %bb.39:
	v_cndmask_b32_e32 v1, v2, v1, vcc_lo
	v_lshrrev_b32_e32 v2, 3, v0
	s_mov_b32 s2, 0x76543210
	s_delay_alu instid0(VALU_DEP_1) | instskip(NEXT) | instid1(VALU_DEP_3)
	v_and_b32_e32 v2, 0x7c, v2
	v_permlanex16_b32 v13, v1, s2, 0xfedcba98 op_sel:[1,1]
	s_delay_alu instid0(VALU_DEP_1)
	v_cmp_gt_f32_e32 vcc_lo, v1, v13
	v_cndmask_b32_e32 v1, v13, v1, vcc_lo
	ds_store_b32 v2, v1
.LBB89_40:
	s_or_b32 exec_lo, exec_lo, s3
	s_waitcnt lgkmcnt(0)
	s_barrier
	buffer_gl0_inv
	ds_load_b32 v1, v6
	v_cmp_eq_u32_e64 s3, 0, v0
	s_waitcnt lgkmcnt(0)
	v_mov_b32_dpp v2, v1 quad_perm:[1,0,3,2] row_mask:0xf bank_mask:0xf
	s_delay_alu instid0(VALU_DEP_1) | instskip(SKIP_1) | instid1(VALU_DEP_1)
	v_cmp_gt_f32_e32 vcc_lo, v1, v2
	v_cndmask_b32_e32 v1, v2, v1, vcc_lo
	v_dual_mul_f32 v14, 0x3c010204, v1 :: v_dual_mov_b32 v1, s20
	v_mov_b32_e32 v2, s21
.LBB89_41:
	s_and_saveexec_b32 s2, s3
	s_cbranch_execz .LBB89_43
; %bb.42:
	s_delay_alu instid0(VALU_DEP_1) | instskip(NEXT) | instid1(VALU_DEP_1)
	v_lshlrev_b64 v[0:1], 2, v[1:2]
	v_add_co_u32 v0, vcc_lo, s8, v0
	s_delay_alu instid0(VALU_DEP_2)
	v_add_co_ci_u32_e32 v1, vcc_lo, s9, v1, vcc_lo
	global_store_b32 v[0:1], v14, off
.LBB89_43:
	s_or_b32 exec_lo, exec_lo, s2
	;;#ASMSTART
	v_rcp_f32 v0, v14
	;;#ASMEND
	v_mul_f32_e32 v7, v7, v0
	v_mul_f32_e32 v1, v12, v0
	;; [unrolled: 1-line block ×4, first 2 shown]
	s_load_b64 s[0:1], s[0:1], 0x0
	v_cvt_i32_f32_e32 v7, v7
	v_mul_f32_e32 v2, v11, v0
	v_cvt_i32_f32_e32 v1, v1
	v_mul_f32_e32 v6, v9, v0
	v_cvt_i32_f32_e32 v4, v4
	v_and_b32_e32 v7, 0xff, v7
	v_cvt_i32_f32_e32 v2, v2
	v_and_b32_e32 v1, 0xff, v1
	s_add_i32 s2, s5, 3
	v_lshlrev_b16 v4, 8, v4
	s_ashr_i32 s3, s2, 31
	v_lshlrev_b16 v2, 8, v2
	s_lshr_b32 s3, s3, 30
	s_mul_hi_u32 s4, s6, s20
	s_add_i32 s2, s2, s3
	s_ashr_i32 s3, s6, 31
	v_or_b32_e32 v1, v1, v2
	v_mul_f32_e32 v9, v10, v0
	v_mul_f32_e32 v0, v3, v0
	v_cvt_i32_f32_e32 v3, v6
	s_mul_i32 s3, s3, s20
	s_mul_i32 s5, s6, s20
	s_and_b32 s2, s2, -4
	v_cvt_i32_f32_e32 v0, v0
	v_and_b32_e32 v3, 0xff, v3
	v_cvt_i32_f32_e32 v6, v8
	s_add_i32 s4, s4, s3
	s_waitcnt lgkmcnt(0)
	s_add_u32 s0, s0, s5
	v_and_b32_e32 v0, 0xff, v0
	s_addc_u32 s1, s1, s4
	v_lshlrev_b16 v6, 8, v6
	s_and_b32 s1, s1, 0xffff
	s_mov_b32 s3, -1
	v_or_b32_e32 v0, v0, v4
	v_and_b32_e32 v4, 0xffff, v1
	v_cvt_i32_f32_e32 v8, v9
	v_or_b32_e32 v6, v7, v6
	s_delay_alu instid0(VALU_DEP_4) | instskip(NEXT) | instid1(VALU_DEP_3)
	v_lshlrev_b32_e32 v0, 16, v0
	v_lshlrev_b16 v8, 8, v8
	s_delay_alu instid0(VALU_DEP_1) | instskip(NEXT) | instid1(VALU_DEP_4)
	v_or_b32_e32 v2, v3, v8
	v_and_b32_e32 v3, 0xffff, v6
	s_delay_alu instid0(VALU_DEP_2) | instskip(NEXT) | instid1(VALU_DEP_2)
	v_lshlrev_b32_e32 v2, 16, v2
	v_or_b32_e32 v1, v3, v0
	s_delay_alu instid0(VALU_DEP_2)
	v_or_b32_e32 v0, v4, v2
	buffer_store_b64 v[0:1], v5, s[0:3], 0 offen
	;;#ASMSTART
	s_nop 0
	;;#ASMEND
.LBB89_44:
	s_nop 0
	s_sendmsg sendmsg(MSG_DEALLOC_VGPRS)
	s_endpgm
.LBB89_45:
                                        ; implicit-def: $vgpr1_vgpr2
	s_branch .LBB89_32
	.section	.rodata,"a",@progbits
	.p2align	6, 0x0
	.amdhsa_kernel _ZN5aiter24add_rmsnorm_quant_kernelIDF16_aLi64ELi8ELb0ELb1ELb1ELi1EEEvPT0_PT_PfS4_S4_S4_diiiiiiib
		.amdhsa_group_segment_fixed_size 16
		.amdhsa_private_segment_fixed_size 0
		.amdhsa_kernarg_size 88
		.amdhsa_user_sgpr_count 15
		.amdhsa_user_sgpr_dispatch_ptr 0
		.amdhsa_user_sgpr_queue_ptr 0
		.amdhsa_user_sgpr_kernarg_segment_ptr 1
		.amdhsa_user_sgpr_dispatch_id 0
		.amdhsa_user_sgpr_private_segment_size 0
		.amdhsa_wavefront_size32 1
		.amdhsa_uses_dynamic_stack 0
		.amdhsa_enable_private_segment 0
		.amdhsa_system_sgpr_workgroup_id_x 1
		.amdhsa_system_sgpr_workgroup_id_y 0
		.amdhsa_system_sgpr_workgroup_id_z 0
		.amdhsa_system_sgpr_workgroup_info 0
		.amdhsa_system_vgpr_workitem_id 0
		.amdhsa_next_free_vgpr 23
		.amdhsa_next_free_sgpr 29
		.amdhsa_reserve_vcc 1
		.amdhsa_float_round_mode_32 0
		.amdhsa_float_round_mode_16_64 0
		.amdhsa_float_denorm_mode_32 3
		.amdhsa_float_denorm_mode_16_64 3
		.amdhsa_dx10_clamp 1
		.amdhsa_ieee_mode 1
		.amdhsa_fp16_overflow 0
		.amdhsa_workgroup_processor_mode 1
		.amdhsa_memory_ordered 1
		.amdhsa_forward_progress 0
		.amdhsa_shared_vgpr_count 0
		.amdhsa_exception_fp_ieee_invalid_op 0
		.amdhsa_exception_fp_denorm_src 0
		.amdhsa_exception_fp_ieee_div_zero 0
		.amdhsa_exception_fp_ieee_overflow 0
		.amdhsa_exception_fp_ieee_underflow 0
		.amdhsa_exception_fp_ieee_inexact 0
		.amdhsa_exception_int_div_zero 0
	.end_amdhsa_kernel
	.section	.text._ZN5aiter24add_rmsnorm_quant_kernelIDF16_aLi64ELi8ELb0ELb1ELb1ELi1EEEvPT0_PT_PfS4_S4_S4_diiiiiiib,"axG",@progbits,_ZN5aiter24add_rmsnorm_quant_kernelIDF16_aLi64ELi8ELb0ELb1ELb1ELi1EEEvPT0_PT_PfS4_S4_S4_diiiiiiib,comdat
.Lfunc_end89:
	.size	_ZN5aiter24add_rmsnorm_quant_kernelIDF16_aLi64ELi8ELb0ELb1ELb1ELi1EEEvPT0_PT_PfS4_S4_S4_diiiiiiib, .Lfunc_end89-_ZN5aiter24add_rmsnorm_quant_kernelIDF16_aLi64ELi8ELb0ELb1ELb1ELi1EEEvPT0_PT_PfS4_S4_S4_diiiiiiib
                                        ; -- End function
	.section	.AMDGPU.csdata,"",@progbits
; Kernel info:
; codeLenInByte = 3184
; NumSgprs: 31
; NumVgprs: 23
; ScratchSize: 0
; MemoryBound: 0
; FloatMode: 240
; IeeeMode: 1
; LDSByteSize: 16 bytes/workgroup (compile time only)
; SGPRBlocks: 3
; VGPRBlocks: 2
; NumSGPRsForWavesPerEU: 31
; NumVGPRsForWavesPerEU: 23
; Occupancy: 16
; WaveLimiterHint : 0
; COMPUTE_PGM_RSRC2:SCRATCH_EN: 0
; COMPUTE_PGM_RSRC2:USER_SGPR: 15
; COMPUTE_PGM_RSRC2:TRAP_HANDLER: 0
; COMPUTE_PGM_RSRC2:TGID_X_EN: 1
; COMPUTE_PGM_RSRC2:TGID_Y_EN: 0
; COMPUTE_PGM_RSRC2:TGID_Z_EN: 0
; COMPUTE_PGM_RSRC2:TIDIG_COMP_CNT: 0
	.section	.text._ZN5aiter24add_rmsnorm_quant_kernelItaLi64ELi8ELb0ELb1ELb1ELi1EEEvPT0_PT_PfS4_S4_S4_diiiiiiib,"axG",@progbits,_ZN5aiter24add_rmsnorm_quant_kernelItaLi64ELi8ELb0ELb1ELb1ELi1EEEvPT0_PT_PfS4_S4_S4_diiiiiiib,comdat
	.protected	_ZN5aiter24add_rmsnorm_quant_kernelItaLi64ELi8ELb0ELb1ELb1ELi1EEEvPT0_PT_PfS4_S4_S4_diiiiiiib ; -- Begin function _ZN5aiter24add_rmsnorm_quant_kernelItaLi64ELi8ELb0ELb1ELb1ELi1EEEvPT0_PT_PfS4_S4_S4_diiiiiiib
	.globl	_ZN5aiter24add_rmsnorm_quant_kernelItaLi64ELi8ELb0ELb1ELb1ELi1EEEvPT0_PT_PfS4_S4_S4_diiiiiiib
	.p2align	8
	.type	_ZN5aiter24add_rmsnorm_quant_kernelItaLi64ELi8ELb0ELb1ELb1ELi1EEEvPT0_PT_PfS4_S4_S4_diiiiiiib,@function
_ZN5aiter24add_rmsnorm_quant_kernelItaLi64ELi8ELb0ELb1ELb1ELi1EEEvPT0_PT_PfS4_S4_S4_diiiiiiib: ; @_ZN5aiter24add_rmsnorm_quant_kernelItaLi64ELi8ELb0ELb1ELb1ELi1EEEvPT0_PT_PfS4_S4_S4_diiiiiiib
; %bb.0:
	s_load_b128 s[4:7], s[0:1], 0x38
	s_mov_b32 s20, s15
	s_mov_b32 s21, 0
	s_waitcnt lgkmcnt(0)
	s_ashr_i32 s3, s4, 31
	s_mov_b32 s2, s4
	s_delay_alu instid0(SALU_CYCLE_1) | instskip(NEXT) | instid1(VALU_DEP_1)
	v_cmp_ge_i64_e64 s2, s[20:21], s[2:3]
	s_and_b32 vcc_lo, exec_lo, s2
	s_cbranch_vccnz .LBB90_44
; %bb.1:
	s_clause 0x1
	s_load_b128 s[8:11], s[0:1], 0x10
	s_load_b128 s[16:19], s[0:1], 0x28
	s_ashr_i32 s2, s6, 31
	s_mul_hi_u32 s3, s6, s20
	s_mul_i32 s7, s2, s20
	s_mul_i32 s2, s6, s20
	s_add_i32 s3, s3, s7
	v_lshlrev_b32_e32 v1, 4, v0
	s_lshl_b64 s[2:3], s[2:3], 1
	s_mov_b32 s15, -1
	v_and_b32_e32 v15, 31, v0
	s_mov_b32 s27, s15
	s_waitcnt lgkmcnt(0)
	s_add_u32 s12, s10, s2
	s_addc_u32 s2, s11, s3
	s_add_i32 s3, s5, 1
	s_and_b32 s13, s2, 0xffff
	s_lshr_b32 s6, s3, 31
	s_mov_b32 s24, s16
	s_add_i32 s3, s3, s6
	s_and_b32 s25, s17, 0xffff
	s_lshl_b32 s3, s3, 1
	v_cmp_eq_u32_e64 s2, 31, v15
	s_and_b32 s14, s3, -4
	buffer_load_b128 v[10:13], v1, s[12:15], 0 offen glc slc
	s_mov_b32 s26, s14
	s_waitcnt vmcnt(0)
	v_lshrrev_b32_e32 v5, 16, v10
	v_and_b32_e32 v6, 0xffff, v10
	v_lshrrev_b32_e32 v10, 16, v11
	v_lshrrev_b32_e32 v14, 16, v13
	s_delay_alu instid0(VALU_DEP_4) | instskip(NEXT) | instid1(VALU_DEP_4)
	v_cvt_f32_u32_e32 v7, v5
	v_cvt_f32_u32_e32 v8, v6
	s_delay_alu instid0(VALU_DEP_4) | instskip(NEXT) | instid1(VALU_DEP_4)
	v_cvt_f32_u32_e32 v10, v10
	v_cvt_f32_u32_e32 v14, v14
	s_delay_alu instid0(VALU_DEP_4) | instskip(SKIP_2) | instid1(VALU_DEP_1)
	v_mul_f32_e32 v6, v7, v7
	buffer_load_b128 v[1:4], v1, s[24:27], 0 offen
	v_dual_fmac_f32 v6, v8, v8 :: v_dual_and_b32 v5, 0xffff, v11
	v_cvt_f32_u32_e32 v9, v5
	v_and_b32_e32 v5, 0xffff, v12
	v_lshrrev_b32_e32 v12, 16, v12
	s_delay_alu instid0(VALU_DEP_3) | instskip(NEXT) | instid1(VALU_DEP_3)
	v_fmac_f32_e32 v6, v9, v9
	v_cvt_f32_u32_e32 v11, v5
	v_and_b32_e32 v5, 0xffff, v13
	s_delay_alu instid0(VALU_DEP_4) | instskip(NEXT) | instid1(VALU_DEP_4)
	v_cvt_f32_u32_e32 v12, v12
	v_fmac_f32_e32 v6, v10, v10
	s_delay_alu instid0(VALU_DEP_3) | instskip(NEXT) | instid1(VALU_DEP_2)
	v_cvt_f32_u32_e32 v13, v5
	v_fmac_f32_e32 v6, v11, v11
	s_delay_alu instid0(VALU_DEP_1) | instskip(NEXT) | instid1(VALU_DEP_1)
	v_fmac_f32_e32 v6, v12, v12
	v_fmac_f32_e32 v6, v13, v13
	s_delay_alu instid0(VALU_DEP_1) | instskip(NEXT) | instid1(VALU_DEP_1)
	v_fmac_f32_e32 v6, v14, v14
	v_mov_b32_dpp v5, v6 quad_perm:[1,0,3,2] row_mask:0xf bank_mask:0xf
	s_delay_alu instid0(VALU_DEP_1) | instskip(NEXT) | instid1(VALU_DEP_1)
	v_add_f32_e32 v5, v6, v5
	v_mov_b32_dpp v6, v5 quad_perm:[2,3,0,1] row_mask:0xf bank_mask:0xf
	s_delay_alu instid0(VALU_DEP_1) | instskip(NEXT) | instid1(VALU_DEP_1)
	v_add_f32_e32 v5, v5, v6
	v_mov_b32_dpp v6, v5 row_xmask:7 row_mask:0xf bank_mask:0xf
	s_delay_alu instid0(VALU_DEP_1) | instskip(NEXT) | instid1(VALU_DEP_1)
	v_add_f32_e32 v5, v5, v6
	v_mov_b32_dpp v6, v5 row_xmask:15 row_mask:0xf bank_mask:0xf
	s_and_saveexec_b32 s3, s2
	s_cbranch_execz .LBB90_3
; %bb.2:
	s_delay_alu instid0(VALU_DEP_1) | instskip(SKIP_2) | instid1(VALU_DEP_2)
	v_add_f32_e32 v5, v5, v6
	s_mov_b32 s6, 0x76543210
	v_lshrrev_b32_e32 v6, 3, v0
	v_permlanex16_b32 v15, v5, s6, 0xfedcba98 op_sel:[1,1]
	s_delay_alu instid0(VALU_DEP_1)
	v_dual_add_f32 v5, v5, v15 :: v_dual_and_b32 v6, 0x7c, v6
	ds_store_b32 v6, v5 offset:8
.LBB90_3:
	s_or_b32 exec_lo, exec_lo, s3
	v_and_b32_e32 v5, 1, v0
	s_waitcnt vmcnt(0) lgkmcnt(0)
	s_barrier
	buffer_gl0_inv
	v_cvt_f32_i32_e32 v16, s5
	v_lshlrev_b32_e32 v6, 2, v5
	ds_load_b32 v5, v6 offset:8
	s_clause 0x1
	s_load_b64 s[6:7], s[0:1], 0x4c
	s_load_b32 s10, s[0:1], 0x54
	s_waitcnt lgkmcnt(0)
	s_cmp_lg_u32 s7, 0
	v_mov_b32_dpp v15, v5 quad_perm:[1,0,3,2] row_mask:0xf bank_mask:0xf
	s_delay_alu instid0(VALU_DEP_1) | instskip(NEXT) | instid1(VALU_DEP_1)
	v_add_f32_e32 v5, v5, v15
	v_div_scale_f32 v15, null, v16, v16, v5
	v_div_scale_f32 v19, vcc_lo, v5, v16, v5
	s_delay_alu instid0(VALU_DEP_2) | instskip(SKIP_2) | instid1(VALU_DEP_1)
	v_rcp_f32_e32 v17, v15
	s_waitcnt_depctr 0xfff
	v_fma_f32 v18, -v15, v17, 1.0
	v_fmac_f32_e32 v17, v18, v17
	s_delay_alu instid0(VALU_DEP_1) | instskip(NEXT) | instid1(VALU_DEP_1)
	v_mul_f32_e32 v18, v19, v17
	v_fma_f32 v20, -v15, v18, v19
	s_delay_alu instid0(VALU_DEP_1) | instskip(SKIP_1) | instid1(VALU_DEP_2)
	v_fmac_f32_e32 v18, v20, v17
	v_mov_b32_e32 v20, 0x2edbe6ff
	v_fma_f32 v15, -v15, v18, v19
	s_delay_alu instid0(VALU_DEP_1) | instskip(SKIP_2) | instid1(VALU_DEP_3)
	v_div_fmas_f32 v15, v15, v17, v18
	v_and_b32_e32 v18, 0xffff, v3
	v_lshrrev_b32_e32 v3, 16, v3
	v_div_fixup_f32 v5, v15, v16, v5
	s_delay_alu instid0(VALU_DEP_3) | instskip(NEXT) | instid1(VALU_DEP_3)
	v_cvt_f32_u32_e32 v18, v18
	v_cvt_f32_u32_e32 v3, v3
	s_delay_alu instid0(VALU_DEP_3) | instskip(NEXT) | instid1(VALU_DEP_1)
	v_cvt_f64_f32_e32 v[15:16], v5
	v_add_f64 v[15:16], v[15:16], s[18:19]
	s_delay_alu instid0(VALU_DEP_1) | instskip(SKIP_2) | instid1(VALU_DEP_2)
	v_cvt_f32_f64_e32 v5, v[15:16]
	v_and_b32_e32 v16, 0xffff, v1
	v_lshrrev_b32_e32 v1, 16, v1
	v_cvt_f32_u32_e32 v16, v16
	s_delay_alu instid0(VALU_DEP_2) | instskip(SKIP_2) | instid1(VALU_DEP_2)
	v_cvt_f32_u32_e32 v1, v1
	v_mul_f32_e32 v15, 0x4b800000, v5
	v_cmp_gt_f32_e32 vcc_lo, 0x800000, v5
	v_cndmask_b32_e32 v15, v5, v15, vcc_lo
	v_lshlrev_b32_e32 v5, 3, v0
	s_delay_alu instid0(VALU_DEP_2) | instskip(SKIP_2) | instid1(VALU_DEP_1)
	v_rsq_f32_e32 v15, v15
	s_waitcnt_depctr 0xfff
	v_mul_f32_e32 v21, 0x45800000, v15
	v_cndmask_b32_e32 v15, v15, v21, vcc_lo
	v_and_b32_e32 v17, 0xffff, v2
	v_lshrrev_b32_e32 v2, 16, v2
	v_and_b32_e32 v19, 0xffff, v4
	v_lshrrev_b32_e32 v4, 16, v4
	v_mul_f32_e32 v10, v15, v10
	s_delay_alu instid0(VALU_DEP_4) | instskip(NEXT) | instid1(VALU_DEP_4)
	v_cvt_f32_u32_e32 v2, v2
	v_cvt_f32_u32_e32 v19, v19
	s_delay_alu instid0(VALU_DEP_4) | instskip(NEXT) | instid1(VALU_DEP_3)
	v_cvt_f32_u32_e32 v4, v4
	v_mul_f32_e32 v10, v10, v2
	v_mul_f32_e32 v8, v15, v8
	;; [unrolled: 1-line block ×3, first 2 shown]
	v_cvt_f32_u32_e32 v17, v17
	v_mul_f32_e32 v7, v15, v7
	s_delay_alu instid0(VALU_DEP_4) | instskip(NEXT) | instid1(VALU_DEP_4)
	v_dual_mul_f32 v9, v15, v9 :: v_dual_mul_f32 v12, v8, v16
	v_mul_f32_e32 v8, v22, v3
	s_delay_alu instid0(VALU_DEP_2) | instskip(SKIP_1) | instid1(VALU_DEP_2)
	v_dual_mul_f32 v14, v15, v14 :: v_dual_mul_f32 v9, v9, v17
	v_mul_f32_e32 v21, v15, v11
	v_dual_mul_f32 v11, v7, v1 :: v_dual_mul_f32 v4, v14, v4
	v_dual_mul_f32 v13, v15, v13 :: v_dual_and_b32 v14, 0x7fffffff, v10
	s_delay_alu instid0(VALU_DEP_3) | instskip(NEXT) | instid1(VALU_DEP_3)
	v_dual_mul_f32 v7, v21, v18 :: v_dual_and_b32 v16, 0x7fffffff, v8
	v_and_b32_e32 v2, 0x7fffffff, v11
	v_and_b32_e32 v1, 0x7fffffff, v12
	s_delay_alu instid0(VALU_DEP_4)
	v_dual_mul_f32 v3, v13, v19 :: v_dual_and_b32 v18, 0x7fffffff, v4
	;;#ASMSTART
	v_max3_f32 v1, v20, v1, v2

	;;#ASMEND
	v_and_b32_e32 v13, 0x7fffffff, v9
	;;#ASMSTART
	v_max3_f32 v1, v1, v13, v14

	;;#ASMEND
	v_and_b32_e32 v15, 0x7fffffff, v7
	v_and_b32_e32 v17, 0x7fffffff, v3
	;;#ASMSTART
	v_max3_f32 v1, v1, v15, v16

	;;#ASMEND
	;;#ASMSTART
	v_max3_f32 v13, v1, v17, v18

	;;#ASMEND
	s_cbranch_scc0 .LBB90_10
; %bb.4:
	s_ashr_i32 s11, s7, 31
	s_delay_alu instid0(SALU_CYCLE_1) | instskip(NEXT) | instid1(SALU_CYCLE_1)
	s_lshr_b32 s3, s11, 29
	s_add_i32 s3, s7, s3
	s_delay_alu instid0(SALU_CYCLE_1) | instskip(NEXT) | instid1(SALU_CYCLE_1)
	s_ashr_i32 s3, s3, 3
	s_cmp_lt_i32 s3, 8
	s_cbranch_scc1 .LBB90_11
; %bb.5:
	s_cmp_lt_i32 s3, 16
	s_cbranch_scc1 .LBB90_12
; %bb.6:
	;; [unrolled: 3-line block ×3, first 2 shown]
	v_mov_b32_e32 v1, v13
	s_cmp_eq_u32 s3, 32
	s_cbranch_scc0 .LBB90_9
; %bb.8:
	s_delay_alu instid0(VALU_DEP_1) | instskip(SKIP_1) | instid1(VALU_DEP_1)
	v_mov_b32_dpp v1, v13 quad_perm:[1,0,3,2] row_mask:0xf bank_mask:0xf
	s_mov_b32 s12, 0x76543210
	v_cmp_gt_f32_e32 vcc_lo, v13, v1
	v_cndmask_b32_e32 v1, v1, v13, vcc_lo
	s_delay_alu instid0(VALU_DEP_1) | instskip(NEXT) | instid1(VALU_DEP_1)
	v_mov_b32_dpp v2, v1 quad_perm:[2,3,0,1] row_mask:0xf bank_mask:0xf
	v_cmp_gt_f32_e32 vcc_lo, v1, v2
	v_cndmask_b32_e32 v1, v2, v1, vcc_lo
	s_delay_alu instid0(VALU_DEP_1) | instskip(NEXT) | instid1(VALU_DEP_1)
	v_mov_b32_dpp v2, v1 row_xmask:7 row_mask:0xf bank_mask:0xf
	v_cmp_gt_f32_e32 vcc_lo, v1, v2
	v_cndmask_b32_e32 v1, v2, v1, vcc_lo
	s_delay_alu instid0(VALU_DEP_1) | instskip(NEXT) | instid1(VALU_DEP_1)
	v_mov_b32_dpp v2, v1 row_xmask:15 row_mask:0xf bank_mask:0xf
	v_cmp_gt_f32_e32 vcc_lo, v1, v2
	v_cndmask_b32_e32 v1, v2, v1, vcc_lo
	s_delay_alu instid0(VALU_DEP_1) | instskip(NEXT) | instid1(VALU_DEP_1)
	v_permlanex16_b32 v2, v1, s12, 0xfedcba98 op_sel:[1,1]
	v_cmp_gt_f32_e32 vcc_lo, v1, v2
	v_cndmask_b32_e32 v1, v2, v1, vcc_lo
.LBB90_9:
	s_mov_b32 s12, 0
	s_branch .LBB90_14
.LBB90_10:
	s_mov_b32 s3, 0
                                        ; implicit-def: $vgpr14
                                        ; implicit-def: $vgpr1_vgpr2
	s_and_b32 vcc_lo, exec_lo, s15
	s_cbranch_vccnz .LBB90_38
	s_branch .LBB90_41
.LBB90_11:
                                        ; implicit-def: $vgpr1
	s_branch .LBB90_21
.LBB90_12:
                                        ; implicit-def: $vgpr1
	s_branch .LBB90_18
.LBB90_13:
	s_mov_b32 s12, -1
                                        ; implicit-def: $vgpr1
.LBB90_14:
	s_delay_alu instid0(SALU_CYCLE_1)
	s_and_not1_b32 vcc_lo, exec_lo, s12
	s_cbranch_vccnz .LBB90_17
; %bb.15:
	v_mov_b32_e32 v1, v13
	s_cmp_eq_u32 s3, 16
	s_cbranch_scc0 .LBB90_17
; %bb.16:
	s_delay_alu instid0(VALU_DEP_1) | instskip(NEXT) | instid1(VALU_DEP_1)
	v_mov_b32_dpp v1, v13 quad_perm:[1,0,3,2] row_mask:0xf bank_mask:0xf
	v_cmp_gt_f32_e32 vcc_lo, v13, v1
	v_cndmask_b32_e32 v1, v1, v13, vcc_lo
	s_delay_alu instid0(VALU_DEP_1) | instskip(NEXT) | instid1(VALU_DEP_1)
	v_mov_b32_dpp v2, v1 quad_perm:[2,3,0,1] row_mask:0xf bank_mask:0xf
	v_cmp_gt_f32_e32 vcc_lo, v1, v2
	v_cndmask_b32_e32 v1, v2, v1, vcc_lo
	s_delay_alu instid0(VALU_DEP_1) | instskip(NEXT) | instid1(VALU_DEP_1)
	v_mov_b32_dpp v2, v1 row_half_mirror row_mask:0xf bank_mask:0xf
	v_cmp_gt_f32_e32 vcc_lo, v1, v2
	v_cndmask_b32_e32 v1, v2, v1, vcc_lo
	s_delay_alu instid0(VALU_DEP_1) | instskip(NEXT) | instid1(VALU_DEP_1)
	v_mov_b32_dpp v2, v1 row_mirror row_mask:0xf bank_mask:0xf
	v_cmp_gt_f32_e32 vcc_lo, v1, v2
	v_cndmask_b32_e32 v1, v2, v1, vcc_lo
.LBB90_17:
	s_cbranch_execnz .LBB90_20
.LBB90_18:
	v_mov_b32_e32 v1, v13
	s_cmp_eq_u32 s3, 8
	s_cbranch_scc0 .LBB90_20
; %bb.19:
	s_delay_alu instid0(VALU_DEP_1) | instskip(NEXT) | instid1(VALU_DEP_1)
	v_mov_b32_dpp v1, v13 quad_perm:[1,0,3,2] row_mask:0xf bank_mask:0xf
	v_cmp_gt_f32_e32 vcc_lo, v13, v1
	v_cndmask_b32_e32 v1, v1, v13, vcc_lo
	s_delay_alu instid0(VALU_DEP_1) | instskip(NEXT) | instid1(VALU_DEP_1)
	v_mov_b32_dpp v2, v1 quad_perm:[2,3,0,1] row_mask:0xf bank_mask:0xf
	v_cmp_gt_f32_e32 vcc_lo, v1, v2
	v_cndmask_b32_e32 v1, v2, v1, vcc_lo
	s_delay_alu instid0(VALU_DEP_1) | instskip(NEXT) | instid1(VALU_DEP_1)
	v_mov_b32_dpp v2, v1 row_half_mirror row_mask:0xf bank_mask:0xf
	v_cmp_gt_f32_e32 vcc_lo, v1, v2
	v_cndmask_b32_e32 v1, v2, v1, vcc_lo
.LBB90_20:
	s_cbranch_execnz .LBB90_28
.LBB90_21:
	s_cmp_lt_i32 s3, 4
	s_cbranch_scc1 .LBB90_24
; %bb.22:
	v_mov_b32_e32 v1, v13
	s_cmp_eq_u32 s3, 4
	s_cbranch_scc0 .LBB90_25
; %bb.23:
	s_delay_alu instid0(VALU_DEP_1) | instskip(NEXT) | instid1(VALU_DEP_1)
	v_mov_b32_dpp v1, v13 quad_perm:[1,0,3,2] row_mask:0xf bank_mask:0xf
	v_cmp_gt_f32_e32 vcc_lo, v13, v1
	v_cndmask_b32_e32 v1, v1, v13, vcc_lo
	s_delay_alu instid0(VALU_DEP_1) | instskip(NEXT) | instid1(VALU_DEP_1)
	v_mov_b32_dpp v2, v1 quad_perm:[2,3,0,1] row_mask:0xf bank_mask:0xf
	v_cmp_gt_f32_e32 vcc_lo, v1, v2
	v_cndmask_b32_e32 v1, v2, v1, vcc_lo
	s_cbranch_execz .LBB90_26
	s_branch .LBB90_28
.LBB90_24:
                                        ; implicit-def: $vgpr1
	s_branch .LBB90_26
.LBB90_25:
	s_cbranch_execnz .LBB90_28
.LBB90_26:
	v_mov_b32_e32 v1, v13
	s_cmp_lg_u32 s3, 2
	s_cbranch_scc1 .LBB90_28
; %bb.27:
	s_delay_alu instid0(VALU_DEP_1) | instskip(NEXT) | instid1(VALU_DEP_1)
	v_mov_b32_dpp v1, v13 quad_perm:[1,0,3,2] row_mask:0xf bank_mask:0xf
	v_cmp_gt_f32_e32 vcc_lo, v13, v1
	v_cndmask_b32_e32 v1, v1, v13, vcc_lo
.LBB90_28:
	v_cvt_f32_u32_e32 v2, s3
	s_sub_i32 s12, 0, s3
	s_mov_b32 s15, 0
	s_delay_alu instid0(VALU_DEP_1) | instskip(SKIP_2) | instid1(VALU_DEP_1)
	v_rcp_iflag_f32_e32 v2, v2
	s_waitcnt_depctr 0xfff
	v_mul_f32_e32 v2, 0x4f7ffffe, v2
	v_cvt_u32_f32_e32 v2, v2
	s_delay_alu instid0(VALU_DEP_1) | instskip(NEXT) | instid1(VALU_DEP_1)
	v_mul_lo_u32 v14, s12, v2
	v_mul_hi_u32 v14, v2, v14
	s_delay_alu instid0(VALU_DEP_1) | instskip(NEXT) | instid1(VALU_DEP_1)
	v_add_nc_u32_e32 v2, v2, v14
	v_mul_hi_u32 v2, v0, v2
	s_delay_alu instid0(VALU_DEP_1) | instskip(NEXT) | instid1(VALU_DEP_1)
	v_mul_lo_u32 v14, v2, s3
	v_sub_nc_u32_e32 v14, v0, v14
	s_delay_alu instid0(VALU_DEP_1) | instskip(SKIP_1) | instid1(VALU_DEP_2)
	v_subrev_nc_u32_e32 v16, s3, v14
	v_cmp_le_u32_e32 vcc_lo, s3, v14
	v_dual_cndmask_b32 v14, v14, v16 :: v_dual_add_nc_u32 v15, 1, v2
	s_delay_alu instid0(VALU_DEP_1) | instskip(NEXT) | instid1(VALU_DEP_2)
	v_cndmask_b32_e32 v2, v2, v15, vcc_lo
	v_cmp_le_u32_e32 vcc_lo, s3, v14
	s_delay_alu instid0(VALU_DEP_2) | instskip(NEXT) | instid1(VALU_DEP_1)
	v_dual_mul_f32 v14, 0x3c010204, v1 :: v_dual_add_nc_u32 v15, 1, v2
	v_cndmask_b32_e32 v15, v2, v15, vcc_lo
	v_cmp_gt_u32_e32 vcc_lo, s5, v5
	s_delay_alu instid0(VALU_DEP_2) | instskip(NEXT) | instid1(VALU_DEP_1)
	v_mul_lo_u32 v2, v15, s3
	v_sub_nc_u32_e32 v2, v0, v2
	s_delay_alu instid0(VALU_DEP_1) | instskip(NEXT) | instid1(VALU_DEP_1)
	v_cmp_eq_u32_e64 s3, 0, v2
                                        ; implicit-def: $vgpr1_vgpr2
	s_and_b32 s12, s3, vcc_lo
	s_mov_b32 s3, 0
	s_and_saveexec_b32 s13, s12
	s_delay_alu instid0(SALU_CYCLE_1)
	s_xor_b32 s14, exec_lo, s13
	s_cbranch_execz .LBB90_37
; %bb.29:
	s_bitcmp0_b32 s10, 0
	s_mov_b32 s16, 0
	s_cbranch_scc0 .LBB90_34
; %bb.30:
	s_ashr_i32 s3, s5, 31
	s_mul_hi_u32 s10, s5, s20
	s_mul_i32 s3, s3, s20
	s_mul_i32 s12, s5, s20
	s_add_i32 s13, s10, s3
	s_mov_b32 s10, s7
	s_delay_alu instid0(SALU_CYCLE_1) | instskip(NEXT) | instid1(SALU_CYCLE_1)
	s_or_b64 s[18:19], s[12:13], s[10:11]
	s_mov_b32 s17, s19
	s_delay_alu instid0(SALU_CYCLE_1)
	s_cmp_lg_u64 s[16:17], 0
	s_cbranch_scc0 .LBB90_45
; %bb.31:
	s_add_u32 s18, s10, s11
	s_mov_b32 s16, s11
	s_mov_b32 s17, s11
	s_addc_u32 s19, s11, s11
	s_delay_alu instid0(SALU_CYCLE_1) | instskip(NEXT) | instid1(SALU_CYCLE_1)
	s_xor_b64 s[18:19], s[18:19], s[16:17]
	v_cvt_f32_u32_e32 v1, s18
	v_cvt_f32_u32_e32 v2, s19
	s_sub_u32 s11, 0, s18
	s_subb_u32 s22, 0, s19
	s_delay_alu instid0(VALU_DEP_1) | instskip(NEXT) | instid1(VALU_DEP_1)
	v_fmamk_f32 v1, v2, 0x4f800000, v1
	v_rcp_f32_e32 v1, v1
	s_waitcnt_depctr 0xfff
	v_mul_f32_e32 v1, 0x5f7ffffc, v1
	s_delay_alu instid0(VALU_DEP_1) | instskip(NEXT) | instid1(VALU_DEP_1)
	v_mul_f32_e32 v2, 0x2f800000, v1
	v_trunc_f32_e32 v2, v2
	s_delay_alu instid0(VALU_DEP_1) | instskip(SKIP_1) | instid1(VALU_DEP_2)
	v_fmamk_f32 v1, v2, 0xcf800000, v1
	v_cvt_u32_f32_e32 v2, v2
	v_cvt_u32_f32_e32 v1, v1
	s_delay_alu instid0(VALU_DEP_2) | instskip(NEXT) | instid1(VALU_DEP_2)
	v_readfirstlane_b32 s3, v2
	v_readfirstlane_b32 s7, v1
	s_delay_alu instid0(VALU_DEP_2) | instskip(NEXT) | instid1(VALU_DEP_1)
	s_mul_i32 s23, s11, s3
	s_mul_hi_u32 s25, s11, s7
	s_mul_i32 s24, s22, s7
	s_add_i32 s23, s25, s23
	s_mul_i32 s26, s11, s7
	s_add_i32 s23, s23, s24
	s_mul_hi_u32 s25, s7, s26
	s_mul_hi_u32 s27, s3, s26
	s_mul_i32 s24, s3, s26
	s_mul_hi_u32 s26, s7, s23
	s_mul_i32 s7, s7, s23
	s_mul_hi_u32 s28, s3, s23
	s_add_u32 s7, s25, s7
	s_addc_u32 s25, 0, s26
	s_add_u32 s7, s7, s24
	s_mul_i32 s23, s3, s23
	s_addc_u32 s7, s25, s27
	s_addc_u32 s24, s28, 0
	s_add_u32 s7, s7, s23
	s_addc_u32 s23, 0, s24
	v_add_co_u32 v1, s7, v1, s7
	s_delay_alu instid0(VALU_DEP_1) | instskip(SKIP_1) | instid1(VALU_DEP_1)
	s_cmp_lg_u32 s7, 0
	s_addc_u32 s3, s3, s23
	v_readfirstlane_b32 s7, v1
	s_mul_i32 s23, s11, s3
	s_delay_alu instid0(VALU_DEP_1)
	s_mul_hi_u32 s24, s11, s7
	s_mul_i32 s22, s22, s7
	s_add_i32 s23, s24, s23
	s_mul_i32 s11, s11, s7
	s_add_i32 s23, s23, s22
	s_mul_hi_u32 s24, s3, s11
	s_mul_i32 s25, s3, s11
	s_mul_hi_u32 s11, s7, s11
	s_mul_hi_u32 s26, s7, s23
	s_mul_i32 s7, s7, s23
	s_mul_hi_u32 s22, s3, s23
	s_add_u32 s7, s11, s7
	s_addc_u32 s11, 0, s26
	s_add_u32 s7, s7, s25
	s_mul_i32 s23, s3, s23
	s_addc_u32 s7, s11, s24
	s_addc_u32 s11, s22, 0
	s_add_u32 s7, s7, s23
	s_addc_u32 s11, 0, s11
	v_add_co_u32 v1, s7, v1, s7
	s_delay_alu instid0(VALU_DEP_1) | instskip(SKIP_2) | instid1(VALU_DEP_1)
	s_cmp_lg_u32 s7, 0
	s_addc_u32 s3, s3, s11
	s_ashr_i32 s22, s13, 31
	v_readfirstlane_b32 s7, v1
	s_add_u32 s24, s12, s22
	s_mov_b32 s23, s22
	s_addc_u32 s25, s13, s22
	s_delay_alu instid0(SALU_CYCLE_1) | instskip(NEXT) | instid1(SALU_CYCLE_1)
	s_xor_b64 s[24:25], s[24:25], s[22:23]
	s_mul_i32 s13, s24, s3
	s_mul_hi_u32 s26, s24, s7
	s_mul_hi_u32 s11, s24, s3
	;; [unrolled: 1-line block ×3, first 2 shown]
	s_mul_i32 s7, s25, s7
	s_add_u32 s13, s26, s13
	s_addc_u32 s11, 0, s11
	s_mul_hi_u32 s27, s25, s3
	s_add_u32 s7, s13, s7
	s_mul_i32 s3, s25, s3
	s_addc_u32 s7, s11, s28
	s_addc_u32 s11, s27, 0
	s_add_u32 s7, s7, s3
	s_addc_u32 s11, 0, s11
	s_mul_i32 s27, s18, s7
	s_mul_hi_u32 s3, s18, s7
	s_mul_i32 s26, s18, s11
	v_sub_co_u32 v1, s24, s24, s27
	s_mul_i32 s13, s19, s7
	s_add_i32 s3, s3, s26
	s_delay_alu instid0(SALU_CYCLE_1) | instskip(NEXT) | instid1(VALU_DEP_1)
	s_add_i32 s3, s3, s13
	v_sub_co_u32 v2, s26, v1, s18
	s_sub_i32 s13, s25, s3
	s_cmp_lg_u32 s24, 0
	s_subb_u32 s13, s13, s19
	s_cmp_lg_u32 s26, 0
	v_cmp_le_u32_e32 vcc_lo, s18, v2
	s_subb_u32 s13, s13, 0
	s_delay_alu instid0(SALU_CYCLE_1)
	s_cmp_ge_u32 s13, s19
	v_cndmask_b32_e64 v2, 0, -1, vcc_lo
	s_cselect_b32 s26, -1, 0
	s_cmp_eq_u32 s13, s19
	s_cselect_b32 vcc_lo, -1, 0
	s_add_u32 s13, s7, 1
	v_cndmask_b32_e32 v2, s26, v2, vcc_lo
	s_addc_u32 s26, s11, 0
	s_add_u32 s27, s7, 2
	s_addc_u32 s28, s11, 0
	s_cmp_lg_u32 s24, 0
	v_cmp_le_u32_e32 vcc_lo, s18, v1
	s_subb_u32 s3, s25, s3
	v_mov_b32_e32 v16, s27
	s_cmp_ge_u32 s3, s19
	v_cndmask_b32_e64 v1, 0, -1, vcc_lo
	s_cselect_b32 s18, -1, 0
	s_cmp_eq_u32 s3, s19
	v_cmp_ne_u32_e32 vcc_lo, 0, v2
	v_mov_b32_e32 v2, s28
	s_cselect_b32 s3, -1, 0
	s_xor_b64 s[16:17], s[22:23], s[16:17]
	v_cndmask_b32_e64 v1, s18, v1, s3
	v_cndmask_b32_e32 v16, s13, v16, vcc_lo
	v_cndmask_b32_e32 v2, s26, v2, vcc_lo
	s_delay_alu instid0(VALU_DEP_3) | instskip(NEXT) | instid1(VALU_DEP_2)
	v_cmp_ne_u32_e32 vcc_lo, 0, v1
	v_cndmask_b32_e32 v1, s11, v2, vcc_lo
	s_delay_alu instid0(VALU_DEP_4) | instskip(NEXT) | instid1(VALU_DEP_2)
	v_cndmask_b32_e32 v2, s7, v16, vcc_lo
	v_xor_b32_e32 v16, s17, v1
	s_delay_alu instid0(VALU_DEP_2) | instskip(NEXT) | instid1(VALU_DEP_1)
	v_xor_b32_e32 v2, s16, v2
	v_sub_co_u32 v1, vcc_lo, v2, s16
	s_delay_alu instid0(VALU_DEP_3)
	v_subrev_co_ci_u32_e32 v2, vcc_lo, s17, v16, vcc_lo
	s_cbranch_execnz .LBB90_33
.LBB90_32:
	v_cvt_f32_u32_e32 v1, s10
	s_sub_i32 s7, 0, s10
	s_delay_alu instid0(VALU_DEP_1) | instskip(SKIP_2) | instid1(VALU_DEP_1)
	v_rcp_iflag_f32_e32 v1, v1
	s_waitcnt_depctr 0xfff
	v_mul_f32_e32 v1, 0x4f7ffffe, v1
	v_cvt_u32_f32_e32 v1, v1
	s_delay_alu instid0(VALU_DEP_1) | instskip(NEXT) | instid1(VALU_DEP_1)
	v_readfirstlane_b32 s3, v1
	s_mul_i32 s7, s7, s3
	s_delay_alu instid0(SALU_CYCLE_1) | instskip(NEXT) | instid1(SALU_CYCLE_1)
	s_mul_hi_u32 s7, s3, s7
	s_add_i32 s3, s3, s7
	s_delay_alu instid0(SALU_CYCLE_1) | instskip(NEXT) | instid1(SALU_CYCLE_1)
	s_mul_hi_u32 s3, s12, s3
	s_mul_i32 s7, s3, s10
	s_add_i32 s11, s3, 1
	s_sub_i32 s7, s12, s7
	s_delay_alu instid0(SALU_CYCLE_1)
	s_sub_i32 s12, s7, s10
	s_cmp_ge_u32 s7, s10
	s_cselect_b32 s3, s11, s3
	s_cselect_b32 s7, s12, s7
	s_add_i32 s12, s3, 1
	s_cmp_ge_u32 s7, s10
	s_mov_b32 s11, 0
	s_cselect_b32 s10, s12, s3
	s_delay_alu instid0(SALU_CYCLE_1)
	v_dual_mov_b32 v1, s10 :: v_dual_mov_b32 v2, s11
.LBB90_33:
	s_delay_alu instid0(VALU_DEP_1) | instskip(NEXT) | instid1(VALU_DEP_2)
	v_add_co_u32 v1, vcc_lo, v1, v15
	v_add_co_ci_u32_e32 v2, vcc_lo, 0, v2, vcc_lo
	s_branch .LBB90_36
.LBB90_34:
                                        ; implicit-def: $vgpr1_vgpr2
	s_cbranch_execz .LBB90_36
; %bb.35:
	v_mul_lo_u32 v1, v15, s4
	s_delay_alu instid0(VALU_DEP_1) | instskip(SKIP_1) | instid1(VALU_DEP_2)
	v_ashrrev_i32_e32 v2, 31, v1
	v_add_co_u32 v1, vcc_lo, v1, s20
	v_add_co_ci_u32_e32 v2, vcc_lo, 0, v2, vcc_lo
.LBB90_36:
	s_mov_b32 s3, exec_lo
.LBB90_37:
	s_or_b32 exec_lo, exec_lo, s14
	s_delay_alu instid0(SALU_CYCLE_1)
	s_and_b32 vcc_lo, exec_lo, s15
	s_cbranch_vccz .LBB90_41
.LBB90_38:
	v_mov_b32_dpp v1, v13 quad_perm:[1,0,3,2] row_mask:0xf bank_mask:0xf
	s_delay_alu instid0(VALU_DEP_1) | instskip(SKIP_1) | instid1(VALU_DEP_1)
	v_cmp_gt_f32_e32 vcc_lo, v13, v1
	v_cndmask_b32_e32 v1, v1, v13, vcc_lo
	v_mov_b32_dpp v2, v1 quad_perm:[2,3,0,1] row_mask:0xf bank_mask:0xf
	s_delay_alu instid0(VALU_DEP_1) | instskip(SKIP_1) | instid1(VALU_DEP_1)
	v_cmp_gt_f32_e32 vcc_lo, v1, v2
	v_cndmask_b32_e32 v1, v2, v1, vcc_lo
	v_mov_b32_dpp v2, v1 row_xmask:7 row_mask:0xf bank_mask:0xf
	s_delay_alu instid0(VALU_DEP_1) | instskip(SKIP_1) | instid1(VALU_DEP_1)
	v_cmp_gt_f32_e32 vcc_lo, v1, v2
	v_cndmask_b32_e32 v1, v2, v1, vcc_lo
	v_mov_b32_dpp v2, v1 row_xmask:15 row_mask:0xf bank_mask:0xf
	s_delay_alu instid0(VALU_DEP_1)
	v_cmp_gt_f32_e32 vcc_lo, v1, v2
	s_and_saveexec_b32 s3, s2
	s_cbranch_execz .LBB90_40
; %bb.39:
	v_cndmask_b32_e32 v1, v2, v1, vcc_lo
	v_lshrrev_b32_e32 v2, 3, v0
	s_mov_b32 s2, 0x76543210
	s_delay_alu instid0(VALU_DEP_1) | instskip(NEXT) | instid1(VALU_DEP_3)
	v_and_b32_e32 v2, 0x7c, v2
	v_permlanex16_b32 v13, v1, s2, 0xfedcba98 op_sel:[1,1]
	s_delay_alu instid0(VALU_DEP_1)
	v_cmp_gt_f32_e32 vcc_lo, v1, v13
	v_cndmask_b32_e32 v1, v13, v1, vcc_lo
	ds_store_b32 v2, v1
.LBB90_40:
	s_or_b32 exec_lo, exec_lo, s3
	s_waitcnt lgkmcnt(0)
	s_barrier
	buffer_gl0_inv
	ds_load_b32 v1, v6
	v_cmp_eq_u32_e64 s3, 0, v0
	s_waitcnt lgkmcnt(0)
	v_mov_b32_dpp v2, v1 quad_perm:[1,0,3,2] row_mask:0xf bank_mask:0xf
	s_delay_alu instid0(VALU_DEP_1) | instskip(SKIP_1) | instid1(VALU_DEP_1)
	v_cmp_gt_f32_e32 vcc_lo, v1, v2
	v_cndmask_b32_e32 v1, v2, v1, vcc_lo
	v_dual_mul_f32 v14, 0x3c010204, v1 :: v_dual_mov_b32 v1, s20
	v_mov_b32_e32 v2, s21
.LBB90_41:
	s_and_saveexec_b32 s2, s3
	s_cbranch_execz .LBB90_43
; %bb.42:
	s_delay_alu instid0(VALU_DEP_1) | instskip(NEXT) | instid1(VALU_DEP_1)
	v_lshlrev_b64 v[0:1], 2, v[1:2]
	v_add_co_u32 v0, vcc_lo, s8, v0
	s_delay_alu instid0(VALU_DEP_2)
	v_add_co_ci_u32_e32 v1, vcc_lo, s9, v1, vcc_lo
	global_store_b32 v[0:1], v14, off
.LBB90_43:
	s_or_b32 exec_lo, exec_lo, s2
	;;#ASMSTART
	v_rcp_f32 v0, v14
	;;#ASMEND
	v_mul_f32_e32 v7, v7, v0
	v_mul_f32_e32 v1, v12, v0
	;; [unrolled: 1-line block ×4, first 2 shown]
	s_load_b64 s[0:1], s[0:1], 0x0
	v_cvt_i32_f32_e32 v7, v7
	v_mul_f32_e32 v2, v11, v0
	v_cvt_i32_f32_e32 v1, v1
	v_mul_f32_e32 v6, v9, v0
	v_cvt_i32_f32_e32 v4, v4
	v_and_b32_e32 v7, 0xff, v7
	v_cvt_i32_f32_e32 v2, v2
	v_and_b32_e32 v1, 0xff, v1
	s_add_i32 s2, s5, 3
	v_lshlrev_b16 v4, 8, v4
	s_ashr_i32 s3, s2, 31
	v_lshlrev_b16 v2, 8, v2
	s_lshr_b32 s3, s3, 30
	s_mul_hi_u32 s4, s6, s20
	s_add_i32 s2, s2, s3
	s_ashr_i32 s3, s6, 31
	v_or_b32_e32 v1, v1, v2
	v_mul_f32_e32 v9, v10, v0
	v_mul_f32_e32 v0, v3, v0
	v_cvt_i32_f32_e32 v3, v6
	s_mul_i32 s3, s3, s20
	s_mul_i32 s5, s6, s20
	s_and_b32 s2, s2, -4
	v_cvt_i32_f32_e32 v0, v0
	v_and_b32_e32 v3, 0xff, v3
	v_cvt_i32_f32_e32 v6, v8
	s_add_i32 s4, s4, s3
	s_waitcnt lgkmcnt(0)
	s_add_u32 s0, s0, s5
	v_and_b32_e32 v0, 0xff, v0
	s_addc_u32 s1, s1, s4
	v_lshlrev_b16 v6, 8, v6
	s_and_b32 s1, s1, 0xffff
	s_mov_b32 s3, -1
	v_or_b32_e32 v0, v0, v4
	v_and_b32_e32 v4, 0xffff, v1
	v_cvt_i32_f32_e32 v8, v9
	v_or_b32_e32 v6, v7, v6
	s_delay_alu instid0(VALU_DEP_4) | instskip(NEXT) | instid1(VALU_DEP_3)
	v_lshlrev_b32_e32 v0, 16, v0
	v_lshlrev_b16 v8, 8, v8
	s_delay_alu instid0(VALU_DEP_1) | instskip(NEXT) | instid1(VALU_DEP_4)
	v_or_b32_e32 v2, v3, v8
	v_and_b32_e32 v3, 0xffff, v6
	s_delay_alu instid0(VALU_DEP_2) | instskip(NEXT) | instid1(VALU_DEP_2)
	v_lshlrev_b32_e32 v2, 16, v2
	v_or_b32_e32 v1, v3, v0
	s_delay_alu instid0(VALU_DEP_2)
	v_or_b32_e32 v0, v4, v2
	buffer_store_b64 v[0:1], v5, s[0:3], 0 offen
	;;#ASMSTART
	s_nop 0
	;;#ASMEND
.LBB90_44:
	s_nop 0
	s_sendmsg sendmsg(MSG_DEALLOC_VGPRS)
	s_endpgm
.LBB90_45:
                                        ; implicit-def: $vgpr1_vgpr2
	s_branch .LBB90_32
	.section	.rodata,"a",@progbits
	.p2align	6, 0x0
	.amdhsa_kernel _ZN5aiter24add_rmsnorm_quant_kernelItaLi64ELi8ELb0ELb1ELb1ELi1EEEvPT0_PT_PfS4_S4_S4_diiiiiiib
		.amdhsa_group_segment_fixed_size 16
		.amdhsa_private_segment_fixed_size 0
		.amdhsa_kernarg_size 88
		.amdhsa_user_sgpr_count 15
		.amdhsa_user_sgpr_dispatch_ptr 0
		.amdhsa_user_sgpr_queue_ptr 0
		.amdhsa_user_sgpr_kernarg_segment_ptr 1
		.amdhsa_user_sgpr_dispatch_id 0
		.amdhsa_user_sgpr_private_segment_size 0
		.amdhsa_wavefront_size32 1
		.amdhsa_uses_dynamic_stack 0
		.amdhsa_enable_private_segment 0
		.amdhsa_system_sgpr_workgroup_id_x 1
		.amdhsa_system_sgpr_workgroup_id_y 0
		.amdhsa_system_sgpr_workgroup_id_z 0
		.amdhsa_system_sgpr_workgroup_info 0
		.amdhsa_system_vgpr_workitem_id 0
		.amdhsa_next_free_vgpr 23
		.amdhsa_next_free_sgpr 29
		.amdhsa_reserve_vcc 1
		.amdhsa_float_round_mode_32 0
		.amdhsa_float_round_mode_16_64 0
		.amdhsa_float_denorm_mode_32 3
		.amdhsa_float_denorm_mode_16_64 3
		.amdhsa_dx10_clamp 1
		.amdhsa_ieee_mode 1
		.amdhsa_fp16_overflow 0
		.amdhsa_workgroup_processor_mode 1
		.amdhsa_memory_ordered 1
		.amdhsa_forward_progress 0
		.amdhsa_shared_vgpr_count 0
		.amdhsa_exception_fp_ieee_invalid_op 0
		.amdhsa_exception_fp_denorm_src 0
		.amdhsa_exception_fp_ieee_div_zero 0
		.amdhsa_exception_fp_ieee_overflow 0
		.amdhsa_exception_fp_ieee_underflow 0
		.amdhsa_exception_fp_ieee_inexact 0
		.amdhsa_exception_int_div_zero 0
	.end_amdhsa_kernel
	.section	.text._ZN5aiter24add_rmsnorm_quant_kernelItaLi64ELi8ELb0ELb1ELb1ELi1EEEvPT0_PT_PfS4_S4_S4_diiiiiiib,"axG",@progbits,_ZN5aiter24add_rmsnorm_quant_kernelItaLi64ELi8ELb0ELb1ELb1ELi1EEEvPT0_PT_PfS4_S4_S4_diiiiiiib,comdat
.Lfunc_end90:
	.size	_ZN5aiter24add_rmsnorm_quant_kernelItaLi64ELi8ELb0ELb1ELb1ELi1EEEvPT0_PT_PfS4_S4_S4_diiiiiiib, .Lfunc_end90-_ZN5aiter24add_rmsnorm_quant_kernelItaLi64ELi8ELb0ELb1ELb1ELi1EEEvPT0_PT_PfS4_S4_S4_diiiiiiib
                                        ; -- End function
	.section	.AMDGPU.csdata,"",@progbits
; Kernel info:
; codeLenInByte = 3232
; NumSgprs: 31
; NumVgprs: 23
; ScratchSize: 0
; MemoryBound: 0
; FloatMode: 240
; IeeeMode: 1
; LDSByteSize: 16 bytes/workgroup (compile time only)
; SGPRBlocks: 3
; VGPRBlocks: 2
; NumSGPRsForWavesPerEU: 31
; NumVGPRsForWavesPerEU: 23
; Occupancy: 16
; WaveLimiterHint : 0
; COMPUTE_PGM_RSRC2:SCRATCH_EN: 0
; COMPUTE_PGM_RSRC2:USER_SGPR: 15
; COMPUTE_PGM_RSRC2:TRAP_HANDLER: 0
; COMPUTE_PGM_RSRC2:TGID_X_EN: 1
; COMPUTE_PGM_RSRC2:TGID_Y_EN: 0
; COMPUTE_PGM_RSRC2:TGID_Z_EN: 0
; COMPUTE_PGM_RSRC2:TIDIG_COMP_CNT: 0
	.section	.text._ZN5aiter24add_rmsnorm_quant_kernelIDF16_aLi64ELi8ELb0ELb1ELb0ELi1EEEvPT0_PT_PfS4_S4_S4_diiiiiiib,"axG",@progbits,_ZN5aiter24add_rmsnorm_quant_kernelIDF16_aLi64ELi8ELb0ELb1ELb0ELi1EEEvPT0_PT_PfS4_S4_S4_diiiiiiib,comdat
	.protected	_ZN5aiter24add_rmsnorm_quant_kernelIDF16_aLi64ELi8ELb0ELb1ELb0ELi1EEEvPT0_PT_PfS4_S4_S4_diiiiiiib ; -- Begin function _ZN5aiter24add_rmsnorm_quant_kernelIDF16_aLi64ELi8ELb0ELb1ELb0ELi1EEEvPT0_PT_PfS4_S4_S4_diiiiiiib
	.globl	_ZN5aiter24add_rmsnorm_quant_kernelIDF16_aLi64ELi8ELb0ELb1ELb0ELi1EEEvPT0_PT_PfS4_S4_S4_diiiiiiib
	.p2align	8
	.type	_ZN5aiter24add_rmsnorm_quant_kernelIDF16_aLi64ELi8ELb0ELb1ELb0ELi1EEEvPT0_PT_PfS4_S4_S4_diiiiiiib,@function
_ZN5aiter24add_rmsnorm_quant_kernelIDF16_aLi64ELi8ELb0ELb1ELb0ELi1EEEvPT0_PT_PfS4_S4_S4_diiiiiiib: ; @_ZN5aiter24add_rmsnorm_quant_kernelIDF16_aLi64ELi8ELb0ELb1ELb0ELi1EEEvPT0_PT_PfS4_S4_S4_diiiiiiib
; %bb.0:
	s_load_b128 s[4:7], s[0:1], 0x38
	s_mov_b32 s20, s15
	s_mov_b32 s21, 0
	s_waitcnt lgkmcnt(0)
	s_ashr_i32 s3, s4, 31
	s_mov_b32 s2, s4
	s_delay_alu instid0(SALU_CYCLE_1) | instskip(NEXT) | instid1(VALU_DEP_1)
	v_cmp_ge_i64_e64 s2, s[20:21], s[2:3]
	s_and_b32 vcc_lo, exec_lo, s2
	s_cbranch_vccnz .LBB91_44
; %bb.1:
	s_clause 0x1
	s_load_b128 s[8:11], s[0:1], 0x10
	s_load_b128 s[16:19], s[0:1], 0x28
	s_ashr_i32 s2, s6, 31
	s_mul_hi_u32 s3, s6, s20
	s_mul_i32 s7, s2, s20
	s_mul_i32 s2, s6, s20
	s_add_i32 s3, s3, s7
	v_lshlrev_b32_e32 v1, 4, v0
	s_lshl_b64 s[2:3], s[2:3], 1
	s_mov_b32 s15, -1
	v_and_b32_e32 v15, 31, v0
	s_mov_b32 s27, s15
	s_waitcnt lgkmcnt(0)
	s_add_u32 s12, s10, s2
	s_addc_u32 s2, s11, s3
	s_add_i32 s3, s5, 1
	s_and_b32 s13, s2, 0xffff
	s_lshr_b32 s6, s3, 31
	s_mov_b32 s24, s16
	s_add_i32 s3, s3, s6
	s_and_b32 s25, s17, 0xffff
	s_lshl_b32 s3, s3, 1
	v_cmp_eq_u32_e64 s2, 31, v15
	s_and_b32 s14, s3, -4
	buffer_load_b128 v[9:12], v1, s[12:15], 0 offen glc slc
	s_mov_b32 s26, s14
	buffer_load_b128 v[1:4], v1, s[24:27], 0 offen
	s_waitcnt vmcnt(1)
	v_lshrrev_b32_e32 v5, 16, v9
	v_lshrrev_b32_e32 v13, 16, v10
	;; [unrolled: 1-line block ×4, first 2 shown]
	v_cvt_f32_f16_e32 v8, v10
	v_cvt_f32_f16_e32 v7, v5
	;; [unrolled: 1-line block ×4, first 2 shown]
	s_delay_alu instid0(VALU_DEP_3) | instskip(NEXT) | instid1(VALU_DEP_1)
	v_mul_f32_e32 v5, v7, v7
	v_fma_mix_f32 v5, v9, v9, v5 op_sel_hi:[1,1,0]
	v_cvt_f32_f16_e32 v9, v9
	s_delay_alu instid0(VALU_DEP_2) | instskip(NEXT) | instid1(VALU_DEP_1)
	v_fma_mix_f32 v5, v10, v10, v5 op_sel_hi:[1,1,0]
	v_fma_mix_f32 v5, v10, v10, v5 op_sel:[1,1,0] op_sel_hi:[1,1,0]
	v_cvt_f32_f16_e32 v10, v11
	s_delay_alu instid0(VALU_DEP_2) | instskip(NEXT) | instid1(VALU_DEP_1)
	v_fma_mix_f32 v5, v11, v11, v5 op_sel_hi:[1,1,0]
	v_fma_mix_f32 v5, v11, v11, v5 op_sel:[1,1,0] op_sel_hi:[1,1,0]
	;; [unrolled: 4-line block ×3, first 2 shown]
	v_cvt_f32_f16_e32 v12, v17
	s_delay_alu instid0(VALU_DEP_2) | instskip(NEXT) | instid1(VALU_DEP_1)
	v_mov_b32_dpp v6, v5 quad_perm:[1,0,3,2] row_mask:0xf bank_mask:0xf
	v_add_f32_e32 v5, v5, v6
	s_delay_alu instid0(VALU_DEP_1) | instskip(NEXT) | instid1(VALU_DEP_1)
	v_mov_b32_dpp v6, v5 quad_perm:[2,3,0,1] row_mask:0xf bank_mask:0xf
	v_add_f32_e32 v5, v5, v6
	s_delay_alu instid0(VALU_DEP_1) | instskip(NEXT) | instid1(VALU_DEP_1)
	v_mov_b32_dpp v6, v5 row_xmask:7 row_mask:0xf bank_mask:0xf
	v_add_f32_e32 v5, v5, v6
	s_delay_alu instid0(VALU_DEP_1)
	v_mov_b32_dpp v6, v5 row_xmask:15 row_mask:0xf bank_mask:0xf
	s_and_saveexec_b32 s3, s2
	s_cbranch_execz .LBB91_3
; %bb.2:
	s_delay_alu instid0(VALU_DEP_1) | instskip(SKIP_2) | instid1(VALU_DEP_2)
	v_add_f32_e32 v5, v5, v6
	s_mov_b32 s6, 0x76543210
	v_lshrrev_b32_e32 v6, 3, v0
	v_permlanex16_b32 v15, v5, s6, 0xfedcba98 op_sel:[1,1]
	s_delay_alu instid0(VALU_DEP_1)
	v_dual_add_f32 v5, v5, v15 :: v_dual_and_b32 v6, 0x7c, v6
	ds_store_b32 v6, v5 offset:8
.LBB91_3:
	s_or_b32 exec_lo, exec_lo, s3
	v_and_b32_e32 v5, 1, v0
	s_waitcnt vmcnt(0) lgkmcnt(0)
	s_barrier
	buffer_gl0_inv
	v_cvt_f32_i32_e32 v16, s5
	v_lshlrev_b32_e32 v6, 2, v5
	ds_load_b32 v5, v6 offset:8
	s_clause 0x1
	s_load_b64 s[6:7], s[0:1], 0x4c
	s_load_b32 s10, s[0:1], 0x54
	s_waitcnt lgkmcnt(0)
	s_cmp_lg_u32 s7, 0
	v_mov_b32_dpp v15, v5 quad_perm:[1,0,3,2] row_mask:0xf bank_mask:0xf
	s_delay_alu instid0(VALU_DEP_1) | instskip(NEXT) | instid1(VALU_DEP_1)
	v_add_f32_e32 v5, v5, v15
	v_div_scale_f32 v15, null, v16, v16, v5
	v_div_scale_f32 v19, vcc_lo, v5, v16, v5
	s_delay_alu instid0(VALU_DEP_2) | instskip(SKIP_2) | instid1(VALU_DEP_1)
	v_rcp_f32_e32 v17, v15
	s_waitcnt_depctr 0xfff
	v_fma_f32 v18, -v15, v17, 1.0
	v_fmac_f32_e32 v17, v18, v17
	s_delay_alu instid0(VALU_DEP_1) | instskip(NEXT) | instid1(VALU_DEP_1)
	v_mul_f32_e32 v18, v19, v17
	v_fma_f32 v20, -v15, v18, v19
	s_delay_alu instid0(VALU_DEP_1) | instskip(SKIP_2) | instid1(VALU_DEP_3)
	v_fmac_f32_e32 v18, v20, v17
	v_cvt_f32_f16_e32 v20, v4
	v_lshrrev_b32_e32 v4, 16, v4
	v_fma_f32 v15, -v15, v18, v19
	s_delay_alu instid0(VALU_DEP_2) | instskip(NEXT) | instid1(VALU_DEP_2)
	v_cvt_f32_f16_e32 v4, v4
	v_div_fmas_f32 v15, v15, v17, v18
	v_cvt_f32_f16_e32 v17, v2
	v_lshrrev_b32_e32 v2, 16, v2
	v_cvt_f32_f16_e32 v18, v3
	v_lshrrev_b32_e32 v3, 16, v3
	v_div_fixup_f32 v5, v15, v16, v5
	s_delay_alu instid0(VALU_DEP_4) | instskip(NEXT) | instid1(VALU_DEP_3)
	v_cvt_f32_f16_e32 v2, v2
	v_cvt_f32_f16_e32 v3, v3
	s_delay_alu instid0(VALU_DEP_3) | instskip(NEXT) | instid1(VALU_DEP_1)
	v_cvt_f64_f32_e32 v[15:16], v5
	v_add_f64 v[15:16], v[15:16], s[18:19]
	s_delay_alu instid0(VALU_DEP_1) | instskip(SKIP_2) | instid1(VALU_DEP_1)
	v_cvt_f32_f64_e32 v5, v[15:16]
	v_cvt_f32_f16_e32 v16, v1
	v_lshrrev_b32_e32 v1, 16, v1
	v_cvt_f32_f16_e32 v1, v1
	s_delay_alu instid0(VALU_DEP_4) | instskip(SKIP_1) | instid1(VALU_DEP_2)
	v_mul_f32_e32 v15, 0x4b800000, v5
	v_cmp_gt_f32_e32 vcc_lo, 0x800000, v5
	v_cndmask_b32_e32 v5, v5, v15, vcc_lo
	s_delay_alu instid0(VALU_DEP_1) | instskip(SKIP_2) | instid1(VALU_DEP_1)
	v_rsq_f32_e32 v15, v5
	s_waitcnt_depctr 0xfff
	v_mul_f32_e32 v19, 0x45800000, v15
	v_cndmask_b32_e32 v15, v15, v19, vcc_lo
	s_delay_alu instid0(VALU_DEP_1) | instskip(SKIP_1) | instid1(VALU_DEP_2)
	v_dual_mul_f32 v14, v15, v14 :: v_dual_lshlrev_b32 v5, 3, v0
	v_mul_f32_e32 v19, v15, v10
	v_mul_f32_e32 v10, v14, v2
	s_delay_alu instid0(VALU_DEP_1)
	v_and_b32_e32 v14, 0x7fffffff, v10
	v_mul_f32_e32 v8, v15, v8
	v_mul_f32_e32 v13, v15, v13
	;; [unrolled: 1-line block ×3, first 2 shown]
	v_dual_mov_b32 v21, 0x2edbe6ff :: v_dual_mul_f32 v22, v15, v11
	v_mul_f32_e32 v7, v15, v7
	v_mul_f32_e32 v15, v15, v12
	s_delay_alu instid0(VALU_DEP_4) | instskip(NEXT) | instid1(VALU_DEP_4)
	v_dual_mul_f32 v12, v9, v16 :: v_dual_mul_f32 v9, v8, v17
	v_dual_mul_f32 v8, v13, v3 :: v_dual_mul_f32 v3, v22, v20
	s_delay_alu instid0(VALU_DEP_2) | instskip(NEXT) | instid1(VALU_DEP_2)
	v_dual_mul_f32 v4, v15, v4 :: v_dual_and_b32 v13, 0x7fffffff, v9
	v_dual_mul_f32 v11, v7, v1 :: v_dual_and_b32 v16, 0x7fffffff, v8
	s_delay_alu instid0(VALU_DEP_4) | instskip(NEXT) | instid1(VALU_DEP_4)
	v_and_b32_e32 v1, 0x7fffffff, v12
	v_and_b32_e32 v17, 0x7fffffff, v3
	s_delay_alu instid0(VALU_DEP_3) | instskip(SKIP_3) | instid1(VALU_DEP_2)
	v_dual_mul_f32 v7, v19, v18 :: v_dual_and_b32 v2, 0x7fffffff, v11
	;;#ASMSTART
	v_max3_f32 v1, v21, v1, v2

	;;#ASMEND
	;;#ASMSTART
	v_max3_f32 v1, v1, v13, v14

	;;#ASMEND
	v_and_b32_e32 v18, 0x7fffffff, v4
	v_and_b32_e32 v15, 0x7fffffff, v7
	;;#ASMSTART
	v_max3_f32 v1, v1, v15, v16

	;;#ASMEND
	;;#ASMSTART
	v_max3_f32 v13, v1, v17, v18

	;;#ASMEND
	s_cbranch_scc0 .LBB91_10
; %bb.4:
	s_ashr_i32 s11, s7, 31
	s_delay_alu instid0(SALU_CYCLE_1) | instskip(NEXT) | instid1(SALU_CYCLE_1)
	s_lshr_b32 s3, s11, 29
	s_add_i32 s3, s7, s3
	s_delay_alu instid0(SALU_CYCLE_1) | instskip(NEXT) | instid1(SALU_CYCLE_1)
	s_ashr_i32 s3, s3, 3
	s_cmp_lt_i32 s3, 8
	s_cbranch_scc1 .LBB91_11
; %bb.5:
	s_cmp_lt_i32 s3, 16
	s_cbranch_scc1 .LBB91_12
; %bb.6:
	;; [unrolled: 3-line block ×3, first 2 shown]
	v_mov_b32_e32 v1, v13
	s_cmp_eq_u32 s3, 32
	s_cbranch_scc0 .LBB91_9
; %bb.8:
	s_delay_alu instid0(VALU_DEP_1) | instskip(SKIP_1) | instid1(VALU_DEP_1)
	v_mov_b32_dpp v1, v13 quad_perm:[1,0,3,2] row_mask:0xf bank_mask:0xf
	s_mov_b32 s12, 0x76543210
	v_cmp_gt_f32_e32 vcc_lo, v13, v1
	v_cndmask_b32_e32 v1, v1, v13, vcc_lo
	s_delay_alu instid0(VALU_DEP_1) | instskip(NEXT) | instid1(VALU_DEP_1)
	v_mov_b32_dpp v2, v1 quad_perm:[2,3,0,1] row_mask:0xf bank_mask:0xf
	v_cmp_gt_f32_e32 vcc_lo, v1, v2
	v_cndmask_b32_e32 v1, v2, v1, vcc_lo
	s_delay_alu instid0(VALU_DEP_1) | instskip(NEXT) | instid1(VALU_DEP_1)
	v_mov_b32_dpp v2, v1 row_xmask:7 row_mask:0xf bank_mask:0xf
	v_cmp_gt_f32_e32 vcc_lo, v1, v2
	v_cndmask_b32_e32 v1, v2, v1, vcc_lo
	s_delay_alu instid0(VALU_DEP_1) | instskip(NEXT) | instid1(VALU_DEP_1)
	v_mov_b32_dpp v2, v1 row_xmask:15 row_mask:0xf bank_mask:0xf
	v_cmp_gt_f32_e32 vcc_lo, v1, v2
	v_cndmask_b32_e32 v1, v2, v1, vcc_lo
	s_delay_alu instid0(VALU_DEP_1) | instskip(NEXT) | instid1(VALU_DEP_1)
	v_permlanex16_b32 v2, v1, s12, 0xfedcba98 op_sel:[1,1]
	v_cmp_gt_f32_e32 vcc_lo, v1, v2
	v_cndmask_b32_e32 v1, v2, v1, vcc_lo
.LBB91_9:
	s_mov_b32 s12, 0
	s_branch .LBB91_14
.LBB91_10:
	s_mov_b32 s3, 0
                                        ; implicit-def: $vgpr14
                                        ; implicit-def: $vgpr1_vgpr2
	s_and_b32 vcc_lo, exec_lo, s15
	s_cbranch_vccnz .LBB91_38
	s_branch .LBB91_41
.LBB91_11:
                                        ; implicit-def: $vgpr1
	s_branch .LBB91_21
.LBB91_12:
                                        ; implicit-def: $vgpr1
	s_branch .LBB91_18
.LBB91_13:
	s_mov_b32 s12, -1
                                        ; implicit-def: $vgpr1
.LBB91_14:
	s_delay_alu instid0(SALU_CYCLE_1)
	s_and_not1_b32 vcc_lo, exec_lo, s12
	s_cbranch_vccnz .LBB91_17
; %bb.15:
	v_mov_b32_e32 v1, v13
	s_cmp_eq_u32 s3, 16
	s_cbranch_scc0 .LBB91_17
; %bb.16:
	s_delay_alu instid0(VALU_DEP_1) | instskip(NEXT) | instid1(VALU_DEP_1)
	v_mov_b32_dpp v1, v13 quad_perm:[1,0,3,2] row_mask:0xf bank_mask:0xf
	v_cmp_gt_f32_e32 vcc_lo, v13, v1
	v_cndmask_b32_e32 v1, v1, v13, vcc_lo
	s_delay_alu instid0(VALU_DEP_1) | instskip(NEXT) | instid1(VALU_DEP_1)
	v_mov_b32_dpp v2, v1 quad_perm:[2,3,0,1] row_mask:0xf bank_mask:0xf
	v_cmp_gt_f32_e32 vcc_lo, v1, v2
	v_cndmask_b32_e32 v1, v2, v1, vcc_lo
	s_delay_alu instid0(VALU_DEP_1) | instskip(NEXT) | instid1(VALU_DEP_1)
	v_mov_b32_dpp v2, v1 row_half_mirror row_mask:0xf bank_mask:0xf
	v_cmp_gt_f32_e32 vcc_lo, v1, v2
	v_cndmask_b32_e32 v1, v2, v1, vcc_lo
	s_delay_alu instid0(VALU_DEP_1) | instskip(NEXT) | instid1(VALU_DEP_1)
	v_mov_b32_dpp v2, v1 row_mirror row_mask:0xf bank_mask:0xf
	v_cmp_gt_f32_e32 vcc_lo, v1, v2
	v_cndmask_b32_e32 v1, v2, v1, vcc_lo
.LBB91_17:
	s_cbranch_execnz .LBB91_20
.LBB91_18:
	v_mov_b32_e32 v1, v13
	s_cmp_eq_u32 s3, 8
	s_cbranch_scc0 .LBB91_20
; %bb.19:
	s_delay_alu instid0(VALU_DEP_1) | instskip(NEXT) | instid1(VALU_DEP_1)
	v_mov_b32_dpp v1, v13 quad_perm:[1,0,3,2] row_mask:0xf bank_mask:0xf
	v_cmp_gt_f32_e32 vcc_lo, v13, v1
	v_cndmask_b32_e32 v1, v1, v13, vcc_lo
	s_delay_alu instid0(VALU_DEP_1) | instskip(NEXT) | instid1(VALU_DEP_1)
	v_mov_b32_dpp v2, v1 quad_perm:[2,3,0,1] row_mask:0xf bank_mask:0xf
	v_cmp_gt_f32_e32 vcc_lo, v1, v2
	v_cndmask_b32_e32 v1, v2, v1, vcc_lo
	s_delay_alu instid0(VALU_DEP_1) | instskip(NEXT) | instid1(VALU_DEP_1)
	v_mov_b32_dpp v2, v1 row_half_mirror row_mask:0xf bank_mask:0xf
	v_cmp_gt_f32_e32 vcc_lo, v1, v2
	v_cndmask_b32_e32 v1, v2, v1, vcc_lo
.LBB91_20:
	s_cbranch_execnz .LBB91_28
.LBB91_21:
	s_cmp_lt_i32 s3, 4
	s_cbranch_scc1 .LBB91_24
; %bb.22:
	v_mov_b32_e32 v1, v13
	s_cmp_eq_u32 s3, 4
	s_cbranch_scc0 .LBB91_25
; %bb.23:
	s_delay_alu instid0(VALU_DEP_1) | instskip(NEXT) | instid1(VALU_DEP_1)
	v_mov_b32_dpp v1, v13 quad_perm:[1,0,3,2] row_mask:0xf bank_mask:0xf
	v_cmp_gt_f32_e32 vcc_lo, v13, v1
	v_cndmask_b32_e32 v1, v1, v13, vcc_lo
	s_delay_alu instid0(VALU_DEP_1) | instskip(NEXT) | instid1(VALU_DEP_1)
	v_mov_b32_dpp v2, v1 quad_perm:[2,3,0,1] row_mask:0xf bank_mask:0xf
	v_cmp_gt_f32_e32 vcc_lo, v1, v2
	v_cndmask_b32_e32 v1, v2, v1, vcc_lo
	s_cbranch_execz .LBB91_26
	s_branch .LBB91_28
.LBB91_24:
                                        ; implicit-def: $vgpr1
	s_branch .LBB91_26
.LBB91_25:
	s_cbranch_execnz .LBB91_28
.LBB91_26:
	v_mov_b32_e32 v1, v13
	s_cmp_lg_u32 s3, 2
	s_cbranch_scc1 .LBB91_28
; %bb.27:
	s_delay_alu instid0(VALU_DEP_1) | instskip(NEXT) | instid1(VALU_DEP_1)
	v_mov_b32_dpp v1, v13 quad_perm:[1,0,3,2] row_mask:0xf bank_mask:0xf
	v_cmp_gt_f32_e32 vcc_lo, v13, v1
	v_cndmask_b32_e32 v1, v1, v13, vcc_lo
.LBB91_28:
	v_cvt_f32_u32_e32 v2, s3
	s_sub_i32 s12, 0, s3
	s_mov_b32 s15, 0
	s_delay_alu instid0(VALU_DEP_1) | instskip(SKIP_2) | instid1(VALU_DEP_1)
	v_rcp_iflag_f32_e32 v2, v2
	s_waitcnt_depctr 0xfff
	v_mul_f32_e32 v2, 0x4f7ffffe, v2
	v_cvt_u32_f32_e32 v2, v2
	s_delay_alu instid0(VALU_DEP_1) | instskip(NEXT) | instid1(VALU_DEP_1)
	v_mul_lo_u32 v14, s12, v2
	v_mul_hi_u32 v14, v2, v14
	s_delay_alu instid0(VALU_DEP_1) | instskip(NEXT) | instid1(VALU_DEP_1)
	v_add_nc_u32_e32 v2, v2, v14
	v_mul_hi_u32 v2, v0, v2
	s_delay_alu instid0(VALU_DEP_1) | instskip(NEXT) | instid1(VALU_DEP_1)
	v_mul_lo_u32 v14, v2, s3
	v_sub_nc_u32_e32 v14, v0, v14
	s_delay_alu instid0(VALU_DEP_1) | instskip(SKIP_1) | instid1(VALU_DEP_2)
	v_subrev_nc_u32_e32 v16, s3, v14
	v_cmp_le_u32_e32 vcc_lo, s3, v14
	v_dual_cndmask_b32 v14, v14, v16 :: v_dual_add_nc_u32 v15, 1, v2
	s_delay_alu instid0(VALU_DEP_1) | instskip(NEXT) | instid1(VALU_DEP_2)
	v_cndmask_b32_e32 v2, v2, v15, vcc_lo
	v_cmp_le_u32_e32 vcc_lo, s3, v14
	s_delay_alu instid0(VALU_DEP_2) | instskip(NEXT) | instid1(VALU_DEP_1)
	v_dual_mul_f32 v14, 0x3c010204, v1 :: v_dual_add_nc_u32 v15, 1, v2
	v_cndmask_b32_e32 v15, v2, v15, vcc_lo
	v_cmp_gt_u32_e32 vcc_lo, s5, v5
	s_delay_alu instid0(VALU_DEP_2) | instskip(NEXT) | instid1(VALU_DEP_1)
	v_mul_lo_u32 v2, v15, s3
	v_sub_nc_u32_e32 v2, v0, v2
	s_delay_alu instid0(VALU_DEP_1) | instskip(NEXT) | instid1(VALU_DEP_1)
	v_cmp_eq_u32_e64 s3, 0, v2
                                        ; implicit-def: $vgpr1_vgpr2
	s_and_b32 s12, s3, vcc_lo
	s_mov_b32 s3, 0
	s_and_saveexec_b32 s13, s12
	s_delay_alu instid0(SALU_CYCLE_1)
	s_xor_b32 s14, exec_lo, s13
	s_cbranch_execz .LBB91_37
; %bb.29:
	s_bitcmp0_b32 s10, 0
	s_mov_b32 s16, 0
	s_cbranch_scc0 .LBB91_34
; %bb.30:
	s_ashr_i32 s3, s5, 31
	s_mul_hi_u32 s10, s5, s20
	s_mul_i32 s3, s3, s20
	s_mul_i32 s12, s5, s20
	s_add_i32 s13, s10, s3
	s_mov_b32 s10, s7
	s_delay_alu instid0(SALU_CYCLE_1) | instskip(NEXT) | instid1(SALU_CYCLE_1)
	s_or_b64 s[18:19], s[12:13], s[10:11]
	s_mov_b32 s17, s19
	s_delay_alu instid0(SALU_CYCLE_1)
	s_cmp_lg_u64 s[16:17], 0
	s_cbranch_scc0 .LBB91_45
; %bb.31:
	s_add_u32 s18, s10, s11
	s_mov_b32 s16, s11
	s_mov_b32 s17, s11
	s_addc_u32 s19, s11, s11
	s_delay_alu instid0(SALU_CYCLE_1) | instskip(NEXT) | instid1(SALU_CYCLE_1)
	s_xor_b64 s[18:19], s[18:19], s[16:17]
	v_cvt_f32_u32_e32 v1, s18
	v_cvt_f32_u32_e32 v2, s19
	s_sub_u32 s11, 0, s18
	s_subb_u32 s22, 0, s19
	s_delay_alu instid0(VALU_DEP_1) | instskip(NEXT) | instid1(VALU_DEP_1)
	v_fmamk_f32 v1, v2, 0x4f800000, v1
	v_rcp_f32_e32 v1, v1
	s_waitcnt_depctr 0xfff
	v_mul_f32_e32 v1, 0x5f7ffffc, v1
	s_delay_alu instid0(VALU_DEP_1) | instskip(NEXT) | instid1(VALU_DEP_1)
	v_mul_f32_e32 v2, 0x2f800000, v1
	v_trunc_f32_e32 v2, v2
	s_delay_alu instid0(VALU_DEP_1) | instskip(SKIP_1) | instid1(VALU_DEP_2)
	v_fmamk_f32 v1, v2, 0xcf800000, v1
	v_cvt_u32_f32_e32 v2, v2
	v_cvt_u32_f32_e32 v1, v1
	s_delay_alu instid0(VALU_DEP_2) | instskip(NEXT) | instid1(VALU_DEP_2)
	v_readfirstlane_b32 s3, v2
	v_readfirstlane_b32 s7, v1
	s_delay_alu instid0(VALU_DEP_2) | instskip(NEXT) | instid1(VALU_DEP_1)
	s_mul_i32 s23, s11, s3
	s_mul_hi_u32 s25, s11, s7
	s_mul_i32 s24, s22, s7
	s_add_i32 s23, s25, s23
	s_mul_i32 s26, s11, s7
	s_add_i32 s23, s23, s24
	s_mul_hi_u32 s25, s7, s26
	s_mul_hi_u32 s27, s3, s26
	s_mul_i32 s24, s3, s26
	s_mul_hi_u32 s26, s7, s23
	s_mul_i32 s7, s7, s23
	s_mul_hi_u32 s28, s3, s23
	s_add_u32 s7, s25, s7
	s_addc_u32 s25, 0, s26
	s_add_u32 s7, s7, s24
	s_mul_i32 s23, s3, s23
	s_addc_u32 s7, s25, s27
	s_addc_u32 s24, s28, 0
	s_add_u32 s7, s7, s23
	s_addc_u32 s23, 0, s24
	v_add_co_u32 v1, s7, v1, s7
	s_delay_alu instid0(VALU_DEP_1) | instskip(SKIP_1) | instid1(VALU_DEP_1)
	s_cmp_lg_u32 s7, 0
	s_addc_u32 s3, s3, s23
	v_readfirstlane_b32 s7, v1
	s_mul_i32 s23, s11, s3
	s_delay_alu instid0(VALU_DEP_1)
	s_mul_hi_u32 s24, s11, s7
	s_mul_i32 s22, s22, s7
	s_add_i32 s23, s24, s23
	s_mul_i32 s11, s11, s7
	s_add_i32 s23, s23, s22
	s_mul_hi_u32 s24, s3, s11
	s_mul_i32 s25, s3, s11
	s_mul_hi_u32 s11, s7, s11
	s_mul_hi_u32 s26, s7, s23
	s_mul_i32 s7, s7, s23
	s_mul_hi_u32 s22, s3, s23
	s_add_u32 s7, s11, s7
	s_addc_u32 s11, 0, s26
	s_add_u32 s7, s7, s25
	s_mul_i32 s23, s3, s23
	s_addc_u32 s7, s11, s24
	s_addc_u32 s11, s22, 0
	s_add_u32 s7, s7, s23
	s_addc_u32 s11, 0, s11
	v_add_co_u32 v1, s7, v1, s7
	s_delay_alu instid0(VALU_DEP_1) | instskip(SKIP_2) | instid1(VALU_DEP_1)
	s_cmp_lg_u32 s7, 0
	s_addc_u32 s3, s3, s11
	s_ashr_i32 s22, s13, 31
	v_readfirstlane_b32 s7, v1
	s_add_u32 s24, s12, s22
	s_mov_b32 s23, s22
	s_addc_u32 s25, s13, s22
	s_delay_alu instid0(SALU_CYCLE_1) | instskip(NEXT) | instid1(SALU_CYCLE_1)
	s_xor_b64 s[24:25], s[24:25], s[22:23]
	s_mul_i32 s13, s24, s3
	s_mul_hi_u32 s26, s24, s7
	s_mul_hi_u32 s11, s24, s3
	;; [unrolled: 1-line block ×3, first 2 shown]
	s_mul_i32 s7, s25, s7
	s_add_u32 s13, s26, s13
	s_addc_u32 s11, 0, s11
	s_mul_hi_u32 s27, s25, s3
	s_add_u32 s7, s13, s7
	s_mul_i32 s3, s25, s3
	s_addc_u32 s7, s11, s28
	s_addc_u32 s11, s27, 0
	s_add_u32 s7, s7, s3
	s_addc_u32 s11, 0, s11
	s_mul_i32 s27, s18, s7
	s_mul_hi_u32 s3, s18, s7
	s_mul_i32 s26, s18, s11
	v_sub_co_u32 v1, s24, s24, s27
	s_mul_i32 s13, s19, s7
	s_add_i32 s3, s3, s26
	s_delay_alu instid0(SALU_CYCLE_1) | instskip(NEXT) | instid1(VALU_DEP_1)
	s_add_i32 s3, s3, s13
	v_sub_co_u32 v2, s26, v1, s18
	s_sub_i32 s13, s25, s3
	s_cmp_lg_u32 s24, 0
	s_subb_u32 s13, s13, s19
	s_cmp_lg_u32 s26, 0
	v_cmp_le_u32_e32 vcc_lo, s18, v2
	s_subb_u32 s13, s13, 0
	s_delay_alu instid0(SALU_CYCLE_1)
	s_cmp_ge_u32 s13, s19
	v_cndmask_b32_e64 v2, 0, -1, vcc_lo
	s_cselect_b32 s26, -1, 0
	s_cmp_eq_u32 s13, s19
	s_cselect_b32 vcc_lo, -1, 0
	s_add_u32 s13, s7, 1
	v_cndmask_b32_e32 v2, s26, v2, vcc_lo
	s_addc_u32 s26, s11, 0
	s_add_u32 s27, s7, 2
	s_addc_u32 s28, s11, 0
	s_cmp_lg_u32 s24, 0
	v_cmp_le_u32_e32 vcc_lo, s18, v1
	s_subb_u32 s3, s25, s3
	v_mov_b32_e32 v16, s27
	s_cmp_ge_u32 s3, s19
	v_cndmask_b32_e64 v1, 0, -1, vcc_lo
	s_cselect_b32 s18, -1, 0
	s_cmp_eq_u32 s3, s19
	v_cmp_ne_u32_e32 vcc_lo, 0, v2
	v_mov_b32_e32 v2, s28
	s_cselect_b32 s3, -1, 0
	s_xor_b64 s[16:17], s[22:23], s[16:17]
	v_cndmask_b32_e64 v1, s18, v1, s3
	v_cndmask_b32_e32 v16, s13, v16, vcc_lo
	v_cndmask_b32_e32 v2, s26, v2, vcc_lo
	s_delay_alu instid0(VALU_DEP_3) | instskip(NEXT) | instid1(VALU_DEP_2)
	v_cmp_ne_u32_e32 vcc_lo, 0, v1
	v_cndmask_b32_e32 v1, s11, v2, vcc_lo
	s_delay_alu instid0(VALU_DEP_4) | instskip(NEXT) | instid1(VALU_DEP_2)
	v_cndmask_b32_e32 v2, s7, v16, vcc_lo
	v_xor_b32_e32 v16, s17, v1
	s_delay_alu instid0(VALU_DEP_2) | instskip(NEXT) | instid1(VALU_DEP_1)
	v_xor_b32_e32 v2, s16, v2
	v_sub_co_u32 v1, vcc_lo, v2, s16
	s_delay_alu instid0(VALU_DEP_3)
	v_subrev_co_ci_u32_e32 v2, vcc_lo, s17, v16, vcc_lo
	s_cbranch_execnz .LBB91_33
.LBB91_32:
	v_cvt_f32_u32_e32 v1, s10
	s_sub_i32 s7, 0, s10
	s_delay_alu instid0(VALU_DEP_1) | instskip(SKIP_2) | instid1(VALU_DEP_1)
	v_rcp_iflag_f32_e32 v1, v1
	s_waitcnt_depctr 0xfff
	v_mul_f32_e32 v1, 0x4f7ffffe, v1
	v_cvt_u32_f32_e32 v1, v1
	s_delay_alu instid0(VALU_DEP_1) | instskip(NEXT) | instid1(VALU_DEP_1)
	v_readfirstlane_b32 s3, v1
	s_mul_i32 s7, s7, s3
	s_delay_alu instid0(SALU_CYCLE_1) | instskip(NEXT) | instid1(SALU_CYCLE_1)
	s_mul_hi_u32 s7, s3, s7
	s_add_i32 s3, s3, s7
	s_delay_alu instid0(SALU_CYCLE_1) | instskip(NEXT) | instid1(SALU_CYCLE_1)
	s_mul_hi_u32 s3, s12, s3
	s_mul_i32 s7, s3, s10
	s_add_i32 s11, s3, 1
	s_sub_i32 s7, s12, s7
	s_delay_alu instid0(SALU_CYCLE_1)
	s_sub_i32 s12, s7, s10
	s_cmp_ge_u32 s7, s10
	s_cselect_b32 s3, s11, s3
	s_cselect_b32 s7, s12, s7
	s_add_i32 s12, s3, 1
	s_cmp_ge_u32 s7, s10
	s_mov_b32 s11, 0
	s_cselect_b32 s10, s12, s3
	s_delay_alu instid0(SALU_CYCLE_1)
	v_dual_mov_b32 v1, s10 :: v_dual_mov_b32 v2, s11
.LBB91_33:
	s_delay_alu instid0(VALU_DEP_1) | instskip(NEXT) | instid1(VALU_DEP_2)
	v_add_co_u32 v1, vcc_lo, v1, v15
	v_add_co_ci_u32_e32 v2, vcc_lo, 0, v2, vcc_lo
	s_branch .LBB91_36
.LBB91_34:
                                        ; implicit-def: $vgpr1_vgpr2
	s_cbranch_execz .LBB91_36
; %bb.35:
	v_mul_lo_u32 v1, v15, s4
	s_delay_alu instid0(VALU_DEP_1) | instskip(SKIP_1) | instid1(VALU_DEP_2)
	v_ashrrev_i32_e32 v2, 31, v1
	v_add_co_u32 v1, vcc_lo, v1, s20
	v_add_co_ci_u32_e32 v2, vcc_lo, 0, v2, vcc_lo
.LBB91_36:
	s_mov_b32 s3, exec_lo
.LBB91_37:
	s_or_b32 exec_lo, exec_lo, s14
	s_delay_alu instid0(SALU_CYCLE_1)
	s_and_b32 vcc_lo, exec_lo, s15
	s_cbranch_vccz .LBB91_41
.LBB91_38:
	v_mov_b32_dpp v1, v13 quad_perm:[1,0,3,2] row_mask:0xf bank_mask:0xf
	s_delay_alu instid0(VALU_DEP_1) | instskip(SKIP_1) | instid1(VALU_DEP_1)
	v_cmp_gt_f32_e32 vcc_lo, v13, v1
	v_cndmask_b32_e32 v1, v1, v13, vcc_lo
	v_mov_b32_dpp v2, v1 quad_perm:[2,3,0,1] row_mask:0xf bank_mask:0xf
	s_delay_alu instid0(VALU_DEP_1) | instskip(SKIP_1) | instid1(VALU_DEP_1)
	v_cmp_gt_f32_e32 vcc_lo, v1, v2
	v_cndmask_b32_e32 v1, v2, v1, vcc_lo
	v_mov_b32_dpp v2, v1 row_xmask:7 row_mask:0xf bank_mask:0xf
	s_delay_alu instid0(VALU_DEP_1) | instskip(SKIP_1) | instid1(VALU_DEP_1)
	v_cmp_gt_f32_e32 vcc_lo, v1, v2
	v_cndmask_b32_e32 v1, v2, v1, vcc_lo
	v_mov_b32_dpp v2, v1 row_xmask:15 row_mask:0xf bank_mask:0xf
	s_delay_alu instid0(VALU_DEP_1)
	v_cmp_gt_f32_e32 vcc_lo, v1, v2
	s_and_saveexec_b32 s3, s2
	s_cbranch_execz .LBB91_40
; %bb.39:
	v_cndmask_b32_e32 v1, v2, v1, vcc_lo
	v_lshrrev_b32_e32 v2, 3, v0
	s_mov_b32 s2, 0x76543210
	s_delay_alu instid0(VALU_DEP_1) | instskip(NEXT) | instid1(VALU_DEP_3)
	v_and_b32_e32 v2, 0x7c, v2
	v_permlanex16_b32 v13, v1, s2, 0xfedcba98 op_sel:[1,1]
	s_delay_alu instid0(VALU_DEP_1)
	v_cmp_gt_f32_e32 vcc_lo, v1, v13
	v_cndmask_b32_e32 v1, v13, v1, vcc_lo
	ds_store_b32 v2, v1
.LBB91_40:
	s_or_b32 exec_lo, exec_lo, s3
	s_waitcnt lgkmcnt(0)
	s_barrier
	buffer_gl0_inv
	ds_load_b32 v1, v6
	v_cmp_eq_u32_e64 s3, 0, v0
	s_waitcnt lgkmcnt(0)
	v_mov_b32_dpp v2, v1 quad_perm:[1,0,3,2] row_mask:0xf bank_mask:0xf
	s_delay_alu instid0(VALU_DEP_1) | instskip(SKIP_1) | instid1(VALU_DEP_1)
	v_cmp_gt_f32_e32 vcc_lo, v1, v2
	v_cndmask_b32_e32 v1, v2, v1, vcc_lo
	v_dual_mul_f32 v14, 0x3c010204, v1 :: v_dual_mov_b32 v1, s20
	v_mov_b32_e32 v2, s21
.LBB91_41:
	s_and_saveexec_b32 s2, s3
	s_cbranch_execz .LBB91_43
; %bb.42:
	s_delay_alu instid0(VALU_DEP_1) | instskip(NEXT) | instid1(VALU_DEP_1)
	v_lshlrev_b64 v[0:1], 2, v[1:2]
	v_add_co_u32 v0, vcc_lo, s8, v0
	s_delay_alu instid0(VALU_DEP_2)
	v_add_co_ci_u32_e32 v1, vcc_lo, s9, v1, vcc_lo
	global_store_b32 v[0:1], v14, off
.LBB91_43:
	s_or_b32 exec_lo, exec_lo, s2
	;;#ASMSTART
	v_rcp_f32 v0, v14
	;;#ASMEND
	v_mul_f32_e32 v7, v7, v0
	v_mul_f32_e32 v1, v12, v0
	;; [unrolled: 1-line block ×4, first 2 shown]
	s_load_b64 s[0:1], s[0:1], 0x0
	v_cvt_i32_f32_e32 v7, v7
	v_mul_f32_e32 v2, v11, v0
	v_cvt_i32_f32_e32 v1, v1
	v_mul_f32_e32 v6, v9, v0
	v_cvt_i32_f32_e32 v4, v4
	v_and_b32_e32 v7, 0xff, v7
	v_cvt_i32_f32_e32 v2, v2
	v_and_b32_e32 v1, 0xff, v1
	s_add_i32 s2, s5, 3
	v_lshlrev_b16 v4, 8, v4
	s_ashr_i32 s3, s2, 31
	v_lshlrev_b16 v2, 8, v2
	s_lshr_b32 s3, s3, 30
	s_mul_hi_u32 s4, s6, s20
	s_add_i32 s2, s2, s3
	s_ashr_i32 s3, s6, 31
	v_or_b32_e32 v1, v1, v2
	v_mul_f32_e32 v9, v10, v0
	v_mul_f32_e32 v0, v3, v0
	v_cvt_i32_f32_e32 v3, v6
	s_mul_i32 s3, s3, s20
	s_mul_i32 s5, s6, s20
	s_and_b32 s2, s2, -4
	v_cvt_i32_f32_e32 v0, v0
	v_and_b32_e32 v3, 0xff, v3
	v_cvt_i32_f32_e32 v6, v8
	s_add_i32 s4, s4, s3
	s_waitcnt lgkmcnt(0)
	s_add_u32 s0, s0, s5
	v_and_b32_e32 v0, 0xff, v0
	s_addc_u32 s1, s1, s4
	v_lshlrev_b16 v6, 8, v6
	s_and_b32 s1, s1, 0xffff
	s_mov_b32 s3, -1
	v_or_b32_e32 v0, v0, v4
	v_and_b32_e32 v4, 0xffff, v1
	v_cvt_i32_f32_e32 v8, v9
	v_or_b32_e32 v6, v7, v6
	s_delay_alu instid0(VALU_DEP_4) | instskip(NEXT) | instid1(VALU_DEP_3)
	v_lshlrev_b32_e32 v0, 16, v0
	v_lshlrev_b16 v8, 8, v8
	s_delay_alu instid0(VALU_DEP_1) | instskip(NEXT) | instid1(VALU_DEP_4)
	v_or_b32_e32 v2, v3, v8
	v_and_b32_e32 v3, 0xffff, v6
	s_delay_alu instid0(VALU_DEP_2) | instskip(NEXT) | instid1(VALU_DEP_2)
	v_lshlrev_b32_e32 v2, 16, v2
	v_or_b32_e32 v1, v3, v0
	s_delay_alu instid0(VALU_DEP_2)
	v_or_b32_e32 v0, v4, v2
	buffer_store_b64 v[0:1], v5, s[0:3], 0 offen
	;;#ASMSTART
	s_nop 0
	;;#ASMEND
.LBB91_44:
	s_nop 0
	s_sendmsg sendmsg(MSG_DEALLOC_VGPRS)
	s_endpgm
.LBB91_45:
                                        ; implicit-def: $vgpr1_vgpr2
	s_branch .LBB91_32
	.section	.rodata,"a",@progbits
	.p2align	6, 0x0
	.amdhsa_kernel _ZN5aiter24add_rmsnorm_quant_kernelIDF16_aLi64ELi8ELb0ELb1ELb0ELi1EEEvPT0_PT_PfS4_S4_S4_diiiiiiib
		.amdhsa_group_segment_fixed_size 16
		.amdhsa_private_segment_fixed_size 0
		.amdhsa_kernarg_size 88
		.amdhsa_user_sgpr_count 15
		.amdhsa_user_sgpr_dispatch_ptr 0
		.amdhsa_user_sgpr_queue_ptr 0
		.amdhsa_user_sgpr_kernarg_segment_ptr 1
		.amdhsa_user_sgpr_dispatch_id 0
		.amdhsa_user_sgpr_private_segment_size 0
		.amdhsa_wavefront_size32 1
		.amdhsa_uses_dynamic_stack 0
		.amdhsa_enable_private_segment 0
		.amdhsa_system_sgpr_workgroup_id_x 1
		.amdhsa_system_sgpr_workgroup_id_y 0
		.amdhsa_system_sgpr_workgroup_id_z 0
		.amdhsa_system_sgpr_workgroup_info 0
		.amdhsa_system_vgpr_workitem_id 0
		.amdhsa_next_free_vgpr 23
		.amdhsa_next_free_sgpr 29
		.amdhsa_reserve_vcc 1
		.amdhsa_float_round_mode_32 0
		.amdhsa_float_round_mode_16_64 0
		.amdhsa_float_denorm_mode_32 3
		.amdhsa_float_denorm_mode_16_64 3
		.amdhsa_dx10_clamp 1
		.amdhsa_ieee_mode 1
		.amdhsa_fp16_overflow 0
		.amdhsa_workgroup_processor_mode 1
		.amdhsa_memory_ordered 1
		.amdhsa_forward_progress 0
		.amdhsa_shared_vgpr_count 0
		.amdhsa_exception_fp_ieee_invalid_op 0
		.amdhsa_exception_fp_denorm_src 0
		.amdhsa_exception_fp_ieee_div_zero 0
		.amdhsa_exception_fp_ieee_overflow 0
		.amdhsa_exception_fp_ieee_underflow 0
		.amdhsa_exception_fp_ieee_inexact 0
		.amdhsa_exception_int_div_zero 0
	.end_amdhsa_kernel
	.section	.text._ZN5aiter24add_rmsnorm_quant_kernelIDF16_aLi64ELi8ELb0ELb1ELb0ELi1EEEvPT0_PT_PfS4_S4_S4_diiiiiiib,"axG",@progbits,_ZN5aiter24add_rmsnorm_quant_kernelIDF16_aLi64ELi8ELb0ELb1ELb0ELi1EEEvPT0_PT_PfS4_S4_S4_diiiiiiib,comdat
.Lfunc_end91:
	.size	_ZN5aiter24add_rmsnorm_quant_kernelIDF16_aLi64ELi8ELb0ELb1ELb0ELi1EEEvPT0_PT_PfS4_S4_S4_diiiiiiib, .Lfunc_end91-_ZN5aiter24add_rmsnorm_quant_kernelIDF16_aLi64ELi8ELb0ELb1ELb0ELi1EEEvPT0_PT_PfS4_S4_S4_diiiiiiib
                                        ; -- End function
	.section	.AMDGPU.csdata,"",@progbits
; Kernel info:
; codeLenInByte = 3184
; NumSgprs: 31
; NumVgprs: 23
; ScratchSize: 0
; MemoryBound: 0
; FloatMode: 240
; IeeeMode: 1
; LDSByteSize: 16 bytes/workgroup (compile time only)
; SGPRBlocks: 3
; VGPRBlocks: 2
; NumSGPRsForWavesPerEU: 31
; NumVGPRsForWavesPerEU: 23
; Occupancy: 16
; WaveLimiterHint : 0
; COMPUTE_PGM_RSRC2:SCRATCH_EN: 0
; COMPUTE_PGM_RSRC2:USER_SGPR: 15
; COMPUTE_PGM_RSRC2:TRAP_HANDLER: 0
; COMPUTE_PGM_RSRC2:TGID_X_EN: 1
; COMPUTE_PGM_RSRC2:TGID_Y_EN: 0
; COMPUTE_PGM_RSRC2:TGID_Z_EN: 0
; COMPUTE_PGM_RSRC2:TIDIG_COMP_CNT: 0
	.section	.text._ZN5aiter24add_rmsnorm_quant_kernelItaLi64ELi8ELb0ELb1ELb0ELi1EEEvPT0_PT_PfS4_S4_S4_diiiiiiib,"axG",@progbits,_ZN5aiter24add_rmsnorm_quant_kernelItaLi64ELi8ELb0ELb1ELb0ELi1EEEvPT0_PT_PfS4_S4_S4_diiiiiiib,comdat
	.protected	_ZN5aiter24add_rmsnorm_quant_kernelItaLi64ELi8ELb0ELb1ELb0ELi1EEEvPT0_PT_PfS4_S4_S4_diiiiiiib ; -- Begin function _ZN5aiter24add_rmsnorm_quant_kernelItaLi64ELi8ELb0ELb1ELb0ELi1EEEvPT0_PT_PfS4_S4_S4_diiiiiiib
	.globl	_ZN5aiter24add_rmsnorm_quant_kernelItaLi64ELi8ELb0ELb1ELb0ELi1EEEvPT0_PT_PfS4_S4_S4_diiiiiiib
	.p2align	8
	.type	_ZN5aiter24add_rmsnorm_quant_kernelItaLi64ELi8ELb0ELb1ELb0ELi1EEEvPT0_PT_PfS4_S4_S4_diiiiiiib,@function
_ZN5aiter24add_rmsnorm_quant_kernelItaLi64ELi8ELb0ELb1ELb0ELi1EEEvPT0_PT_PfS4_S4_S4_diiiiiiib: ; @_ZN5aiter24add_rmsnorm_quant_kernelItaLi64ELi8ELb0ELb1ELb0ELi1EEEvPT0_PT_PfS4_S4_S4_diiiiiiib
; %bb.0:
	s_load_b128 s[4:7], s[0:1], 0x38
	s_mov_b32 s20, s15
	s_mov_b32 s21, 0
	s_waitcnt lgkmcnt(0)
	s_ashr_i32 s3, s4, 31
	s_mov_b32 s2, s4
	s_delay_alu instid0(SALU_CYCLE_1) | instskip(NEXT) | instid1(VALU_DEP_1)
	v_cmp_ge_i64_e64 s2, s[20:21], s[2:3]
	s_and_b32 vcc_lo, exec_lo, s2
	s_cbranch_vccnz .LBB92_44
; %bb.1:
	s_clause 0x1
	s_load_b128 s[8:11], s[0:1], 0x10
	s_load_b128 s[16:19], s[0:1], 0x28
	s_ashr_i32 s2, s6, 31
	s_mul_hi_u32 s3, s6, s20
	s_mul_i32 s7, s2, s20
	s_mul_i32 s2, s6, s20
	s_add_i32 s3, s3, s7
	v_lshlrev_b32_e32 v1, 4, v0
	s_lshl_b64 s[2:3], s[2:3], 1
	s_mov_b32 s15, -1
	v_and_b32_e32 v15, 31, v0
	s_mov_b32 s27, s15
	s_waitcnt lgkmcnt(0)
	s_add_u32 s12, s10, s2
	s_addc_u32 s2, s11, s3
	s_add_i32 s3, s5, 1
	s_and_b32 s13, s2, 0xffff
	s_lshr_b32 s6, s3, 31
	s_mov_b32 s24, s16
	s_add_i32 s3, s3, s6
	s_and_b32 s25, s17, 0xffff
	s_lshl_b32 s3, s3, 1
	v_cmp_eq_u32_e64 s2, 31, v15
	s_and_b32 s14, s3, -4
	buffer_load_b128 v[10:13], v1, s[12:15], 0 offen glc slc
	s_mov_b32 s26, s14
	s_waitcnt vmcnt(0)
	v_lshrrev_b32_e32 v5, 16, v10
	v_and_b32_e32 v6, 0xffff, v10
	v_lshrrev_b32_e32 v10, 16, v11
	v_lshrrev_b32_e32 v14, 16, v13
	s_delay_alu instid0(VALU_DEP_4) | instskip(NEXT) | instid1(VALU_DEP_4)
	v_cvt_f32_u32_e32 v7, v5
	v_cvt_f32_u32_e32 v8, v6
	s_delay_alu instid0(VALU_DEP_4) | instskip(NEXT) | instid1(VALU_DEP_4)
	v_cvt_f32_u32_e32 v10, v10
	v_cvt_f32_u32_e32 v14, v14
	s_delay_alu instid0(VALU_DEP_4) | instskip(SKIP_2) | instid1(VALU_DEP_1)
	v_mul_f32_e32 v6, v7, v7
	buffer_load_b128 v[1:4], v1, s[24:27], 0 offen
	v_dual_fmac_f32 v6, v8, v8 :: v_dual_and_b32 v5, 0xffff, v11
	v_cvt_f32_u32_e32 v9, v5
	v_and_b32_e32 v5, 0xffff, v12
	v_lshrrev_b32_e32 v12, 16, v12
	s_delay_alu instid0(VALU_DEP_3) | instskip(NEXT) | instid1(VALU_DEP_3)
	v_fmac_f32_e32 v6, v9, v9
	v_cvt_f32_u32_e32 v11, v5
	v_and_b32_e32 v5, 0xffff, v13
	s_delay_alu instid0(VALU_DEP_4) | instskip(NEXT) | instid1(VALU_DEP_4)
	v_cvt_f32_u32_e32 v12, v12
	v_fmac_f32_e32 v6, v10, v10
	s_delay_alu instid0(VALU_DEP_3) | instskip(NEXT) | instid1(VALU_DEP_2)
	v_cvt_f32_u32_e32 v13, v5
	v_fmac_f32_e32 v6, v11, v11
	s_delay_alu instid0(VALU_DEP_1) | instskip(NEXT) | instid1(VALU_DEP_1)
	v_fmac_f32_e32 v6, v12, v12
	v_fmac_f32_e32 v6, v13, v13
	s_delay_alu instid0(VALU_DEP_1) | instskip(NEXT) | instid1(VALU_DEP_1)
	v_fmac_f32_e32 v6, v14, v14
	v_mov_b32_dpp v5, v6 quad_perm:[1,0,3,2] row_mask:0xf bank_mask:0xf
	s_delay_alu instid0(VALU_DEP_1) | instskip(NEXT) | instid1(VALU_DEP_1)
	v_add_f32_e32 v5, v6, v5
	v_mov_b32_dpp v6, v5 quad_perm:[2,3,0,1] row_mask:0xf bank_mask:0xf
	s_delay_alu instid0(VALU_DEP_1) | instskip(NEXT) | instid1(VALU_DEP_1)
	v_add_f32_e32 v5, v5, v6
	v_mov_b32_dpp v6, v5 row_xmask:7 row_mask:0xf bank_mask:0xf
	s_delay_alu instid0(VALU_DEP_1) | instskip(NEXT) | instid1(VALU_DEP_1)
	v_add_f32_e32 v5, v5, v6
	v_mov_b32_dpp v6, v5 row_xmask:15 row_mask:0xf bank_mask:0xf
	s_and_saveexec_b32 s3, s2
	s_cbranch_execz .LBB92_3
; %bb.2:
	s_delay_alu instid0(VALU_DEP_1) | instskip(SKIP_2) | instid1(VALU_DEP_2)
	v_add_f32_e32 v5, v5, v6
	s_mov_b32 s6, 0x76543210
	v_lshrrev_b32_e32 v6, 3, v0
	v_permlanex16_b32 v15, v5, s6, 0xfedcba98 op_sel:[1,1]
	s_delay_alu instid0(VALU_DEP_1)
	v_dual_add_f32 v5, v5, v15 :: v_dual_and_b32 v6, 0x7c, v6
	ds_store_b32 v6, v5 offset:8
.LBB92_3:
	s_or_b32 exec_lo, exec_lo, s3
	v_and_b32_e32 v5, 1, v0
	s_waitcnt vmcnt(0) lgkmcnt(0)
	s_barrier
	buffer_gl0_inv
	v_cvt_f32_i32_e32 v16, s5
	v_lshlrev_b32_e32 v6, 2, v5
	ds_load_b32 v5, v6 offset:8
	s_clause 0x1
	s_load_b64 s[6:7], s[0:1], 0x4c
	s_load_b32 s10, s[0:1], 0x54
	s_waitcnt lgkmcnt(0)
	s_cmp_lg_u32 s7, 0
	v_mov_b32_dpp v15, v5 quad_perm:[1,0,3,2] row_mask:0xf bank_mask:0xf
	s_delay_alu instid0(VALU_DEP_1) | instskip(NEXT) | instid1(VALU_DEP_1)
	v_add_f32_e32 v5, v5, v15
	v_div_scale_f32 v15, null, v16, v16, v5
	v_div_scale_f32 v19, vcc_lo, v5, v16, v5
	s_delay_alu instid0(VALU_DEP_2) | instskip(SKIP_2) | instid1(VALU_DEP_1)
	v_rcp_f32_e32 v17, v15
	s_waitcnt_depctr 0xfff
	v_fma_f32 v18, -v15, v17, 1.0
	v_fmac_f32_e32 v17, v18, v17
	s_delay_alu instid0(VALU_DEP_1) | instskip(NEXT) | instid1(VALU_DEP_1)
	v_mul_f32_e32 v18, v19, v17
	v_fma_f32 v20, -v15, v18, v19
	s_delay_alu instid0(VALU_DEP_1) | instskip(SKIP_1) | instid1(VALU_DEP_2)
	v_fmac_f32_e32 v18, v20, v17
	v_mov_b32_e32 v20, 0x2edbe6ff
	v_fma_f32 v15, -v15, v18, v19
	s_delay_alu instid0(VALU_DEP_1) | instskip(SKIP_2) | instid1(VALU_DEP_3)
	v_div_fmas_f32 v15, v15, v17, v18
	v_and_b32_e32 v18, 0xffff, v3
	v_lshrrev_b32_e32 v3, 16, v3
	v_div_fixup_f32 v5, v15, v16, v5
	s_delay_alu instid0(VALU_DEP_3) | instskip(NEXT) | instid1(VALU_DEP_3)
	v_cvt_f32_u32_e32 v18, v18
	v_cvt_f32_u32_e32 v3, v3
	s_delay_alu instid0(VALU_DEP_3) | instskip(NEXT) | instid1(VALU_DEP_1)
	v_cvt_f64_f32_e32 v[15:16], v5
	v_add_f64 v[15:16], v[15:16], s[18:19]
	s_delay_alu instid0(VALU_DEP_1) | instskip(SKIP_2) | instid1(VALU_DEP_2)
	v_cvt_f32_f64_e32 v5, v[15:16]
	v_and_b32_e32 v16, 0xffff, v1
	v_lshrrev_b32_e32 v1, 16, v1
	v_cvt_f32_u32_e32 v16, v16
	s_delay_alu instid0(VALU_DEP_2) | instskip(SKIP_2) | instid1(VALU_DEP_2)
	v_cvt_f32_u32_e32 v1, v1
	v_mul_f32_e32 v15, 0x4b800000, v5
	v_cmp_gt_f32_e32 vcc_lo, 0x800000, v5
	v_cndmask_b32_e32 v15, v5, v15, vcc_lo
	v_lshlrev_b32_e32 v5, 3, v0
	s_delay_alu instid0(VALU_DEP_2) | instskip(SKIP_2) | instid1(VALU_DEP_1)
	v_rsq_f32_e32 v15, v15
	s_waitcnt_depctr 0xfff
	v_mul_f32_e32 v21, 0x45800000, v15
	v_cndmask_b32_e32 v15, v15, v21, vcc_lo
	v_and_b32_e32 v17, 0xffff, v2
	v_lshrrev_b32_e32 v2, 16, v2
	v_and_b32_e32 v19, 0xffff, v4
	v_lshrrev_b32_e32 v4, 16, v4
	v_mul_f32_e32 v10, v15, v10
	s_delay_alu instid0(VALU_DEP_4) | instskip(NEXT) | instid1(VALU_DEP_4)
	v_cvt_f32_u32_e32 v2, v2
	v_cvt_f32_u32_e32 v19, v19
	s_delay_alu instid0(VALU_DEP_4) | instskip(NEXT) | instid1(VALU_DEP_3)
	v_cvt_f32_u32_e32 v4, v4
	v_mul_f32_e32 v10, v10, v2
	v_mul_f32_e32 v8, v15, v8
	;; [unrolled: 1-line block ×3, first 2 shown]
	v_cvt_f32_u32_e32 v17, v17
	v_mul_f32_e32 v7, v15, v7
	s_delay_alu instid0(VALU_DEP_4) | instskip(NEXT) | instid1(VALU_DEP_4)
	v_dual_mul_f32 v9, v15, v9 :: v_dual_mul_f32 v12, v8, v16
	v_mul_f32_e32 v8, v22, v3
	s_delay_alu instid0(VALU_DEP_2) | instskip(SKIP_1) | instid1(VALU_DEP_2)
	v_dual_mul_f32 v14, v15, v14 :: v_dual_mul_f32 v9, v9, v17
	v_mul_f32_e32 v21, v15, v11
	v_dual_mul_f32 v11, v7, v1 :: v_dual_mul_f32 v4, v14, v4
	v_dual_mul_f32 v13, v15, v13 :: v_dual_and_b32 v14, 0x7fffffff, v10
	s_delay_alu instid0(VALU_DEP_3) | instskip(NEXT) | instid1(VALU_DEP_3)
	v_dual_mul_f32 v7, v21, v18 :: v_dual_and_b32 v16, 0x7fffffff, v8
	v_and_b32_e32 v2, 0x7fffffff, v11
	v_and_b32_e32 v1, 0x7fffffff, v12
	s_delay_alu instid0(VALU_DEP_4)
	v_dual_mul_f32 v3, v13, v19 :: v_dual_and_b32 v18, 0x7fffffff, v4
	;;#ASMSTART
	v_max3_f32 v1, v20, v1, v2

	;;#ASMEND
	v_and_b32_e32 v13, 0x7fffffff, v9
	;;#ASMSTART
	v_max3_f32 v1, v1, v13, v14

	;;#ASMEND
	v_and_b32_e32 v15, 0x7fffffff, v7
	v_and_b32_e32 v17, 0x7fffffff, v3
	;;#ASMSTART
	v_max3_f32 v1, v1, v15, v16

	;;#ASMEND
	;;#ASMSTART
	v_max3_f32 v13, v1, v17, v18

	;;#ASMEND
	s_cbranch_scc0 .LBB92_10
; %bb.4:
	s_ashr_i32 s11, s7, 31
	s_delay_alu instid0(SALU_CYCLE_1) | instskip(NEXT) | instid1(SALU_CYCLE_1)
	s_lshr_b32 s3, s11, 29
	s_add_i32 s3, s7, s3
	s_delay_alu instid0(SALU_CYCLE_1) | instskip(NEXT) | instid1(SALU_CYCLE_1)
	s_ashr_i32 s3, s3, 3
	s_cmp_lt_i32 s3, 8
	s_cbranch_scc1 .LBB92_11
; %bb.5:
	s_cmp_lt_i32 s3, 16
	s_cbranch_scc1 .LBB92_12
; %bb.6:
	;; [unrolled: 3-line block ×3, first 2 shown]
	v_mov_b32_e32 v1, v13
	s_cmp_eq_u32 s3, 32
	s_cbranch_scc0 .LBB92_9
; %bb.8:
	s_delay_alu instid0(VALU_DEP_1) | instskip(SKIP_1) | instid1(VALU_DEP_1)
	v_mov_b32_dpp v1, v13 quad_perm:[1,0,3,2] row_mask:0xf bank_mask:0xf
	s_mov_b32 s12, 0x76543210
	v_cmp_gt_f32_e32 vcc_lo, v13, v1
	v_cndmask_b32_e32 v1, v1, v13, vcc_lo
	s_delay_alu instid0(VALU_DEP_1) | instskip(NEXT) | instid1(VALU_DEP_1)
	v_mov_b32_dpp v2, v1 quad_perm:[2,3,0,1] row_mask:0xf bank_mask:0xf
	v_cmp_gt_f32_e32 vcc_lo, v1, v2
	v_cndmask_b32_e32 v1, v2, v1, vcc_lo
	s_delay_alu instid0(VALU_DEP_1) | instskip(NEXT) | instid1(VALU_DEP_1)
	v_mov_b32_dpp v2, v1 row_xmask:7 row_mask:0xf bank_mask:0xf
	v_cmp_gt_f32_e32 vcc_lo, v1, v2
	v_cndmask_b32_e32 v1, v2, v1, vcc_lo
	s_delay_alu instid0(VALU_DEP_1) | instskip(NEXT) | instid1(VALU_DEP_1)
	v_mov_b32_dpp v2, v1 row_xmask:15 row_mask:0xf bank_mask:0xf
	v_cmp_gt_f32_e32 vcc_lo, v1, v2
	v_cndmask_b32_e32 v1, v2, v1, vcc_lo
	s_delay_alu instid0(VALU_DEP_1) | instskip(NEXT) | instid1(VALU_DEP_1)
	v_permlanex16_b32 v2, v1, s12, 0xfedcba98 op_sel:[1,1]
	v_cmp_gt_f32_e32 vcc_lo, v1, v2
	v_cndmask_b32_e32 v1, v2, v1, vcc_lo
.LBB92_9:
	s_mov_b32 s12, 0
	s_branch .LBB92_14
.LBB92_10:
	s_mov_b32 s3, 0
                                        ; implicit-def: $vgpr14
                                        ; implicit-def: $vgpr1_vgpr2
	s_and_b32 vcc_lo, exec_lo, s15
	s_cbranch_vccnz .LBB92_38
	s_branch .LBB92_41
.LBB92_11:
                                        ; implicit-def: $vgpr1
	s_branch .LBB92_21
.LBB92_12:
                                        ; implicit-def: $vgpr1
	s_branch .LBB92_18
.LBB92_13:
	s_mov_b32 s12, -1
                                        ; implicit-def: $vgpr1
.LBB92_14:
	s_delay_alu instid0(SALU_CYCLE_1)
	s_and_not1_b32 vcc_lo, exec_lo, s12
	s_cbranch_vccnz .LBB92_17
; %bb.15:
	v_mov_b32_e32 v1, v13
	s_cmp_eq_u32 s3, 16
	s_cbranch_scc0 .LBB92_17
; %bb.16:
	s_delay_alu instid0(VALU_DEP_1) | instskip(NEXT) | instid1(VALU_DEP_1)
	v_mov_b32_dpp v1, v13 quad_perm:[1,0,3,2] row_mask:0xf bank_mask:0xf
	v_cmp_gt_f32_e32 vcc_lo, v13, v1
	v_cndmask_b32_e32 v1, v1, v13, vcc_lo
	s_delay_alu instid0(VALU_DEP_1) | instskip(NEXT) | instid1(VALU_DEP_1)
	v_mov_b32_dpp v2, v1 quad_perm:[2,3,0,1] row_mask:0xf bank_mask:0xf
	v_cmp_gt_f32_e32 vcc_lo, v1, v2
	v_cndmask_b32_e32 v1, v2, v1, vcc_lo
	s_delay_alu instid0(VALU_DEP_1) | instskip(NEXT) | instid1(VALU_DEP_1)
	v_mov_b32_dpp v2, v1 row_half_mirror row_mask:0xf bank_mask:0xf
	v_cmp_gt_f32_e32 vcc_lo, v1, v2
	v_cndmask_b32_e32 v1, v2, v1, vcc_lo
	s_delay_alu instid0(VALU_DEP_1) | instskip(NEXT) | instid1(VALU_DEP_1)
	v_mov_b32_dpp v2, v1 row_mirror row_mask:0xf bank_mask:0xf
	v_cmp_gt_f32_e32 vcc_lo, v1, v2
	v_cndmask_b32_e32 v1, v2, v1, vcc_lo
.LBB92_17:
	s_cbranch_execnz .LBB92_20
.LBB92_18:
	v_mov_b32_e32 v1, v13
	s_cmp_eq_u32 s3, 8
	s_cbranch_scc0 .LBB92_20
; %bb.19:
	s_delay_alu instid0(VALU_DEP_1) | instskip(NEXT) | instid1(VALU_DEP_1)
	v_mov_b32_dpp v1, v13 quad_perm:[1,0,3,2] row_mask:0xf bank_mask:0xf
	v_cmp_gt_f32_e32 vcc_lo, v13, v1
	v_cndmask_b32_e32 v1, v1, v13, vcc_lo
	s_delay_alu instid0(VALU_DEP_1) | instskip(NEXT) | instid1(VALU_DEP_1)
	v_mov_b32_dpp v2, v1 quad_perm:[2,3,0,1] row_mask:0xf bank_mask:0xf
	v_cmp_gt_f32_e32 vcc_lo, v1, v2
	v_cndmask_b32_e32 v1, v2, v1, vcc_lo
	s_delay_alu instid0(VALU_DEP_1) | instskip(NEXT) | instid1(VALU_DEP_1)
	v_mov_b32_dpp v2, v1 row_half_mirror row_mask:0xf bank_mask:0xf
	v_cmp_gt_f32_e32 vcc_lo, v1, v2
	v_cndmask_b32_e32 v1, v2, v1, vcc_lo
.LBB92_20:
	s_cbranch_execnz .LBB92_28
.LBB92_21:
	s_cmp_lt_i32 s3, 4
	s_cbranch_scc1 .LBB92_24
; %bb.22:
	v_mov_b32_e32 v1, v13
	s_cmp_eq_u32 s3, 4
	s_cbranch_scc0 .LBB92_25
; %bb.23:
	s_delay_alu instid0(VALU_DEP_1) | instskip(NEXT) | instid1(VALU_DEP_1)
	v_mov_b32_dpp v1, v13 quad_perm:[1,0,3,2] row_mask:0xf bank_mask:0xf
	v_cmp_gt_f32_e32 vcc_lo, v13, v1
	v_cndmask_b32_e32 v1, v1, v13, vcc_lo
	s_delay_alu instid0(VALU_DEP_1) | instskip(NEXT) | instid1(VALU_DEP_1)
	v_mov_b32_dpp v2, v1 quad_perm:[2,3,0,1] row_mask:0xf bank_mask:0xf
	v_cmp_gt_f32_e32 vcc_lo, v1, v2
	v_cndmask_b32_e32 v1, v2, v1, vcc_lo
	s_cbranch_execz .LBB92_26
	s_branch .LBB92_28
.LBB92_24:
                                        ; implicit-def: $vgpr1
	s_branch .LBB92_26
.LBB92_25:
	s_cbranch_execnz .LBB92_28
.LBB92_26:
	v_mov_b32_e32 v1, v13
	s_cmp_lg_u32 s3, 2
	s_cbranch_scc1 .LBB92_28
; %bb.27:
	s_delay_alu instid0(VALU_DEP_1) | instskip(NEXT) | instid1(VALU_DEP_1)
	v_mov_b32_dpp v1, v13 quad_perm:[1,0,3,2] row_mask:0xf bank_mask:0xf
	v_cmp_gt_f32_e32 vcc_lo, v13, v1
	v_cndmask_b32_e32 v1, v1, v13, vcc_lo
.LBB92_28:
	v_cvt_f32_u32_e32 v2, s3
	s_sub_i32 s12, 0, s3
	s_mov_b32 s15, 0
	s_delay_alu instid0(VALU_DEP_1) | instskip(SKIP_2) | instid1(VALU_DEP_1)
	v_rcp_iflag_f32_e32 v2, v2
	s_waitcnt_depctr 0xfff
	v_mul_f32_e32 v2, 0x4f7ffffe, v2
	v_cvt_u32_f32_e32 v2, v2
	s_delay_alu instid0(VALU_DEP_1) | instskip(NEXT) | instid1(VALU_DEP_1)
	v_mul_lo_u32 v14, s12, v2
	v_mul_hi_u32 v14, v2, v14
	s_delay_alu instid0(VALU_DEP_1) | instskip(NEXT) | instid1(VALU_DEP_1)
	v_add_nc_u32_e32 v2, v2, v14
	v_mul_hi_u32 v2, v0, v2
	s_delay_alu instid0(VALU_DEP_1) | instskip(NEXT) | instid1(VALU_DEP_1)
	v_mul_lo_u32 v14, v2, s3
	v_sub_nc_u32_e32 v14, v0, v14
	s_delay_alu instid0(VALU_DEP_1) | instskip(SKIP_1) | instid1(VALU_DEP_2)
	v_subrev_nc_u32_e32 v16, s3, v14
	v_cmp_le_u32_e32 vcc_lo, s3, v14
	v_dual_cndmask_b32 v14, v14, v16 :: v_dual_add_nc_u32 v15, 1, v2
	s_delay_alu instid0(VALU_DEP_1) | instskip(NEXT) | instid1(VALU_DEP_2)
	v_cndmask_b32_e32 v2, v2, v15, vcc_lo
	v_cmp_le_u32_e32 vcc_lo, s3, v14
	s_delay_alu instid0(VALU_DEP_2) | instskip(NEXT) | instid1(VALU_DEP_1)
	v_dual_mul_f32 v14, 0x3c010204, v1 :: v_dual_add_nc_u32 v15, 1, v2
	v_cndmask_b32_e32 v15, v2, v15, vcc_lo
	v_cmp_gt_u32_e32 vcc_lo, s5, v5
	s_delay_alu instid0(VALU_DEP_2) | instskip(NEXT) | instid1(VALU_DEP_1)
	v_mul_lo_u32 v2, v15, s3
	v_sub_nc_u32_e32 v2, v0, v2
	s_delay_alu instid0(VALU_DEP_1) | instskip(NEXT) | instid1(VALU_DEP_1)
	v_cmp_eq_u32_e64 s3, 0, v2
                                        ; implicit-def: $vgpr1_vgpr2
	s_and_b32 s12, s3, vcc_lo
	s_mov_b32 s3, 0
	s_and_saveexec_b32 s13, s12
	s_delay_alu instid0(SALU_CYCLE_1)
	s_xor_b32 s14, exec_lo, s13
	s_cbranch_execz .LBB92_37
; %bb.29:
	s_bitcmp0_b32 s10, 0
	s_mov_b32 s16, 0
	s_cbranch_scc0 .LBB92_34
; %bb.30:
	s_ashr_i32 s3, s5, 31
	s_mul_hi_u32 s10, s5, s20
	s_mul_i32 s3, s3, s20
	s_mul_i32 s12, s5, s20
	s_add_i32 s13, s10, s3
	s_mov_b32 s10, s7
	s_delay_alu instid0(SALU_CYCLE_1) | instskip(NEXT) | instid1(SALU_CYCLE_1)
	s_or_b64 s[18:19], s[12:13], s[10:11]
	s_mov_b32 s17, s19
	s_delay_alu instid0(SALU_CYCLE_1)
	s_cmp_lg_u64 s[16:17], 0
	s_cbranch_scc0 .LBB92_45
; %bb.31:
	s_add_u32 s18, s10, s11
	s_mov_b32 s16, s11
	s_mov_b32 s17, s11
	s_addc_u32 s19, s11, s11
	s_delay_alu instid0(SALU_CYCLE_1) | instskip(NEXT) | instid1(SALU_CYCLE_1)
	s_xor_b64 s[18:19], s[18:19], s[16:17]
	v_cvt_f32_u32_e32 v1, s18
	v_cvt_f32_u32_e32 v2, s19
	s_sub_u32 s11, 0, s18
	s_subb_u32 s22, 0, s19
	s_delay_alu instid0(VALU_DEP_1) | instskip(NEXT) | instid1(VALU_DEP_1)
	v_fmamk_f32 v1, v2, 0x4f800000, v1
	v_rcp_f32_e32 v1, v1
	s_waitcnt_depctr 0xfff
	v_mul_f32_e32 v1, 0x5f7ffffc, v1
	s_delay_alu instid0(VALU_DEP_1) | instskip(NEXT) | instid1(VALU_DEP_1)
	v_mul_f32_e32 v2, 0x2f800000, v1
	v_trunc_f32_e32 v2, v2
	s_delay_alu instid0(VALU_DEP_1) | instskip(SKIP_1) | instid1(VALU_DEP_2)
	v_fmamk_f32 v1, v2, 0xcf800000, v1
	v_cvt_u32_f32_e32 v2, v2
	v_cvt_u32_f32_e32 v1, v1
	s_delay_alu instid0(VALU_DEP_2) | instskip(NEXT) | instid1(VALU_DEP_2)
	v_readfirstlane_b32 s3, v2
	v_readfirstlane_b32 s7, v1
	s_delay_alu instid0(VALU_DEP_2) | instskip(NEXT) | instid1(VALU_DEP_1)
	s_mul_i32 s23, s11, s3
	s_mul_hi_u32 s25, s11, s7
	s_mul_i32 s24, s22, s7
	s_add_i32 s23, s25, s23
	s_mul_i32 s26, s11, s7
	s_add_i32 s23, s23, s24
	s_mul_hi_u32 s25, s7, s26
	s_mul_hi_u32 s27, s3, s26
	s_mul_i32 s24, s3, s26
	s_mul_hi_u32 s26, s7, s23
	s_mul_i32 s7, s7, s23
	s_mul_hi_u32 s28, s3, s23
	s_add_u32 s7, s25, s7
	s_addc_u32 s25, 0, s26
	s_add_u32 s7, s7, s24
	s_mul_i32 s23, s3, s23
	s_addc_u32 s7, s25, s27
	s_addc_u32 s24, s28, 0
	s_add_u32 s7, s7, s23
	s_addc_u32 s23, 0, s24
	v_add_co_u32 v1, s7, v1, s7
	s_delay_alu instid0(VALU_DEP_1) | instskip(SKIP_1) | instid1(VALU_DEP_1)
	s_cmp_lg_u32 s7, 0
	s_addc_u32 s3, s3, s23
	v_readfirstlane_b32 s7, v1
	s_mul_i32 s23, s11, s3
	s_delay_alu instid0(VALU_DEP_1)
	s_mul_hi_u32 s24, s11, s7
	s_mul_i32 s22, s22, s7
	s_add_i32 s23, s24, s23
	s_mul_i32 s11, s11, s7
	s_add_i32 s23, s23, s22
	s_mul_hi_u32 s24, s3, s11
	s_mul_i32 s25, s3, s11
	s_mul_hi_u32 s11, s7, s11
	s_mul_hi_u32 s26, s7, s23
	s_mul_i32 s7, s7, s23
	s_mul_hi_u32 s22, s3, s23
	s_add_u32 s7, s11, s7
	s_addc_u32 s11, 0, s26
	s_add_u32 s7, s7, s25
	s_mul_i32 s23, s3, s23
	s_addc_u32 s7, s11, s24
	s_addc_u32 s11, s22, 0
	s_add_u32 s7, s7, s23
	s_addc_u32 s11, 0, s11
	v_add_co_u32 v1, s7, v1, s7
	s_delay_alu instid0(VALU_DEP_1) | instskip(SKIP_2) | instid1(VALU_DEP_1)
	s_cmp_lg_u32 s7, 0
	s_addc_u32 s3, s3, s11
	s_ashr_i32 s22, s13, 31
	v_readfirstlane_b32 s7, v1
	s_add_u32 s24, s12, s22
	s_mov_b32 s23, s22
	s_addc_u32 s25, s13, s22
	s_delay_alu instid0(SALU_CYCLE_1) | instskip(NEXT) | instid1(SALU_CYCLE_1)
	s_xor_b64 s[24:25], s[24:25], s[22:23]
	s_mul_i32 s13, s24, s3
	s_mul_hi_u32 s26, s24, s7
	s_mul_hi_u32 s11, s24, s3
	;; [unrolled: 1-line block ×3, first 2 shown]
	s_mul_i32 s7, s25, s7
	s_add_u32 s13, s26, s13
	s_addc_u32 s11, 0, s11
	s_mul_hi_u32 s27, s25, s3
	s_add_u32 s7, s13, s7
	s_mul_i32 s3, s25, s3
	s_addc_u32 s7, s11, s28
	s_addc_u32 s11, s27, 0
	s_add_u32 s7, s7, s3
	s_addc_u32 s11, 0, s11
	s_mul_i32 s27, s18, s7
	s_mul_hi_u32 s3, s18, s7
	s_mul_i32 s26, s18, s11
	v_sub_co_u32 v1, s24, s24, s27
	s_mul_i32 s13, s19, s7
	s_add_i32 s3, s3, s26
	s_delay_alu instid0(SALU_CYCLE_1) | instskip(NEXT) | instid1(VALU_DEP_1)
	s_add_i32 s3, s3, s13
	v_sub_co_u32 v2, s26, v1, s18
	s_sub_i32 s13, s25, s3
	s_cmp_lg_u32 s24, 0
	s_subb_u32 s13, s13, s19
	s_cmp_lg_u32 s26, 0
	v_cmp_le_u32_e32 vcc_lo, s18, v2
	s_subb_u32 s13, s13, 0
	s_delay_alu instid0(SALU_CYCLE_1)
	s_cmp_ge_u32 s13, s19
	v_cndmask_b32_e64 v2, 0, -1, vcc_lo
	s_cselect_b32 s26, -1, 0
	s_cmp_eq_u32 s13, s19
	s_cselect_b32 vcc_lo, -1, 0
	s_add_u32 s13, s7, 1
	v_cndmask_b32_e32 v2, s26, v2, vcc_lo
	s_addc_u32 s26, s11, 0
	s_add_u32 s27, s7, 2
	s_addc_u32 s28, s11, 0
	s_cmp_lg_u32 s24, 0
	v_cmp_le_u32_e32 vcc_lo, s18, v1
	s_subb_u32 s3, s25, s3
	v_mov_b32_e32 v16, s27
	s_cmp_ge_u32 s3, s19
	v_cndmask_b32_e64 v1, 0, -1, vcc_lo
	s_cselect_b32 s18, -1, 0
	s_cmp_eq_u32 s3, s19
	v_cmp_ne_u32_e32 vcc_lo, 0, v2
	v_mov_b32_e32 v2, s28
	s_cselect_b32 s3, -1, 0
	s_xor_b64 s[16:17], s[22:23], s[16:17]
	v_cndmask_b32_e64 v1, s18, v1, s3
	v_cndmask_b32_e32 v16, s13, v16, vcc_lo
	v_cndmask_b32_e32 v2, s26, v2, vcc_lo
	s_delay_alu instid0(VALU_DEP_3) | instskip(NEXT) | instid1(VALU_DEP_2)
	v_cmp_ne_u32_e32 vcc_lo, 0, v1
	v_cndmask_b32_e32 v1, s11, v2, vcc_lo
	s_delay_alu instid0(VALU_DEP_4) | instskip(NEXT) | instid1(VALU_DEP_2)
	v_cndmask_b32_e32 v2, s7, v16, vcc_lo
	v_xor_b32_e32 v16, s17, v1
	s_delay_alu instid0(VALU_DEP_2) | instskip(NEXT) | instid1(VALU_DEP_1)
	v_xor_b32_e32 v2, s16, v2
	v_sub_co_u32 v1, vcc_lo, v2, s16
	s_delay_alu instid0(VALU_DEP_3)
	v_subrev_co_ci_u32_e32 v2, vcc_lo, s17, v16, vcc_lo
	s_cbranch_execnz .LBB92_33
.LBB92_32:
	v_cvt_f32_u32_e32 v1, s10
	s_sub_i32 s7, 0, s10
	s_delay_alu instid0(VALU_DEP_1) | instskip(SKIP_2) | instid1(VALU_DEP_1)
	v_rcp_iflag_f32_e32 v1, v1
	s_waitcnt_depctr 0xfff
	v_mul_f32_e32 v1, 0x4f7ffffe, v1
	v_cvt_u32_f32_e32 v1, v1
	s_delay_alu instid0(VALU_DEP_1) | instskip(NEXT) | instid1(VALU_DEP_1)
	v_readfirstlane_b32 s3, v1
	s_mul_i32 s7, s7, s3
	s_delay_alu instid0(SALU_CYCLE_1) | instskip(NEXT) | instid1(SALU_CYCLE_1)
	s_mul_hi_u32 s7, s3, s7
	s_add_i32 s3, s3, s7
	s_delay_alu instid0(SALU_CYCLE_1) | instskip(NEXT) | instid1(SALU_CYCLE_1)
	s_mul_hi_u32 s3, s12, s3
	s_mul_i32 s7, s3, s10
	s_add_i32 s11, s3, 1
	s_sub_i32 s7, s12, s7
	s_delay_alu instid0(SALU_CYCLE_1)
	s_sub_i32 s12, s7, s10
	s_cmp_ge_u32 s7, s10
	s_cselect_b32 s3, s11, s3
	s_cselect_b32 s7, s12, s7
	s_add_i32 s12, s3, 1
	s_cmp_ge_u32 s7, s10
	s_mov_b32 s11, 0
	s_cselect_b32 s10, s12, s3
	s_delay_alu instid0(SALU_CYCLE_1)
	v_dual_mov_b32 v1, s10 :: v_dual_mov_b32 v2, s11
.LBB92_33:
	s_delay_alu instid0(VALU_DEP_1) | instskip(NEXT) | instid1(VALU_DEP_2)
	v_add_co_u32 v1, vcc_lo, v1, v15
	v_add_co_ci_u32_e32 v2, vcc_lo, 0, v2, vcc_lo
	s_branch .LBB92_36
.LBB92_34:
                                        ; implicit-def: $vgpr1_vgpr2
	s_cbranch_execz .LBB92_36
; %bb.35:
	v_mul_lo_u32 v1, v15, s4
	s_delay_alu instid0(VALU_DEP_1) | instskip(SKIP_1) | instid1(VALU_DEP_2)
	v_ashrrev_i32_e32 v2, 31, v1
	v_add_co_u32 v1, vcc_lo, v1, s20
	v_add_co_ci_u32_e32 v2, vcc_lo, 0, v2, vcc_lo
.LBB92_36:
	s_mov_b32 s3, exec_lo
.LBB92_37:
	s_or_b32 exec_lo, exec_lo, s14
	s_delay_alu instid0(SALU_CYCLE_1)
	s_and_b32 vcc_lo, exec_lo, s15
	s_cbranch_vccz .LBB92_41
.LBB92_38:
	v_mov_b32_dpp v1, v13 quad_perm:[1,0,3,2] row_mask:0xf bank_mask:0xf
	s_delay_alu instid0(VALU_DEP_1) | instskip(SKIP_1) | instid1(VALU_DEP_1)
	v_cmp_gt_f32_e32 vcc_lo, v13, v1
	v_cndmask_b32_e32 v1, v1, v13, vcc_lo
	v_mov_b32_dpp v2, v1 quad_perm:[2,3,0,1] row_mask:0xf bank_mask:0xf
	s_delay_alu instid0(VALU_DEP_1) | instskip(SKIP_1) | instid1(VALU_DEP_1)
	v_cmp_gt_f32_e32 vcc_lo, v1, v2
	v_cndmask_b32_e32 v1, v2, v1, vcc_lo
	v_mov_b32_dpp v2, v1 row_xmask:7 row_mask:0xf bank_mask:0xf
	s_delay_alu instid0(VALU_DEP_1) | instskip(SKIP_1) | instid1(VALU_DEP_1)
	v_cmp_gt_f32_e32 vcc_lo, v1, v2
	v_cndmask_b32_e32 v1, v2, v1, vcc_lo
	v_mov_b32_dpp v2, v1 row_xmask:15 row_mask:0xf bank_mask:0xf
	s_delay_alu instid0(VALU_DEP_1)
	v_cmp_gt_f32_e32 vcc_lo, v1, v2
	s_and_saveexec_b32 s3, s2
	s_cbranch_execz .LBB92_40
; %bb.39:
	v_cndmask_b32_e32 v1, v2, v1, vcc_lo
	v_lshrrev_b32_e32 v2, 3, v0
	s_mov_b32 s2, 0x76543210
	s_delay_alu instid0(VALU_DEP_1) | instskip(NEXT) | instid1(VALU_DEP_3)
	v_and_b32_e32 v2, 0x7c, v2
	v_permlanex16_b32 v13, v1, s2, 0xfedcba98 op_sel:[1,1]
	s_delay_alu instid0(VALU_DEP_1)
	v_cmp_gt_f32_e32 vcc_lo, v1, v13
	v_cndmask_b32_e32 v1, v13, v1, vcc_lo
	ds_store_b32 v2, v1
.LBB92_40:
	s_or_b32 exec_lo, exec_lo, s3
	s_waitcnt lgkmcnt(0)
	s_barrier
	buffer_gl0_inv
	ds_load_b32 v1, v6
	v_cmp_eq_u32_e64 s3, 0, v0
	s_waitcnt lgkmcnt(0)
	v_mov_b32_dpp v2, v1 quad_perm:[1,0,3,2] row_mask:0xf bank_mask:0xf
	s_delay_alu instid0(VALU_DEP_1) | instskip(SKIP_1) | instid1(VALU_DEP_1)
	v_cmp_gt_f32_e32 vcc_lo, v1, v2
	v_cndmask_b32_e32 v1, v2, v1, vcc_lo
	v_dual_mul_f32 v14, 0x3c010204, v1 :: v_dual_mov_b32 v1, s20
	v_mov_b32_e32 v2, s21
.LBB92_41:
	s_and_saveexec_b32 s2, s3
	s_cbranch_execz .LBB92_43
; %bb.42:
	s_delay_alu instid0(VALU_DEP_1) | instskip(NEXT) | instid1(VALU_DEP_1)
	v_lshlrev_b64 v[0:1], 2, v[1:2]
	v_add_co_u32 v0, vcc_lo, s8, v0
	s_delay_alu instid0(VALU_DEP_2)
	v_add_co_ci_u32_e32 v1, vcc_lo, s9, v1, vcc_lo
	global_store_b32 v[0:1], v14, off
.LBB92_43:
	s_or_b32 exec_lo, exec_lo, s2
	;;#ASMSTART
	v_rcp_f32 v0, v14
	;;#ASMEND
	v_mul_f32_e32 v7, v7, v0
	v_mul_f32_e32 v1, v12, v0
	;; [unrolled: 1-line block ×4, first 2 shown]
	s_load_b64 s[0:1], s[0:1], 0x0
	v_cvt_i32_f32_e32 v7, v7
	v_mul_f32_e32 v2, v11, v0
	v_cvt_i32_f32_e32 v1, v1
	v_mul_f32_e32 v6, v9, v0
	v_cvt_i32_f32_e32 v4, v4
	v_and_b32_e32 v7, 0xff, v7
	v_cvt_i32_f32_e32 v2, v2
	v_and_b32_e32 v1, 0xff, v1
	s_add_i32 s2, s5, 3
	v_lshlrev_b16 v4, 8, v4
	s_ashr_i32 s3, s2, 31
	v_lshlrev_b16 v2, 8, v2
	s_lshr_b32 s3, s3, 30
	s_mul_hi_u32 s4, s6, s20
	s_add_i32 s2, s2, s3
	s_ashr_i32 s3, s6, 31
	v_or_b32_e32 v1, v1, v2
	v_mul_f32_e32 v9, v10, v0
	v_mul_f32_e32 v0, v3, v0
	v_cvt_i32_f32_e32 v3, v6
	s_mul_i32 s3, s3, s20
	s_mul_i32 s5, s6, s20
	s_and_b32 s2, s2, -4
	v_cvt_i32_f32_e32 v0, v0
	v_and_b32_e32 v3, 0xff, v3
	v_cvt_i32_f32_e32 v6, v8
	s_add_i32 s4, s4, s3
	s_waitcnt lgkmcnt(0)
	s_add_u32 s0, s0, s5
	v_and_b32_e32 v0, 0xff, v0
	s_addc_u32 s1, s1, s4
	v_lshlrev_b16 v6, 8, v6
	s_and_b32 s1, s1, 0xffff
	s_mov_b32 s3, -1
	v_or_b32_e32 v0, v0, v4
	v_and_b32_e32 v4, 0xffff, v1
	v_cvt_i32_f32_e32 v8, v9
	v_or_b32_e32 v6, v7, v6
	s_delay_alu instid0(VALU_DEP_4) | instskip(NEXT) | instid1(VALU_DEP_3)
	v_lshlrev_b32_e32 v0, 16, v0
	v_lshlrev_b16 v8, 8, v8
	s_delay_alu instid0(VALU_DEP_1) | instskip(NEXT) | instid1(VALU_DEP_4)
	v_or_b32_e32 v2, v3, v8
	v_and_b32_e32 v3, 0xffff, v6
	s_delay_alu instid0(VALU_DEP_2) | instskip(NEXT) | instid1(VALU_DEP_2)
	v_lshlrev_b32_e32 v2, 16, v2
	v_or_b32_e32 v1, v3, v0
	s_delay_alu instid0(VALU_DEP_2)
	v_or_b32_e32 v0, v4, v2
	buffer_store_b64 v[0:1], v5, s[0:3], 0 offen
	;;#ASMSTART
	s_nop 0
	;;#ASMEND
.LBB92_44:
	s_nop 0
	s_sendmsg sendmsg(MSG_DEALLOC_VGPRS)
	s_endpgm
.LBB92_45:
                                        ; implicit-def: $vgpr1_vgpr2
	s_branch .LBB92_32
	.section	.rodata,"a",@progbits
	.p2align	6, 0x0
	.amdhsa_kernel _ZN5aiter24add_rmsnorm_quant_kernelItaLi64ELi8ELb0ELb1ELb0ELi1EEEvPT0_PT_PfS4_S4_S4_diiiiiiib
		.amdhsa_group_segment_fixed_size 16
		.amdhsa_private_segment_fixed_size 0
		.amdhsa_kernarg_size 88
		.amdhsa_user_sgpr_count 15
		.amdhsa_user_sgpr_dispatch_ptr 0
		.amdhsa_user_sgpr_queue_ptr 0
		.amdhsa_user_sgpr_kernarg_segment_ptr 1
		.amdhsa_user_sgpr_dispatch_id 0
		.amdhsa_user_sgpr_private_segment_size 0
		.amdhsa_wavefront_size32 1
		.amdhsa_uses_dynamic_stack 0
		.amdhsa_enable_private_segment 0
		.amdhsa_system_sgpr_workgroup_id_x 1
		.amdhsa_system_sgpr_workgroup_id_y 0
		.amdhsa_system_sgpr_workgroup_id_z 0
		.amdhsa_system_sgpr_workgroup_info 0
		.amdhsa_system_vgpr_workitem_id 0
		.amdhsa_next_free_vgpr 23
		.amdhsa_next_free_sgpr 29
		.amdhsa_reserve_vcc 1
		.amdhsa_float_round_mode_32 0
		.amdhsa_float_round_mode_16_64 0
		.amdhsa_float_denorm_mode_32 3
		.amdhsa_float_denorm_mode_16_64 3
		.amdhsa_dx10_clamp 1
		.amdhsa_ieee_mode 1
		.amdhsa_fp16_overflow 0
		.amdhsa_workgroup_processor_mode 1
		.amdhsa_memory_ordered 1
		.amdhsa_forward_progress 0
		.amdhsa_shared_vgpr_count 0
		.amdhsa_exception_fp_ieee_invalid_op 0
		.amdhsa_exception_fp_denorm_src 0
		.amdhsa_exception_fp_ieee_div_zero 0
		.amdhsa_exception_fp_ieee_overflow 0
		.amdhsa_exception_fp_ieee_underflow 0
		.amdhsa_exception_fp_ieee_inexact 0
		.amdhsa_exception_int_div_zero 0
	.end_amdhsa_kernel
	.section	.text._ZN5aiter24add_rmsnorm_quant_kernelItaLi64ELi8ELb0ELb1ELb0ELi1EEEvPT0_PT_PfS4_S4_S4_diiiiiiib,"axG",@progbits,_ZN5aiter24add_rmsnorm_quant_kernelItaLi64ELi8ELb0ELb1ELb0ELi1EEEvPT0_PT_PfS4_S4_S4_diiiiiiib,comdat
.Lfunc_end92:
	.size	_ZN5aiter24add_rmsnorm_quant_kernelItaLi64ELi8ELb0ELb1ELb0ELi1EEEvPT0_PT_PfS4_S4_S4_diiiiiiib, .Lfunc_end92-_ZN5aiter24add_rmsnorm_quant_kernelItaLi64ELi8ELb0ELb1ELb0ELi1EEEvPT0_PT_PfS4_S4_S4_diiiiiiib
                                        ; -- End function
	.section	.AMDGPU.csdata,"",@progbits
; Kernel info:
; codeLenInByte = 3232
; NumSgprs: 31
; NumVgprs: 23
; ScratchSize: 0
; MemoryBound: 0
; FloatMode: 240
; IeeeMode: 1
; LDSByteSize: 16 bytes/workgroup (compile time only)
; SGPRBlocks: 3
; VGPRBlocks: 2
; NumSGPRsForWavesPerEU: 31
; NumVGPRsForWavesPerEU: 23
; Occupancy: 16
; WaveLimiterHint : 0
; COMPUTE_PGM_RSRC2:SCRATCH_EN: 0
; COMPUTE_PGM_RSRC2:USER_SGPR: 15
; COMPUTE_PGM_RSRC2:TRAP_HANDLER: 0
; COMPUTE_PGM_RSRC2:TGID_X_EN: 1
; COMPUTE_PGM_RSRC2:TGID_Y_EN: 0
; COMPUTE_PGM_RSRC2:TGID_Z_EN: 0
; COMPUTE_PGM_RSRC2:TIDIG_COMP_CNT: 0
	.section	.text._ZN5aiter24add_rmsnorm_quant_kernelIDF16_aLi128ELi8ELb0ELb1ELb1ELi1EEEvPT0_PT_PfS4_S4_S4_diiiiiiib,"axG",@progbits,_ZN5aiter24add_rmsnorm_quant_kernelIDF16_aLi128ELi8ELb0ELb1ELb1ELi1EEEvPT0_PT_PfS4_S4_S4_diiiiiiib,comdat
	.protected	_ZN5aiter24add_rmsnorm_quant_kernelIDF16_aLi128ELi8ELb0ELb1ELb1ELi1EEEvPT0_PT_PfS4_S4_S4_diiiiiiib ; -- Begin function _ZN5aiter24add_rmsnorm_quant_kernelIDF16_aLi128ELi8ELb0ELb1ELb1ELi1EEEvPT0_PT_PfS4_S4_S4_diiiiiiib
	.globl	_ZN5aiter24add_rmsnorm_quant_kernelIDF16_aLi128ELi8ELb0ELb1ELb1ELi1EEEvPT0_PT_PfS4_S4_S4_diiiiiiib
	.p2align	8
	.type	_ZN5aiter24add_rmsnorm_quant_kernelIDF16_aLi128ELi8ELb0ELb1ELb1ELi1EEEvPT0_PT_PfS4_S4_S4_diiiiiiib,@function
_ZN5aiter24add_rmsnorm_quant_kernelIDF16_aLi128ELi8ELb0ELb1ELb1ELi1EEEvPT0_PT_PfS4_S4_S4_diiiiiiib: ; @_ZN5aiter24add_rmsnorm_quant_kernelIDF16_aLi128ELi8ELb0ELb1ELb1ELi1EEEvPT0_PT_PfS4_S4_S4_diiiiiiib
; %bb.0:
	s_load_b128 s[4:7], s[0:1], 0x38
	s_mov_b32 s20, s15
	s_mov_b32 s21, 0
	s_waitcnt lgkmcnt(0)
	s_ashr_i32 s3, s4, 31
	s_mov_b32 s2, s4
	s_delay_alu instid0(SALU_CYCLE_1) | instskip(NEXT) | instid1(VALU_DEP_1)
	v_cmp_ge_i64_e64 s2, s[20:21], s[2:3]
	s_and_b32 vcc_lo, exec_lo, s2
	s_cbranch_vccnz .LBB93_44
; %bb.1:
	s_clause 0x1
	s_load_b128 s[8:11], s[0:1], 0x10
	s_load_b128 s[16:19], s[0:1], 0x28
	s_ashr_i32 s2, s6, 31
	s_mul_hi_u32 s3, s6, s20
	s_mul_i32 s7, s2, s20
	s_mul_i32 s2, s6, s20
	s_add_i32 s3, s3, s7
	v_lshlrev_b32_e32 v1, 4, v0
	s_lshl_b64 s[2:3], s[2:3], 1
	s_mov_b32 s15, -1
	v_and_b32_e32 v15, 31, v0
	s_mov_b32 s27, s15
	s_waitcnt lgkmcnt(0)
	s_add_u32 s12, s10, s2
	s_addc_u32 s2, s11, s3
	s_add_i32 s3, s5, 1
	s_and_b32 s13, s2, 0xffff
	s_lshr_b32 s6, s3, 31
	s_mov_b32 s24, s16
	s_add_i32 s3, s3, s6
	s_and_b32 s25, s17, 0xffff
	s_lshl_b32 s3, s3, 1
	v_cmp_eq_u32_e64 s2, 31, v15
	s_and_b32 s14, s3, -4
	buffer_load_b128 v[9:12], v1, s[12:15], 0 offen glc slc
	s_mov_b32 s26, s14
	buffer_load_b128 v[1:4], v1, s[24:27], 0 offen
	s_waitcnt vmcnt(1)
	v_lshrrev_b32_e32 v5, 16, v9
	v_lshrrev_b32_e32 v13, 16, v10
	;; [unrolled: 1-line block ×4, first 2 shown]
	v_cvt_f32_f16_e32 v8, v10
	v_cvt_f32_f16_e32 v7, v5
	;; [unrolled: 1-line block ×4, first 2 shown]
	s_delay_alu instid0(VALU_DEP_3) | instskip(NEXT) | instid1(VALU_DEP_1)
	v_mul_f32_e32 v5, v7, v7
	v_fma_mix_f32 v5, v9, v9, v5 op_sel_hi:[1,1,0]
	v_cvt_f32_f16_e32 v9, v9
	s_delay_alu instid0(VALU_DEP_2) | instskip(NEXT) | instid1(VALU_DEP_1)
	v_fma_mix_f32 v5, v10, v10, v5 op_sel_hi:[1,1,0]
	v_fma_mix_f32 v5, v10, v10, v5 op_sel:[1,1,0] op_sel_hi:[1,1,0]
	v_cvt_f32_f16_e32 v10, v11
	s_delay_alu instid0(VALU_DEP_2) | instskip(NEXT) | instid1(VALU_DEP_1)
	v_fma_mix_f32 v5, v11, v11, v5 op_sel_hi:[1,1,0]
	v_fma_mix_f32 v5, v11, v11, v5 op_sel:[1,1,0] op_sel_hi:[1,1,0]
	;; [unrolled: 4-line block ×3, first 2 shown]
	v_cvt_f32_f16_e32 v12, v17
	s_delay_alu instid0(VALU_DEP_2) | instskip(NEXT) | instid1(VALU_DEP_1)
	v_mov_b32_dpp v6, v5 quad_perm:[1,0,3,2] row_mask:0xf bank_mask:0xf
	v_add_f32_e32 v5, v5, v6
	s_delay_alu instid0(VALU_DEP_1) | instskip(NEXT) | instid1(VALU_DEP_1)
	v_mov_b32_dpp v6, v5 quad_perm:[2,3,0,1] row_mask:0xf bank_mask:0xf
	v_add_f32_e32 v5, v5, v6
	s_delay_alu instid0(VALU_DEP_1) | instskip(NEXT) | instid1(VALU_DEP_1)
	v_mov_b32_dpp v6, v5 row_xmask:7 row_mask:0xf bank_mask:0xf
	v_add_f32_e32 v5, v5, v6
	s_delay_alu instid0(VALU_DEP_1)
	v_mov_b32_dpp v6, v5 row_xmask:15 row_mask:0xf bank_mask:0xf
	s_and_saveexec_b32 s3, s2
	s_cbranch_execz .LBB93_3
; %bb.2:
	s_delay_alu instid0(VALU_DEP_1) | instskip(SKIP_2) | instid1(VALU_DEP_2)
	v_add_f32_e32 v5, v5, v6
	s_mov_b32 s6, 0x76543210
	v_lshrrev_b32_e32 v6, 3, v0
	v_permlanex16_b32 v15, v5, s6, 0xfedcba98 op_sel:[1,1]
	s_delay_alu instid0(VALU_DEP_1)
	v_dual_add_f32 v5, v5, v15 :: v_dual_and_b32 v6, 0x7c, v6
	ds_store_b32 v6, v5 offset:16
.LBB93_3:
	s_or_b32 exec_lo, exec_lo, s3
	v_and_b32_e32 v5, 3, v0
	s_waitcnt vmcnt(0) lgkmcnt(0)
	s_barrier
	buffer_gl0_inv
	v_cvt_f32_i32_e32 v16, s5
	v_lshlrev_b32_e32 v6, 2, v5
	ds_load_b32 v5, v6 offset:16
	s_clause 0x1
	s_load_b64 s[6:7], s[0:1], 0x4c
	s_load_b32 s10, s[0:1], 0x54
	s_waitcnt lgkmcnt(0)
	s_cmp_lg_u32 s7, 0
	v_mov_b32_dpp v15, v5 quad_perm:[1,0,3,2] row_mask:0xf bank_mask:0xf
	s_delay_alu instid0(VALU_DEP_1) | instskip(NEXT) | instid1(VALU_DEP_1)
	v_add_f32_e32 v5, v5, v15
	v_mov_b32_dpp v15, v5 quad_perm:[2,3,0,1] row_mask:0xf bank_mask:0xf
	s_delay_alu instid0(VALU_DEP_1) | instskip(NEXT) | instid1(VALU_DEP_1)
	v_add_f32_e32 v5, v5, v15
	v_div_scale_f32 v15, null, v16, v16, v5
	v_div_scale_f32 v19, vcc_lo, v5, v16, v5
	s_delay_alu instid0(VALU_DEP_2) | instskip(SKIP_2) | instid1(VALU_DEP_1)
	v_rcp_f32_e32 v17, v15
	s_waitcnt_depctr 0xfff
	v_fma_f32 v18, -v15, v17, 1.0
	v_fmac_f32_e32 v17, v18, v17
	s_delay_alu instid0(VALU_DEP_1) | instskip(NEXT) | instid1(VALU_DEP_1)
	v_mul_f32_e32 v18, v19, v17
	v_fma_f32 v20, -v15, v18, v19
	s_delay_alu instid0(VALU_DEP_1) | instskip(SKIP_2) | instid1(VALU_DEP_3)
	v_fmac_f32_e32 v18, v20, v17
	v_cvt_f32_f16_e32 v20, v4
	v_lshrrev_b32_e32 v4, 16, v4
	v_fma_f32 v15, -v15, v18, v19
	s_delay_alu instid0(VALU_DEP_2) | instskip(NEXT) | instid1(VALU_DEP_2)
	v_cvt_f32_f16_e32 v4, v4
	v_div_fmas_f32 v15, v15, v17, v18
	v_cvt_f32_f16_e32 v17, v2
	v_lshrrev_b32_e32 v2, 16, v2
	v_cvt_f32_f16_e32 v18, v3
	v_lshrrev_b32_e32 v3, 16, v3
	v_div_fixup_f32 v5, v15, v16, v5
	s_delay_alu instid0(VALU_DEP_4) | instskip(NEXT) | instid1(VALU_DEP_3)
	v_cvt_f32_f16_e32 v2, v2
	v_cvt_f32_f16_e32 v3, v3
	s_delay_alu instid0(VALU_DEP_3) | instskip(NEXT) | instid1(VALU_DEP_1)
	v_cvt_f64_f32_e32 v[15:16], v5
	v_add_f64 v[15:16], v[15:16], s[18:19]
	s_delay_alu instid0(VALU_DEP_1) | instskip(SKIP_2) | instid1(VALU_DEP_1)
	v_cvt_f32_f64_e32 v5, v[15:16]
	v_cvt_f32_f16_e32 v16, v1
	v_lshrrev_b32_e32 v1, 16, v1
	v_cvt_f32_f16_e32 v1, v1
	s_delay_alu instid0(VALU_DEP_4) | instskip(SKIP_1) | instid1(VALU_DEP_2)
	v_mul_f32_e32 v15, 0x4b800000, v5
	v_cmp_gt_f32_e32 vcc_lo, 0x800000, v5
	v_cndmask_b32_e32 v5, v5, v15, vcc_lo
	s_delay_alu instid0(VALU_DEP_1) | instskip(SKIP_2) | instid1(VALU_DEP_1)
	v_rsq_f32_e32 v15, v5
	s_waitcnt_depctr 0xfff
	v_mul_f32_e32 v19, 0x45800000, v15
	v_cndmask_b32_e32 v15, v15, v19, vcc_lo
	s_delay_alu instid0(VALU_DEP_1) | instskip(SKIP_1) | instid1(VALU_DEP_2)
	v_mul_f32_e32 v14, v15, v14
	v_mul_f32_e32 v19, v15, v10
	;; [unrolled: 1-line block ×3, first 2 shown]
	s_delay_alu instid0(VALU_DEP_1) | instskip(SKIP_3) | instid1(VALU_DEP_4)
	v_dual_mul_f32 v7, v15, v7 :: v_dual_and_b32 v14, 0x7fffffff, v10
	v_dual_mul_f32 v22, v15, v11 :: v_dual_lshlrev_b32 v5, 3, v0
	v_mul_f32_e32 v8, v15, v8
	v_mul_f32_e32 v13, v15, v13
	;; [unrolled: 1-line block ×5, first 2 shown]
	v_mov_b32_e32 v21, 0x2edbe6ff
	s_delay_alu instid0(VALU_DEP_4) | instskip(NEXT) | instid1(VALU_DEP_4)
	v_dual_mul_f32 v7, v19, v18 :: v_dual_and_b32 v2, 0x7fffffff, v11
	v_dual_mul_f32 v12, v9, v16 :: v_dual_mul_f32 v9, v8, v17
	s_delay_alu instid0(VALU_DEP_4) | instskip(SKIP_1) | instid1(VALU_DEP_3)
	v_mul_f32_e32 v4, v15, v4
	v_dual_mul_f32 v8, v13, v3 :: v_dual_mul_f32 v3, v22, v20
	v_and_b32_e32 v1, 0x7fffffff, v12
	;;#ASMSTART
	v_max3_f32 v1, v21, v1, v2

	;;#ASMEND
	v_and_b32_e32 v13, 0x7fffffff, v9
	;;#ASMSTART
	v_max3_f32 v1, v1, v13, v14

	;;#ASMEND
	v_and_b32_e32 v15, 0x7fffffff, v7
	v_and_b32_e32 v16, 0x7fffffff, v8
	;; [unrolled: 1-line block ×4, first 2 shown]
	;;#ASMSTART
	v_max3_f32 v1, v1, v15, v16

	;;#ASMEND
	;;#ASMSTART
	v_max3_f32 v13, v1, v17, v18

	;;#ASMEND
	s_cbranch_scc0 .LBB93_10
; %bb.4:
	s_ashr_i32 s11, s7, 31
	s_delay_alu instid0(SALU_CYCLE_1) | instskip(NEXT) | instid1(SALU_CYCLE_1)
	s_lshr_b32 s3, s11, 29
	s_add_i32 s3, s7, s3
	s_delay_alu instid0(SALU_CYCLE_1) | instskip(NEXT) | instid1(SALU_CYCLE_1)
	s_ashr_i32 s3, s3, 3
	s_cmp_lt_i32 s3, 8
	s_cbranch_scc1 .LBB93_11
; %bb.5:
	s_cmp_lt_i32 s3, 16
	s_cbranch_scc1 .LBB93_12
; %bb.6:
	;; [unrolled: 3-line block ×3, first 2 shown]
	v_mov_b32_e32 v1, v13
	s_cmp_eq_u32 s3, 32
	s_cbranch_scc0 .LBB93_9
; %bb.8:
	s_delay_alu instid0(VALU_DEP_1) | instskip(SKIP_1) | instid1(VALU_DEP_1)
	v_mov_b32_dpp v1, v13 quad_perm:[1,0,3,2] row_mask:0xf bank_mask:0xf
	s_mov_b32 s12, 0x76543210
	v_cmp_gt_f32_e32 vcc_lo, v13, v1
	v_cndmask_b32_e32 v1, v1, v13, vcc_lo
	s_delay_alu instid0(VALU_DEP_1) | instskip(NEXT) | instid1(VALU_DEP_1)
	v_mov_b32_dpp v2, v1 quad_perm:[2,3,0,1] row_mask:0xf bank_mask:0xf
	v_cmp_gt_f32_e32 vcc_lo, v1, v2
	v_cndmask_b32_e32 v1, v2, v1, vcc_lo
	s_delay_alu instid0(VALU_DEP_1) | instskip(NEXT) | instid1(VALU_DEP_1)
	v_mov_b32_dpp v2, v1 row_xmask:7 row_mask:0xf bank_mask:0xf
	v_cmp_gt_f32_e32 vcc_lo, v1, v2
	v_cndmask_b32_e32 v1, v2, v1, vcc_lo
	s_delay_alu instid0(VALU_DEP_1) | instskip(NEXT) | instid1(VALU_DEP_1)
	v_mov_b32_dpp v2, v1 row_xmask:15 row_mask:0xf bank_mask:0xf
	v_cmp_gt_f32_e32 vcc_lo, v1, v2
	v_cndmask_b32_e32 v1, v2, v1, vcc_lo
	s_delay_alu instid0(VALU_DEP_1) | instskip(NEXT) | instid1(VALU_DEP_1)
	v_permlanex16_b32 v2, v1, s12, 0xfedcba98 op_sel:[1,1]
	v_cmp_gt_f32_e32 vcc_lo, v1, v2
	v_cndmask_b32_e32 v1, v2, v1, vcc_lo
.LBB93_9:
	s_mov_b32 s12, 0
	s_branch .LBB93_14
.LBB93_10:
	s_mov_b32 s3, 0
                                        ; implicit-def: $vgpr14
                                        ; implicit-def: $vgpr1_vgpr2
	s_and_b32 vcc_lo, exec_lo, s15
	s_cbranch_vccnz .LBB93_38
	s_branch .LBB93_41
.LBB93_11:
                                        ; implicit-def: $vgpr1
	s_branch .LBB93_21
.LBB93_12:
                                        ; implicit-def: $vgpr1
	s_branch .LBB93_18
.LBB93_13:
	s_mov_b32 s12, -1
                                        ; implicit-def: $vgpr1
.LBB93_14:
	s_delay_alu instid0(SALU_CYCLE_1)
	s_and_not1_b32 vcc_lo, exec_lo, s12
	s_cbranch_vccnz .LBB93_17
; %bb.15:
	v_mov_b32_e32 v1, v13
	s_cmp_eq_u32 s3, 16
	s_cbranch_scc0 .LBB93_17
; %bb.16:
	s_delay_alu instid0(VALU_DEP_1) | instskip(NEXT) | instid1(VALU_DEP_1)
	v_mov_b32_dpp v1, v13 quad_perm:[1,0,3,2] row_mask:0xf bank_mask:0xf
	v_cmp_gt_f32_e32 vcc_lo, v13, v1
	v_cndmask_b32_e32 v1, v1, v13, vcc_lo
	s_delay_alu instid0(VALU_DEP_1) | instskip(NEXT) | instid1(VALU_DEP_1)
	v_mov_b32_dpp v2, v1 quad_perm:[2,3,0,1] row_mask:0xf bank_mask:0xf
	v_cmp_gt_f32_e32 vcc_lo, v1, v2
	v_cndmask_b32_e32 v1, v2, v1, vcc_lo
	s_delay_alu instid0(VALU_DEP_1) | instskip(NEXT) | instid1(VALU_DEP_1)
	v_mov_b32_dpp v2, v1 row_half_mirror row_mask:0xf bank_mask:0xf
	v_cmp_gt_f32_e32 vcc_lo, v1, v2
	v_cndmask_b32_e32 v1, v2, v1, vcc_lo
	s_delay_alu instid0(VALU_DEP_1) | instskip(NEXT) | instid1(VALU_DEP_1)
	v_mov_b32_dpp v2, v1 row_mirror row_mask:0xf bank_mask:0xf
	v_cmp_gt_f32_e32 vcc_lo, v1, v2
	v_cndmask_b32_e32 v1, v2, v1, vcc_lo
.LBB93_17:
	s_cbranch_execnz .LBB93_20
.LBB93_18:
	v_mov_b32_e32 v1, v13
	s_cmp_eq_u32 s3, 8
	s_cbranch_scc0 .LBB93_20
; %bb.19:
	s_delay_alu instid0(VALU_DEP_1) | instskip(NEXT) | instid1(VALU_DEP_1)
	v_mov_b32_dpp v1, v13 quad_perm:[1,0,3,2] row_mask:0xf bank_mask:0xf
	v_cmp_gt_f32_e32 vcc_lo, v13, v1
	v_cndmask_b32_e32 v1, v1, v13, vcc_lo
	s_delay_alu instid0(VALU_DEP_1) | instskip(NEXT) | instid1(VALU_DEP_1)
	v_mov_b32_dpp v2, v1 quad_perm:[2,3,0,1] row_mask:0xf bank_mask:0xf
	v_cmp_gt_f32_e32 vcc_lo, v1, v2
	v_cndmask_b32_e32 v1, v2, v1, vcc_lo
	s_delay_alu instid0(VALU_DEP_1) | instskip(NEXT) | instid1(VALU_DEP_1)
	v_mov_b32_dpp v2, v1 row_half_mirror row_mask:0xf bank_mask:0xf
	v_cmp_gt_f32_e32 vcc_lo, v1, v2
	v_cndmask_b32_e32 v1, v2, v1, vcc_lo
.LBB93_20:
	s_cbranch_execnz .LBB93_28
.LBB93_21:
	s_cmp_lt_i32 s3, 4
	s_cbranch_scc1 .LBB93_24
; %bb.22:
	v_mov_b32_e32 v1, v13
	s_cmp_eq_u32 s3, 4
	s_cbranch_scc0 .LBB93_25
; %bb.23:
	s_delay_alu instid0(VALU_DEP_1) | instskip(NEXT) | instid1(VALU_DEP_1)
	v_mov_b32_dpp v1, v13 quad_perm:[1,0,3,2] row_mask:0xf bank_mask:0xf
	v_cmp_gt_f32_e32 vcc_lo, v13, v1
	v_cndmask_b32_e32 v1, v1, v13, vcc_lo
	s_delay_alu instid0(VALU_DEP_1) | instskip(NEXT) | instid1(VALU_DEP_1)
	v_mov_b32_dpp v2, v1 quad_perm:[2,3,0,1] row_mask:0xf bank_mask:0xf
	v_cmp_gt_f32_e32 vcc_lo, v1, v2
	v_cndmask_b32_e32 v1, v2, v1, vcc_lo
	s_cbranch_execz .LBB93_26
	s_branch .LBB93_28
.LBB93_24:
                                        ; implicit-def: $vgpr1
	s_branch .LBB93_26
.LBB93_25:
	s_cbranch_execnz .LBB93_28
.LBB93_26:
	v_mov_b32_e32 v1, v13
	s_cmp_lg_u32 s3, 2
	s_cbranch_scc1 .LBB93_28
; %bb.27:
	s_delay_alu instid0(VALU_DEP_1) | instskip(NEXT) | instid1(VALU_DEP_1)
	v_mov_b32_dpp v1, v13 quad_perm:[1,0,3,2] row_mask:0xf bank_mask:0xf
	v_cmp_gt_f32_e32 vcc_lo, v13, v1
	v_cndmask_b32_e32 v1, v1, v13, vcc_lo
.LBB93_28:
	v_cvt_f32_u32_e32 v2, s3
	s_sub_i32 s12, 0, s3
	s_mov_b32 s15, 0
	s_delay_alu instid0(VALU_DEP_1) | instskip(SKIP_2) | instid1(VALU_DEP_1)
	v_rcp_iflag_f32_e32 v2, v2
	s_waitcnt_depctr 0xfff
	v_mul_f32_e32 v2, 0x4f7ffffe, v2
	v_cvt_u32_f32_e32 v2, v2
	s_delay_alu instid0(VALU_DEP_1) | instskip(NEXT) | instid1(VALU_DEP_1)
	v_mul_lo_u32 v14, s12, v2
	v_mul_hi_u32 v14, v2, v14
	s_delay_alu instid0(VALU_DEP_1) | instskip(NEXT) | instid1(VALU_DEP_1)
	v_add_nc_u32_e32 v2, v2, v14
	v_mul_hi_u32 v2, v0, v2
	s_delay_alu instid0(VALU_DEP_1) | instskip(NEXT) | instid1(VALU_DEP_1)
	v_mul_lo_u32 v14, v2, s3
	v_sub_nc_u32_e32 v14, v0, v14
	s_delay_alu instid0(VALU_DEP_1) | instskip(SKIP_1) | instid1(VALU_DEP_2)
	v_subrev_nc_u32_e32 v16, s3, v14
	v_cmp_le_u32_e32 vcc_lo, s3, v14
	v_dual_cndmask_b32 v14, v14, v16 :: v_dual_add_nc_u32 v15, 1, v2
	s_delay_alu instid0(VALU_DEP_1) | instskip(NEXT) | instid1(VALU_DEP_2)
	v_cndmask_b32_e32 v2, v2, v15, vcc_lo
	v_cmp_le_u32_e32 vcc_lo, s3, v14
	s_delay_alu instid0(VALU_DEP_2) | instskip(NEXT) | instid1(VALU_DEP_1)
	v_dual_mul_f32 v14, 0x3c010204, v1 :: v_dual_add_nc_u32 v15, 1, v2
	v_cndmask_b32_e32 v15, v2, v15, vcc_lo
	v_cmp_gt_u32_e32 vcc_lo, s5, v5
	s_delay_alu instid0(VALU_DEP_2) | instskip(NEXT) | instid1(VALU_DEP_1)
	v_mul_lo_u32 v2, v15, s3
	v_sub_nc_u32_e32 v2, v0, v2
	s_delay_alu instid0(VALU_DEP_1) | instskip(NEXT) | instid1(VALU_DEP_1)
	v_cmp_eq_u32_e64 s3, 0, v2
                                        ; implicit-def: $vgpr1_vgpr2
	s_and_b32 s12, s3, vcc_lo
	s_mov_b32 s3, 0
	s_and_saveexec_b32 s13, s12
	s_delay_alu instid0(SALU_CYCLE_1)
	s_xor_b32 s14, exec_lo, s13
	s_cbranch_execz .LBB93_37
; %bb.29:
	s_bitcmp0_b32 s10, 0
	s_mov_b32 s16, 0
	s_cbranch_scc0 .LBB93_34
; %bb.30:
	s_ashr_i32 s3, s5, 31
	s_mul_hi_u32 s10, s5, s20
	s_mul_i32 s3, s3, s20
	s_mul_i32 s12, s5, s20
	s_add_i32 s13, s10, s3
	s_mov_b32 s10, s7
	s_delay_alu instid0(SALU_CYCLE_1) | instskip(NEXT) | instid1(SALU_CYCLE_1)
	s_or_b64 s[18:19], s[12:13], s[10:11]
	s_mov_b32 s17, s19
	s_delay_alu instid0(SALU_CYCLE_1)
	s_cmp_lg_u64 s[16:17], 0
	s_cbranch_scc0 .LBB93_45
; %bb.31:
	s_add_u32 s18, s10, s11
	s_mov_b32 s16, s11
	s_mov_b32 s17, s11
	s_addc_u32 s19, s11, s11
	s_delay_alu instid0(SALU_CYCLE_1) | instskip(NEXT) | instid1(SALU_CYCLE_1)
	s_xor_b64 s[18:19], s[18:19], s[16:17]
	v_cvt_f32_u32_e32 v1, s18
	v_cvt_f32_u32_e32 v2, s19
	s_sub_u32 s11, 0, s18
	s_subb_u32 s22, 0, s19
	s_delay_alu instid0(VALU_DEP_1) | instskip(NEXT) | instid1(VALU_DEP_1)
	v_fmamk_f32 v1, v2, 0x4f800000, v1
	v_rcp_f32_e32 v1, v1
	s_waitcnt_depctr 0xfff
	v_mul_f32_e32 v1, 0x5f7ffffc, v1
	s_delay_alu instid0(VALU_DEP_1) | instskip(NEXT) | instid1(VALU_DEP_1)
	v_mul_f32_e32 v2, 0x2f800000, v1
	v_trunc_f32_e32 v2, v2
	s_delay_alu instid0(VALU_DEP_1) | instskip(SKIP_1) | instid1(VALU_DEP_2)
	v_fmamk_f32 v1, v2, 0xcf800000, v1
	v_cvt_u32_f32_e32 v2, v2
	v_cvt_u32_f32_e32 v1, v1
	s_delay_alu instid0(VALU_DEP_2) | instskip(NEXT) | instid1(VALU_DEP_2)
	v_readfirstlane_b32 s3, v2
	v_readfirstlane_b32 s7, v1
	s_delay_alu instid0(VALU_DEP_2) | instskip(NEXT) | instid1(VALU_DEP_1)
	s_mul_i32 s23, s11, s3
	s_mul_hi_u32 s25, s11, s7
	s_mul_i32 s24, s22, s7
	s_add_i32 s23, s25, s23
	s_mul_i32 s26, s11, s7
	s_add_i32 s23, s23, s24
	s_mul_hi_u32 s25, s7, s26
	s_mul_hi_u32 s27, s3, s26
	s_mul_i32 s24, s3, s26
	s_mul_hi_u32 s26, s7, s23
	s_mul_i32 s7, s7, s23
	s_mul_hi_u32 s28, s3, s23
	s_add_u32 s7, s25, s7
	s_addc_u32 s25, 0, s26
	s_add_u32 s7, s7, s24
	s_mul_i32 s23, s3, s23
	s_addc_u32 s7, s25, s27
	s_addc_u32 s24, s28, 0
	s_add_u32 s7, s7, s23
	s_addc_u32 s23, 0, s24
	v_add_co_u32 v1, s7, v1, s7
	s_delay_alu instid0(VALU_DEP_1) | instskip(SKIP_1) | instid1(VALU_DEP_1)
	s_cmp_lg_u32 s7, 0
	s_addc_u32 s3, s3, s23
	v_readfirstlane_b32 s7, v1
	s_mul_i32 s23, s11, s3
	s_delay_alu instid0(VALU_DEP_1)
	s_mul_hi_u32 s24, s11, s7
	s_mul_i32 s22, s22, s7
	s_add_i32 s23, s24, s23
	s_mul_i32 s11, s11, s7
	s_add_i32 s23, s23, s22
	s_mul_hi_u32 s24, s3, s11
	s_mul_i32 s25, s3, s11
	s_mul_hi_u32 s11, s7, s11
	s_mul_hi_u32 s26, s7, s23
	s_mul_i32 s7, s7, s23
	s_mul_hi_u32 s22, s3, s23
	s_add_u32 s7, s11, s7
	s_addc_u32 s11, 0, s26
	s_add_u32 s7, s7, s25
	s_mul_i32 s23, s3, s23
	s_addc_u32 s7, s11, s24
	s_addc_u32 s11, s22, 0
	s_add_u32 s7, s7, s23
	s_addc_u32 s11, 0, s11
	v_add_co_u32 v1, s7, v1, s7
	s_delay_alu instid0(VALU_DEP_1) | instskip(SKIP_2) | instid1(VALU_DEP_1)
	s_cmp_lg_u32 s7, 0
	s_addc_u32 s3, s3, s11
	s_ashr_i32 s22, s13, 31
	v_readfirstlane_b32 s7, v1
	s_add_u32 s24, s12, s22
	s_mov_b32 s23, s22
	s_addc_u32 s25, s13, s22
	s_delay_alu instid0(SALU_CYCLE_1) | instskip(NEXT) | instid1(SALU_CYCLE_1)
	s_xor_b64 s[24:25], s[24:25], s[22:23]
	s_mul_i32 s13, s24, s3
	s_mul_hi_u32 s26, s24, s7
	s_mul_hi_u32 s11, s24, s3
	;; [unrolled: 1-line block ×3, first 2 shown]
	s_mul_i32 s7, s25, s7
	s_add_u32 s13, s26, s13
	s_addc_u32 s11, 0, s11
	s_mul_hi_u32 s27, s25, s3
	s_add_u32 s7, s13, s7
	s_mul_i32 s3, s25, s3
	s_addc_u32 s7, s11, s28
	s_addc_u32 s11, s27, 0
	s_add_u32 s7, s7, s3
	s_addc_u32 s11, 0, s11
	s_mul_i32 s27, s18, s7
	s_mul_hi_u32 s3, s18, s7
	s_mul_i32 s26, s18, s11
	v_sub_co_u32 v1, s24, s24, s27
	s_mul_i32 s13, s19, s7
	s_add_i32 s3, s3, s26
	s_delay_alu instid0(SALU_CYCLE_1) | instskip(NEXT) | instid1(VALU_DEP_1)
	s_add_i32 s3, s3, s13
	v_sub_co_u32 v2, s26, v1, s18
	s_sub_i32 s13, s25, s3
	s_cmp_lg_u32 s24, 0
	s_subb_u32 s13, s13, s19
	s_cmp_lg_u32 s26, 0
	v_cmp_le_u32_e32 vcc_lo, s18, v2
	s_subb_u32 s13, s13, 0
	s_delay_alu instid0(SALU_CYCLE_1)
	s_cmp_ge_u32 s13, s19
	v_cndmask_b32_e64 v2, 0, -1, vcc_lo
	s_cselect_b32 s26, -1, 0
	s_cmp_eq_u32 s13, s19
	s_cselect_b32 vcc_lo, -1, 0
	s_add_u32 s13, s7, 1
	v_cndmask_b32_e32 v2, s26, v2, vcc_lo
	s_addc_u32 s26, s11, 0
	s_add_u32 s27, s7, 2
	s_addc_u32 s28, s11, 0
	s_cmp_lg_u32 s24, 0
	v_cmp_le_u32_e32 vcc_lo, s18, v1
	s_subb_u32 s3, s25, s3
	v_mov_b32_e32 v16, s27
	s_cmp_ge_u32 s3, s19
	v_cndmask_b32_e64 v1, 0, -1, vcc_lo
	s_cselect_b32 s18, -1, 0
	s_cmp_eq_u32 s3, s19
	v_cmp_ne_u32_e32 vcc_lo, 0, v2
	v_mov_b32_e32 v2, s28
	s_cselect_b32 s3, -1, 0
	s_xor_b64 s[16:17], s[22:23], s[16:17]
	v_cndmask_b32_e64 v1, s18, v1, s3
	v_cndmask_b32_e32 v16, s13, v16, vcc_lo
	v_cndmask_b32_e32 v2, s26, v2, vcc_lo
	s_delay_alu instid0(VALU_DEP_3) | instskip(NEXT) | instid1(VALU_DEP_2)
	v_cmp_ne_u32_e32 vcc_lo, 0, v1
	v_cndmask_b32_e32 v1, s11, v2, vcc_lo
	s_delay_alu instid0(VALU_DEP_4) | instskip(NEXT) | instid1(VALU_DEP_2)
	v_cndmask_b32_e32 v2, s7, v16, vcc_lo
	v_xor_b32_e32 v16, s17, v1
	s_delay_alu instid0(VALU_DEP_2) | instskip(NEXT) | instid1(VALU_DEP_1)
	v_xor_b32_e32 v2, s16, v2
	v_sub_co_u32 v1, vcc_lo, v2, s16
	s_delay_alu instid0(VALU_DEP_3)
	v_subrev_co_ci_u32_e32 v2, vcc_lo, s17, v16, vcc_lo
	s_cbranch_execnz .LBB93_33
.LBB93_32:
	v_cvt_f32_u32_e32 v1, s10
	s_sub_i32 s7, 0, s10
	s_delay_alu instid0(VALU_DEP_1) | instskip(SKIP_2) | instid1(VALU_DEP_1)
	v_rcp_iflag_f32_e32 v1, v1
	s_waitcnt_depctr 0xfff
	v_mul_f32_e32 v1, 0x4f7ffffe, v1
	v_cvt_u32_f32_e32 v1, v1
	s_delay_alu instid0(VALU_DEP_1) | instskip(NEXT) | instid1(VALU_DEP_1)
	v_readfirstlane_b32 s3, v1
	s_mul_i32 s7, s7, s3
	s_delay_alu instid0(SALU_CYCLE_1) | instskip(NEXT) | instid1(SALU_CYCLE_1)
	s_mul_hi_u32 s7, s3, s7
	s_add_i32 s3, s3, s7
	s_delay_alu instid0(SALU_CYCLE_1) | instskip(NEXT) | instid1(SALU_CYCLE_1)
	s_mul_hi_u32 s3, s12, s3
	s_mul_i32 s7, s3, s10
	s_add_i32 s11, s3, 1
	s_sub_i32 s7, s12, s7
	s_delay_alu instid0(SALU_CYCLE_1)
	s_sub_i32 s12, s7, s10
	s_cmp_ge_u32 s7, s10
	s_cselect_b32 s3, s11, s3
	s_cselect_b32 s7, s12, s7
	s_add_i32 s12, s3, 1
	s_cmp_ge_u32 s7, s10
	s_mov_b32 s11, 0
	s_cselect_b32 s10, s12, s3
	s_delay_alu instid0(SALU_CYCLE_1)
	v_dual_mov_b32 v1, s10 :: v_dual_mov_b32 v2, s11
.LBB93_33:
	s_delay_alu instid0(VALU_DEP_1) | instskip(NEXT) | instid1(VALU_DEP_2)
	v_add_co_u32 v1, vcc_lo, v1, v15
	v_add_co_ci_u32_e32 v2, vcc_lo, 0, v2, vcc_lo
	s_branch .LBB93_36
.LBB93_34:
                                        ; implicit-def: $vgpr1_vgpr2
	s_cbranch_execz .LBB93_36
; %bb.35:
	v_mul_lo_u32 v1, v15, s4
	s_delay_alu instid0(VALU_DEP_1) | instskip(SKIP_1) | instid1(VALU_DEP_2)
	v_ashrrev_i32_e32 v2, 31, v1
	v_add_co_u32 v1, vcc_lo, v1, s20
	v_add_co_ci_u32_e32 v2, vcc_lo, 0, v2, vcc_lo
.LBB93_36:
	s_mov_b32 s3, exec_lo
.LBB93_37:
	s_or_b32 exec_lo, exec_lo, s14
	s_delay_alu instid0(SALU_CYCLE_1)
	s_and_b32 vcc_lo, exec_lo, s15
	s_cbranch_vccz .LBB93_41
.LBB93_38:
	v_mov_b32_dpp v1, v13 quad_perm:[1,0,3,2] row_mask:0xf bank_mask:0xf
	s_delay_alu instid0(VALU_DEP_1) | instskip(SKIP_1) | instid1(VALU_DEP_1)
	v_cmp_gt_f32_e32 vcc_lo, v13, v1
	v_cndmask_b32_e32 v1, v1, v13, vcc_lo
	v_mov_b32_dpp v2, v1 quad_perm:[2,3,0,1] row_mask:0xf bank_mask:0xf
	s_delay_alu instid0(VALU_DEP_1) | instskip(SKIP_1) | instid1(VALU_DEP_1)
	v_cmp_gt_f32_e32 vcc_lo, v1, v2
	v_cndmask_b32_e32 v1, v2, v1, vcc_lo
	v_mov_b32_dpp v2, v1 row_xmask:7 row_mask:0xf bank_mask:0xf
	s_delay_alu instid0(VALU_DEP_1) | instskip(SKIP_1) | instid1(VALU_DEP_1)
	v_cmp_gt_f32_e32 vcc_lo, v1, v2
	v_cndmask_b32_e32 v1, v2, v1, vcc_lo
	v_mov_b32_dpp v2, v1 row_xmask:15 row_mask:0xf bank_mask:0xf
	s_delay_alu instid0(VALU_DEP_1)
	v_cmp_gt_f32_e32 vcc_lo, v1, v2
	s_and_saveexec_b32 s3, s2
	s_cbranch_execz .LBB93_40
; %bb.39:
	v_cndmask_b32_e32 v1, v2, v1, vcc_lo
	v_lshrrev_b32_e32 v2, 3, v0
	s_mov_b32 s2, 0x76543210
	s_delay_alu instid0(VALU_DEP_1) | instskip(NEXT) | instid1(VALU_DEP_3)
	v_and_b32_e32 v2, 0x7c, v2
	v_permlanex16_b32 v13, v1, s2, 0xfedcba98 op_sel:[1,1]
	s_delay_alu instid0(VALU_DEP_1)
	v_cmp_gt_f32_e32 vcc_lo, v1, v13
	v_cndmask_b32_e32 v1, v13, v1, vcc_lo
	ds_store_b32 v2, v1
.LBB93_40:
	s_or_b32 exec_lo, exec_lo, s3
	s_waitcnt lgkmcnt(0)
	s_barrier
	buffer_gl0_inv
	ds_load_b32 v1, v6
	v_cmp_eq_u32_e64 s3, 0, v0
	s_waitcnt lgkmcnt(0)
	v_mov_b32_dpp v2, v1 quad_perm:[1,0,3,2] row_mask:0xf bank_mask:0xf
	s_delay_alu instid0(VALU_DEP_1) | instskip(SKIP_1) | instid1(VALU_DEP_1)
	v_cmp_gt_f32_e32 vcc_lo, v1, v2
	v_cndmask_b32_e32 v1, v2, v1, vcc_lo
	v_mov_b32_dpp v2, v1 quad_perm:[2,3,0,1] row_mask:0xf bank_mask:0xf
	s_delay_alu instid0(VALU_DEP_1) | instskip(SKIP_1) | instid1(VALU_DEP_1)
	v_cmp_gt_f32_e32 vcc_lo, v1, v2
	v_cndmask_b32_e32 v1, v2, v1, vcc_lo
	v_dual_mul_f32 v14, 0x3c010204, v1 :: v_dual_mov_b32 v1, s20
	v_mov_b32_e32 v2, s21
.LBB93_41:
	s_and_saveexec_b32 s2, s3
	s_cbranch_execz .LBB93_43
; %bb.42:
	s_delay_alu instid0(VALU_DEP_1) | instskip(NEXT) | instid1(VALU_DEP_1)
	v_lshlrev_b64 v[0:1], 2, v[1:2]
	v_add_co_u32 v0, vcc_lo, s8, v0
	s_delay_alu instid0(VALU_DEP_2)
	v_add_co_ci_u32_e32 v1, vcc_lo, s9, v1, vcc_lo
	global_store_b32 v[0:1], v14, off
.LBB93_43:
	s_or_b32 exec_lo, exec_lo, s2
	;;#ASMSTART
	v_rcp_f32 v0, v14
	;;#ASMEND
	v_mul_f32_e32 v7, v7, v0
	v_mul_f32_e32 v1, v12, v0
	;; [unrolled: 1-line block ×4, first 2 shown]
	s_load_b64 s[0:1], s[0:1], 0x0
	v_cvt_i32_f32_e32 v7, v7
	v_mul_f32_e32 v2, v11, v0
	v_cvt_i32_f32_e32 v1, v1
	v_mul_f32_e32 v6, v9, v0
	v_cvt_i32_f32_e32 v4, v4
	v_and_b32_e32 v7, 0xff, v7
	v_cvt_i32_f32_e32 v2, v2
	v_and_b32_e32 v1, 0xff, v1
	s_add_i32 s2, s5, 3
	v_lshlrev_b16 v4, 8, v4
	s_ashr_i32 s3, s2, 31
	v_lshlrev_b16 v2, 8, v2
	s_lshr_b32 s3, s3, 30
	s_mul_hi_u32 s4, s6, s20
	s_add_i32 s2, s2, s3
	s_ashr_i32 s3, s6, 31
	v_or_b32_e32 v1, v1, v2
	v_mul_f32_e32 v9, v10, v0
	v_mul_f32_e32 v0, v3, v0
	v_cvt_i32_f32_e32 v3, v6
	s_mul_i32 s3, s3, s20
	s_mul_i32 s5, s6, s20
	s_and_b32 s2, s2, -4
	v_cvt_i32_f32_e32 v0, v0
	v_and_b32_e32 v3, 0xff, v3
	v_cvt_i32_f32_e32 v6, v8
	s_add_i32 s4, s4, s3
	s_waitcnt lgkmcnt(0)
	s_add_u32 s0, s0, s5
	v_and_b32_e32 v0, 0xff, v0
	s_addc_u32 s1, s1, s4
	v_lshlrev_b16 v6, 8, v6
	s_and_b32 s1, s1, 0xffff
	s_mov_b32 s3, -1
	v_or_b32_e32 v0, v0, v4
	v_and_b32_e32 v4, 0xffff, v1
	v_cvt_i32_f32_e32 v8, v9
	v_or_b32_e32 v6, v7, v6
	s_delay_alu instid0(VALU_DEP_4) | instskip(NEXT) | instid1(VALU_DEP_3)
	v_lshlrev_b32_e32 v0, 16, v0
	v_lshlrev_b16 v8, 8, v8
	s_delay_alu instid0(VALU_DEP_1) | instskip(NEXT) | instid1(VALU_DEP_4)
	v_or_b32_e32 v2, v3, v8
	v_and_b32_e32 v3, 0xffff, v6
	s_delay_alu instid0(VALU_DEP_2) | instskip(NEXT) | instid1(VALU_DEP_2)
	v_lshlrev_b32_e32 v2, 16, v2
	v_or_b32_e32 v1, v3, v0
	s_delay_alu instid0(VALU_DEP_2)
	v_or_b32_e32 v0, v4, v2
	buffer_store_b64 v[0:1], v5, s[0:3], 0 offen
	;;#ASMSTART
	s_nop 0
	;;#ASMEND
.LBB93_44:
	s_nop 0
	s_sendmsg sendmsg(MSG_DEALLOC_VGPRS)
	s_endpgm
.LBB93_45:
                                        ; implicit-def: $vgpr1_vgpr2
	s_branch .LBB93_32
	.section	.rodata,"a",@progbits
	.p2align	6, 0x0
	.amdhsa_kernel _ZN5aiter24add_rmsnorm_quant_kernelIDF16_aLi128ELi8ELb0ELb1ELb1ELi1EEEvPT0_PT_PfS4_S4_S4_diiiiiiib
		.amdhsa_group_segment_fixed_size 32
		.amdhsa_private_segment_fixed_size 0
		.amdhsa_kernarg_size 88
		.amdhsa_user_sgpr_count 15
		.amdhsa_user_sgpr_dispatch_ptr 0
		.amdhsa_user_sgpr_queue_ptr 0
		.amdhsa_user_sgpr_kernarg_segment_ptr 1
		.amdhsa_user_sgpr_dispatch_id 0
		.amdhsa_user_sgpr_private_segment_size 0
		.amdhsa_wavefront_size32 1
		.amdhsa_uses_dynamic_stack 0
		.amdhsa_enable_private_segment 0
		.amdhsa_system_sgpr_workgroup_id_x 1
		.amdhsa_system_sgpr_workgroup_id_y 0
		.amdhsa_system_sgpr_workgroup_id_z 0
		.amdhsa_system_sgpr_workgroup_info 0
		.amdhsa_system_vgpr_workitem_id 0
		.amdhsa_next_free_vgpr 23
		.amdhsa_next_free_sgpr 29
		.amdhsa_reserve_vcc 1
		.amdhsa_float_round_mode_32 0
		.amdhsa_float_round_mode_16_64 0
		.amdhsa_float_denorm_mode_32 3
		.amdhsa_float_denorm_mode_16_64 3
		.amdhsa_dx10_clamp 1
		.amdhsa_ieee_mode 1
		.amdhsa_fp16_overflow 0
		.amdhsa_workgroup_processor_mode 1
		.amdhsa_memory_ordered 1
		.amdhsa_forward_progress 0
		.amdhsa_shared_vgpr_count 0
		.amdhsa_exception_fp_ieee_invalid_op 0
		.amdhsa_exception_fp_denorm_src 0
		.amdhsa_exception_fp_ieee_div_zero 0
		.amdhsa_exception_fp_ieee_overflow 0
		.amdhsa_exception_fp_ieee_underflow 0
		.amdhsa_exception_fp_ieee_inexact 0
		.amdhsa_exception_int_div_zero 0
	.end_amdhsa_kernel
	.section	.text._ZN5aiter24add_rmsnorm_quant_kernelIDF16_aLi128ELi8ELb0ELb1ELb1ELi1EEEvPT0_PT_PfS4_S4_S4_diiiiiiib,"axG",@progbits,_ZN5aiter24add_rmsnorm_quant_kernelIDF16_aLi128ELi8ELb0ELb1ELb1ELi1EEEvPT0_PT_PfS4_S4_S4_diiiiiiib,comdat
.Lfunc_end93:
	.size	_ZN5aiter24add_rmsnorm_quant_kernelIDF16_aLi128ELi8ELb0ELb1ELb1ELi1EEEvPT0_PT_PfS4_S4_S4_diiiiiiib, .Lfunc_end93-_ZN5aiter24add_rmsnorm_quant_kernelIDF16_aLi128ELi8ELb0ELb1ELb1ELi1EEEvPT0_PT_PfS4_S4_S4_diiiiiiib
                                        ; -- End function
	.section	.AMDGPU.csdata,"",@progbits
; Kernel info:
; codeLenInByte = 3212
; NumSgprs: 31
; NumVgprs: 23
; ScratchSize: 0
; MemoryBound: 0
; FloatMode: 240
; IeeeMode: 1
; LDSByteSize: 32 bytes/workgroup (compile time only)
; SGPRBlocks: 3
; VGPRBlocks: 2
; NumSGPRsForWavesPerEU: 31
; NumVGPRsForWavesPerEU: 23
; Occupancy: 16
; WaveLimiterHint : 0
; COMPUTE_PGM_RSRC2:SCRATCH_EN: 0
; COMPUTE_PGM_RSRC2:USER_SGPR: 15
; COMPUTE_PGM_RSRC2:TRAP_HANDLER: 0
; COMPUTE_PGM_RSRC2:TGID_X_EN: 1
; COMPUTE_PGM_RSRC2:TGID_Y_EN: 0
; COMPUTE_PGM_RSRC2:TGID_Z_EN: 0
; COMPUTE_PGM_RSRC2:TIDIG_COMP_CNT: 0
	.section	.text._ZN5aiter24add_rmsnorm_quant_kernelItaLi128ELi8ELb0ELb1ELb1ELi1EEEvPT0_PT_PfS4_S4_S4_diiiiiiib,"axG",@progbits,_ZN5aiter24add_rmsnorm_quant_kernelItaLi128ELi8ELb0ELb1ELb1ELi1EEEvPT0_PT_PfS4_S4_S4_diiiiiiib,comdat
	.protected	_ZN5aiter24add_rmsnorm_quant_kernelItaLi128ELi8ELb0ELb1ELb1ELi1EEEvPT0_PT_PfS4_S4_S4_diiiiiiib ; -- Begin function _ZN5aiter24add_rmsnorm_quant_kernelItaLi128ELi8ELb0ELb1ELb1ELi1EEEvPT0_PT_PfS4_S4_S4_diiiiiiib
	.globl	_ZN5aiter24add_rmsnorm_quant_kernelItaLi128ELi8ELb0ELb1ELb1ELi1EEEvPT0_PT_PfS4_S4_S4_diiiiiiib
	.p2align	8
	.type	_ZN5aiter24add_rmsnorm_quant_kernelItaLi128ELi8ELb0ELb1ELb1ELi1EEEvPT0_PT_PfS4_S4_S4_diiiiiiib,@function
_ZN5aiter24add_rmsnorm_quant_kernelItaLi128ELi8ELb0ELb1ELb1ELi1EEEvPT0_PT_PfS4_S4_S4_diiiiiiib: ; @_ZN5aiter24add_rmsnorm_quant_kernelItaLi128ELi8ELb0ELb1ELb1ELi1EEEvPT0_PT_PfS4_S4_S4_diiiiiiib
; %bb.0:
	s_load_b128 s[4:7], s[0:1], 0x38
	s_mov_b32 s20, s15
	s_mov_b32 s21, 0
	s_waitcnt lgkmcnt(0)
	s_ashr_i32 s3, s4, 31
	s_mov_b32 s2, s4
	s_delay_alu instid0(SALU_CYCLE_1) | instskip(NEXT) | instid1(VALU_DEP_1)
	v_cmp_ge_i64_e64 s2, s[20:21], s[2:3]
	s_and_b32 vcc_lo, exec_lo, s2
	s_cbranch_vccnz .LBB94_44
; %bb.1:
	s_clause 0x1
	s_load_b128 s[8:11], s[0:1], 0x10
	s_load_b128 s[16:19], s[0:1], 0x28
	s_ashr_i32 s2, s6, 31
	s_mul_hi_u32 s3, s6, s20
	s_mul_i32 s7, s2, s20
	s_mul_i32 s2, s6, s20
	s_add_i32 s3, s3, s7
	v_lshlrev_b32_e32 v1, 4, v0
	s_lshl_b64 s[2:3], s[2:3], 1
	s_mov_b32 s15, -1
	v_and_b32_e32 v15, 31, v0
	s_mov_b32 s27, s15
	s_waitcnt lgkmcnt(0)
	s_add_u32 s12, s10, s2
	s_addc_u32 s2, s11, s3
	s_add_i32 s3, s5, 1
	s_and_b32 s13, s2, 0xffff
	s_lshr_b32 s6, s3, 31
	s_mov_b32 s24, s16
	s_add_i32 s3, s3, s6
	s_and_b32 s25, s17, 0xffff
	s_lshl_b32 s3, s3, 1
	v_cmp_eq_u32_e64 s2, 31, v15
	s_and_b32 s14, s3, -4
	buffer_load_b128 v[10:13], v1, s[12:15], 0 offen glc slc
	s_mov_b32 s26, s14
	s_waitcnt vmcnt(0)
	v_lshrrev_b32_e32 v5, 16, v10
	v_and_b32_e32 v6, 0xffff, v10
	v_lshrrev_b32_e32 v10, 16, v11
	v_lshrrev_b32_e32 v14, 16, v13
	s_delay_alu instid0(VALU_DEP_4) | instskip(NEXT) | instid1(VALU_DEP_4)
	v_cvt_f32_u32_e32 v7, v5
	v_cvt_f32_u32_e32 v8, v6
	s_delay_alu instid0(VALU_DEP_4) | instskip(NEXT) | instid1(VALU_DEP_4)
	v_cvt_f32_u32_e32 v10, v10
	v_cvt_f32_u32_e32 v14, v14
	s_delay_alu instid0(VALU_DEP_4) | instskip(SKIP_2) | instid1(VALU_DEP_1)
	v_mul_f32_e32 v6, v7, v7
	buffer_load_b128 v[1:4], v1, s[24:27], 0 offen
	v_dual_fmac_f32 v6, v8, v8 :: v_dual_and_b32 v5, 0xffff, v11
	v_cvt_f32_u32_e32 v9, v5
	v_and_b32_e32 v5, 0xffff, v12
	v_lshrrev_b32_e32 v12, 16, v12
	s_delay_alu instid0(VALU_DEP_3) | instskip(NEXT) | instid1(VALU_DEP_3)
	v_fmac_f32_e32 v6, v9, v9
	v_cvt_f32_u32_e32 v11, v5
	v_and_b32_e32 v5, 0xffff, v13
	s_delay_alu instid0(VALU_DEP_4) | instskip(NEXT) | instid1(VALU_DEP_4)
	v_cvt_f32_u32_e32 v12, v12
	v_fmac_f32_e32 v6, v10, v10
	s_delay_alu instid0(VALU_DEP_3) | instskip(NEXT) | instid1(VALU_DEP_2)
	v_cvt_f32_u32_e32 v13, v5
	v_fmac_f32_e32 v6, v11, v11
	s_delay_alu instid0(VALU_DEP_1) | instskip(NEXT) | instid1(VALU_DEP_1)
	v_fmac_f32_e32 v6, v12, v12
	v_fmac_f32_e32 v6, v13, v13
	s_delay_alu instid0(VALU_DEP_1) | instskip(NEXT) | instid1(VALU_DEP_1)
	v_fmac_f32_e32 v6, v14, v14
	v_mov_b32_dpp v5, v6 quad_perm:[1,0,3,2] row_mask:0xf bank_mask:0xf
	s_delay_alu instid0(VALU_DEP_1) | instskip(NEXT) | instid1(VALU_DEP_1)
	v_add_f32_e32 v5, v6, v5
	v_mov_b32_dpp v6, v5 quad_perm:[2,3,0,1] row_mask:0xf bank_mask:0xf
	s_delay_alu instid0(VALU_DEP_1) | instskip(NEXT) | instid1(VALU_DEP_1)
	v_add_f32_e32 v5, v5, v6
	v_mov_b32_dpp v6, v5 row_xmask:7 row_mask:0xf bank_mask:0xf
	s_delay_alu instid0(VALU_DEP_1) | instskip(NEXT) | instid1(VALU_DEP_1)
	v_add_f32_e32 v5, v5, v6
	v_mov_b32_dpp v6, v5 row_xmask:15 row_mask:0xf bank_mask:0xf
	s_and_saveexec_b32 s3, s2
	s_cbranch_execz .LBB94_3
; %bb.2:
	s_delay_alu instid0(VALU_DEP_1) | instskip(SKIP_2) | instid1(VALU_DEP_2)
	v_add_f32_e32 v5, v5, v6
	s_mov_b32 s6, 0x76543210
	v_lshrrev_b32_e32 v6, 3, v0
	v_permlanex16_b32 v15, v5, s6, 0xfedcba98 op_sel:[1,1]
	s_delay_alu instid0(VALU_DEP_1)
	v_dual_add_f32 v5, v5, v15 :: v_dual_and_b32 v6, 0x7c, v6
	ds_store_b32 v6, v5 offset:16
.LBB94_3:
	s_or_b32 exec_lo, exec_lo, s3
	v_and_b32_e32 v5, 3, v0
	s_waitcnt vmcnt(0) lgkmcnt(0)
	s_barrier
	buffer_gl0_inv
	v_cvt_f32_i32_e32 v16, s5
	v_lshlrev_b32_e32 v6, 2, v5
	ds_load_b32 v5, v6 offset:16
	s_clause 0x1
	s_load_b64 s[6:7], s[0:1], 0x4c
	s_load_b32 s10, s[0:1], 0x54
	s_waitcnt lgkmcnt(0)
	s_cmp_lg_u32 s7, 0
	v_mov_b32_dpp v15, v5 quad_perm:[1,0,3,2] row_mask:0xf bank_mask:0xf
	s_delay_alu instid0(VALU_DEP_1) | instskip(NEXT) | instid1(VALU_DEP_1)
	v_add_f32_e32 v5, v5, v15
	v_mov_b32_dpp v15, v5 quad_perm:[2,3,0,1] row_mask:0xf bank_mask:0xf
	s_delay_alu instid0(VALU_DEP_1) | instskip(NEXT) | instid1(VALU_DEP_1)
	v_add_f32_e32 v5, v5, v15
	v_div_scale_f32 v15, null, v16, v16, v5
	v_div_scale_f32 v19, vcc_lo, v5, v16, v5
	s_delay_alu instid0(VALU_DEP_2) | instskip(SKIP_2) | instid1(VALU_DEP_1)
	v_rcp_f32_e32 v17, v15
	s_waitcnt_depctr 0xfff
	v_fma_f32 v18, -v15, v17, 1.0
	v_fmac_f32_e32 v17, v18, v17
	s_delay_alu instid0(VALU_DEP_1) | instskip(NEXT) | instid1(VALU_DEP_1)
	v_mul_f32_e32 v18, v19, v17
	v_fma_f32 v20, -v15, v18, v19
	s_delay_alu instid0(VALU_DEP_1) | instskip(SKIP_1) | instid1(VALU_DEP_2)
	v_fmac_f32_e32 v18, v20, v17
	v_mov_b32_e32 v20, 0x2edbe6ff
	v_fma_f32 v15, -v15, v18, v19
	s_delay_alu instid0(VALU_DEP_1) | instskip(SKIP_2) | instid1(VALU_DEP_3)
	v_div_fmas_f32 v15, v15, v17, v18
	v_and_b32_e32 v18, 0xffff, v3
	v_lshrrev_b32_e32 v3, 16, v3
	v_div_fixup_f32 v5, v15, v16, v5
	s_delay_alu instid0(VALU_DEP_3) | instskip(NEXT) | instid1(VALU_DEP_3)
	v_cvt_f32_u32_e32 v18, v18
	v_cvt_f32_u32_e32 v3, v3
	s_delay_alu instid0(VALU_DEP_3) | instskip(NEXT) | instid1(VALU_DEP_1)
	v_cvt_f64_f32_e32 v[15:16], v5
	v_add_f64 v[15:16], v[15:16], s[18:19]
	s_delay_alu instid0(VALU_DEP_1) | instskip(SKIP_2) | instid1(VALU_DEP_2)
	v_cvt_f32_f64_e32 v5, v[15:16]
	v_and_b32_e32 v16, 0xffff, v1
	v_lshrrev_b32_e32 v1, 16, v1
	v_cvt_f32_u32_e32 v16, v16
	s_delay_alu instid0(VALU_DEP_2) | instskip(SKIP_2) | instid1(VALU_DEP_2)
	v_cvt_f32_u32_e32 v1, v1
	v_mul_f32_e32 v15, 0x4b800000, v5
	v_cmp_gt_f32_e32 vcc_lo, 0x800000, v5
	v_cndmask_b32_e32 v15, v5, v15, vcc_lo
	s_delay_alu instid0(VALU_DEP_1) | instskip(SKIP_2) | instid1(VALU_DEP_1)
	v_rsq_f32_e32 v15, v15
	s_waitcnt_depctr 0xfff
	v_mul_f32_e32 v21, 0x45800000, v15
	v_cndmask_b32_e32 v15, v15, v21, vcc_lo
	v_and_b32_e32 v17, 0xffff, v2
	v_lshrrev_b32_e32 v2, 16, v2
	s_delay_alu instid0(VALU_DEP_3) | instskip(NEXT) | instid1(VALU_DEP_2)
	v_dual_mul_f32 v10, v15, v10 :: v_dual_lshlrev_b32 v5, 3, v0
	v_cvt_f32_u32_e32 v2, v2
	s_delay_alu instid0(VALU_DEP_1)
	v_dual_mul_f32 v10, v10, v2 :: v_dual_and_b32 v19, 0xffff, v4
	v_mul_f32_e32 v14, v15, v14
	v_lshrrev_b32_e32 v4, 16, v4
	v_mul_f32_e32 v7, v15, v7
	v_mul_f32_e32 v8, v15, v8
	v_cvt_f32_u32_e32 v17, v17
	v_mul_f32_e32 v22, v15, v12
	v_cvt_f32_u32_e32 v4, v4
	v_mul_f32_e32 v9, v15, v9
	v_cvt_f32_u32_e32 v19, v19
	v_mul_f32_e32 v21, v15, v11
	s_delay_alu instid0(VALU_DEP_4) | instskip(SKIP_2) | instid1(VALU_DEP_3)
	v_dual_mul_f32 v11, v7, v1 :: v_dual_mul_f32 v4, v14, v4
	v_dual_mul_f32 v13, v15, v13 :: v_dual_and_b32 v14, 0x7fffffff, v10
	v_mul_f32_e32 v12, v8, v16
	v_and_b32_e32 v2, 0x7fffffff, v11
	v_dual_mul_f32 v8, v22, v3 :: v_dual_mul_f32 v9, v9, v17
	v_dual_mul_f32 v7, v21, v18 :: v_dual_and_b32 v18, 0x7fffffff, v4
	v_mul_f32_e32 v3, v13, v19
	v_and_b32_e32 v1, 0x7fffffff, v12
	;;#ASMSTART
	v_max3_f32 v1, v20, v1, v2

	;;#ASMEND
	v_and_b32_e32 v16, 0x7fffffff, v8
	v_and_b32_e32 v13, 0x7fffffff, v9
	;;#ASMSTART
	v_max3_f32 v1, v1, v13, v14

	;;#ASMEND
	v_and_b32_e32 v15, 0x7fffffff, v7
	v_and_b32_e32 v17, 0x7fffffff, v3
	;;#ASMSTART
	v_max3_f32 v1, v1, v15, v16

	;;#ASMEND
	;;#ASMSTART
	v_max3_f32 v13, v1, v17, v18

	;;#ASMEND
	s_cbranch_scc0 .LBB94_10
; %bb.4:
	s_ashr_i32 s11, s7, 31
	s_delay_alu instid0(SALU_CYCLE_1) | instskip(NEXT) | instid1(SALU_CYCLE_1)
	s_lshr_b32 s3, s11, 29
	s_add_i32 s3, s7, s3
	s_delay_alu instid0(SALU_CYCLE_1) | instskip(NEXT) | instid1(SALU_CYCLE_1)
	s_ashr_i32 s3, s3, 3
	s_cmp_lt_i32 s3, 8
	s_cbranch_scc1 .LBB94_11
; %bb.5:
	s_cmp_lt_i32 s3, 16
	s_cbranch_scc1 .LBB94_12
; %bb.6:
	;; [unrolled: 3-line block ×3, first 2 shown]
	v_mov_b32_e32 v1, v13
	s_cmp_eq_u32 s3, 32
	s_cbranch_scc0 .LBB94_9
; %bb.8:
	s_delay_alu instid0(VALU_DEP_1) | instskip(SKIP_1) | instid1(VALU_DEP_1)
	v_mov_b32_dpp v1, v13 quad_perm:[1,0,3,2] row_mask:0xf bank_mask:0xf
	s_mov_b32 s12, 0x76543210
	v_cmp_gt_f32_e32 vcc_lo, v13, v1
	v_cndmask_b32_e32 v1, v1, v13, vcc_lo
	s_delay_alu instid0(VALU_DEP_1) | instskip(NEXT) | instid1(VALU_DEP_1)
	v_mov_b32_dpp v2, v1 quad_perm:[2,3,0,1] row_mask:0xf bank_mask:0xf
	v_cmp_gt_f32_e32 vcc_lo, v1, v2
	v_cndmask_b32_e32 v1, v2, v1, vcc_lo
	s_delay_alu instid0(VALU_DEP_1) | instskip(NEXT) | instid1(VALU_DEP_1)
	v_mov_b32_dpp v2, v1 row_xmask:7 row_mask:0xf bank_mask:0xf
	v_cmp_gt_f32_e32 vcc_lo, v1, v2
	v_cndmask_b32_e32 v1, v2, v1, vcc_lo
	s_delay_alu instid0(VALU_DEP_1) | instskip(NEXT) | instid1(VALU_DEP_1)
	v_mov_b32_dpp v2, v1 row_xmask:15 row_mask:0xf bank_mask:0xf
	v_cmp_gt_f32_e32 vcc_lo, v1, v2
	v_cndmask_b32_e32 v1, v2, v1, vcc_lo
	s_delay_alu instid0(VALU_DEP_1) | instskip(NEXT) | instid1(VALU_DEP_1)
	v_permlanex16_b32 v2, v1, s12, 0xfedcba98 op_sel:[1,1]
	v_cmp_gt_f32_e32 vcc_lo, v1, v2
	v_cndmask_b32_e32 v1, v2, v1, vcc_lo
.LBB94_9:
	s_mov_b32 s12, 0
	s_branch .LBB94_14
.LBB94_10:
	s_mov_b32 s3, 0
                                        ; implicit-def: $vgpr14
                                        ; implicit-def: $vgpr1_vgpr2
	s_and_b32 vcc_lo, exec_lo, s15
	s_cbranch_vccnz .LBB94_38
	s_branch .LBB94_41
.LBB94_11:
                                        ; implicit-def: $vgpr1
	s_branch .LBB94_21
.LBB94_12:
                                        ; implicit-def: $vgpr1
	s_branch .LBB94_18
.LBB94_13:
	s_mov_b32 s12, -1
                                        ; implicit-def: $vgpr1
.LBB94_14:
	s_delay_alu instid0(SALU_CYCLE_1)
	s_and_not1_b32 vcc_lo, exec_lo, s12
	s_cbranch_vccnz .LBB94_17
; %bb.15:
	v_mov_b32_e32 v1, v13
	s_cmp_eq_u32 s3, 16
	s_cbranch_scc0 .LBB94_17
; %bb.16:
	s_delay_alu instid0(VALU_DEP_1) | instskip(NEXT) | instid1(VALU_DEP_1)
	v_mov_b32_dpp v1, v13 quad_perm:[1,0,3,2] row_mask:0xf bank_mask:0xf
	v_cmp_gt_f32_e32 vcc_lo, v13, v1
	v_cndmask_b32_e32 v1, v1, v13, vcc_lo
	s_delay_alu instid0(VALU_DEP_1) | instskip(NEXT) | instid1(VALU_DEP_1)
	v_mov_b32_dpp v2, v1 quad_perm:[2,3,0,1] row_mask:0xf bank_mask:0xf
	v_cmp_gt_f32_e32 vcc_lo, v1, v2
	v_cndmask_b32_e32 v1, v2, v1, vcc_lo
	s_delay_alu instid0(VALU_DEP_1) | instskip(NEXT) | instid1(VALU_DEP_1)
	v_mov_b32_dpp v2, v1 row_half_mirror row_mask:0xf bank_mask:0xf
	v_cmp_gt_f32_e32 vcc_lo, v1, v2
	v_cndmask_b32_e32 v1, v2, v1, vcc_lo
	s_delay_alu instid0(VALU_DEP_1) | instskip(NEXT) | instid1(VALU_DEP_1)
	v_mov_b32_dpp v2, v1 row_mirror row_mask:0xf bank_mask:0xf
	v_cmp_gt_f32_e32 vcc_lo, v1, v2
	v_cndmask_b32_e32 v1, v2, v1, vcc_lo
.LBB94_17:
	s_cbranch_execnz .LBB94_20
.LBB94_18:
	v_mov_b32_e32 v1, v13
	s_cmp_eq_u32 s3, 8
	s_cbranch_scc0 .LBB94_20
; %bb.19:
	s_delay_alu instid0(VALU_DEP_1) | instskip(NEXT) | instid1(VALU_DEP_1)
	v_mov_b32_dpp v1, v13 quad_perm:[1,0,3,2] row_mask:0xf bank_mask:0xf
	v_cmp_gt_f32_e32 vcc_lo, v13, v1
	v_cndmask_b32_e32 v1, v1, v13, vcc_lo
	s_delay_alu instid0(VALU_DEP_1) | instskip(NEXT) | instid1(VALU_DEP_1)
	v_mov_b32_dpp v2, v1 quad_perm:[2,3,0,1] row_mask:0xf bank_mask:0xf
	v_cmp_gt_f32_e32 vcc_lo, v1, v2
	v_cndmask_b32_e32 v1, v2, v1, vcc_lo
	s_delay_alu instid0(VALU_DEP_1) | instskip(NEXT) | instid1(VALU_DEP_1)
	v_mov_b32_dpp v2, v1 row_half_mirror row_mask:0xf bank_mask:0xf
	v_cmp_gt_f32_e32 vcc_lo, v1, v2
	v_cndmask_b32_e32 v1, v2, v1, vcc_lo
.LBB94_20:
	s_cbranch_execnz .LBB94_28
.LBB94_21:
	s_cmp_lt_i32 s3, 4
	s_cbranch_scc1 .LBB94_24
; %bb.22:
	v_mov_b32_e32 v1, v13
	s_cmp_eq_u32 s3, 4
	s_cbranch_scc0 .LBB94_25
; %bb.23:
	s_delay_alu instid0(VALU_DEP_1) | instskip(NEXT) | instid1(VALU_DEP_1)
	v_mov_b32_dpp v1, v13 quad_perm:[1,0,3,2] row_mask:0xf bank_mask:0xf
	v_cmp_gt_f32_e32 vcc_lo, v13, v1
	v_cndmask_b32_e32 v1, v1, v13, vcc_lo
	s_delay_alu instid0(VALU_DEP_1) | instskip(NEXT) | instid1(VALU_DEP_1)
	v_mov_b32_dpp v2, v1 quad_perm:[2,3,0,1] row_mask:0xf bank_mask:0xf
	v_cmp_gt_f32_e32 vcc_lo, v1, v2
	v_cndmask_b32_e32 v1, v2, v1, vcc_lo
	s_cbranch_execz .LBB94_26
	s_branch .LBB94_28
.LBB94_24:
                                        ; implicit-def: $vgpr1
	s_branch .LBB94_26
.LBB94_25:
	s_cbranch_execnz .LBB94_28
.LBB94_26:
	v_mov_b32_e32 v1, v13
	s_cmp_lg_u32 s3, 2
	s_cbranch_scc1 .LBB94_28
; %bb.27:
	s_delay_alu instid0(VALU_DEP_1) | instskip(NEXT) | instid1(VALU_DEP_1)
	v_mov_b32_dpp v1, v13 quad_perm:[1,0,3,2] row_mask:0xf bank_mask:0xf
	v_cmp_gt_f32_e32 vcc_lo, v13, v1
	v_cndmask_b32_e32 v1, v1, v13, vcc_lo
.LBB94_28:
	v_cvt_f32_u32_e32 v2, s3
	s_sub_i32 s12, 0, s3
	s_mov_b32 s15, 0
	s_delay_alu instid0(VALU_DEP_1) | instskip(SKIP_2) | instid1(VALU_DEP_1)
	v_rcp_iflag_f32_e32 v2, v2
	s_waitcnt_depctr 0xfff
	v_mul_f32_e32 v2, 0x4f7ffffe, v2
	v_cvt_u32_f32_e32 v2, v2
	s_delay_alu instid0(VALU_DEP_1) | instskip(NEXT) | instid1(VALU_DEP_1)
	v_mul_lo_u32 v14, s12, v2
	v_mul_hi_u32 v14, v2, v14
	s_delay_alu instid0(VALU_DEP_1) | instskip(NEXT) | instid1(VALU_DEP_1)
	v_add_nc_u32_e32 v2, v2, v14
	v_mul_hi_u32 v2, v0, v2
	s_delay_alu instid0(VALU_DEP_1) | instskip(NEXT) | instid1(VALU_DEP_1)
	v_mul_lo_u32 v14, v2, s3
	v_sub_nc_u32_e32 v14, v0, v14
	s_delay_alu instid0(VALU_DEP_1) | instskip(SKIP_1) | instid1(VALU_DEP_2)
	v_subrev_nc_u32_e32 v16, s3, v14
	v_cmp_le_u32_e32 vcc_lo, s3, v14
	v_dual_cndmask_b32 v14, v14, v16 :: v_dual_add_nc_u32 v15, 1, v2
	s_delay_alu instid0(VALU_DEP_1) | instskip(NEXT) | instid1(VALU_DEP_2)
	v_cndmask_b32_e32 v2, v2, v15, vcc_lo
	v_cmp_le_u32_e32 vcc_lo, s3, v14
	s_delay_alu instid0(VALU_DEP_2) | instskip(NEXT) | instid1(VALU_DEP_1)
	v_dual_mul_f32 v14, 0x3c010204, v1 :: v_dual_add_nc_u32 v15, 1, v2
	v_cndmask_b32_e32 v15, v2, v15, vcc_lo
	v_cmp_gt_u32_e32 vcc_lo, s5, v5
	s_delay_alu instid0(VALU_DEP_2) | instskip(NEXT) | instid1(VALU_DEP_1)
	v_mul_lo_u32 v2, v15, s3
	v_sub_nc_u32_e32 v2, v0, v2
	s_delay_alu instid0(VALU_DEP_1) | instskip(NEXT) | instid1(VALU_DEP_1)
	v_cmp_eq_u32_e64 s3, 0, v2
                                        ; implicit-def: $vgpr1_vgpr2
	s_and_b32 s12, s3, vcc_lo
	s_mov_b32 s3, 0
	s_and_saveexec_b32 s13, s12
	s_delay_alu instid0(SALU_CYCLE_1)
	s_xor_b32 s14, exec_lo, s13
	s_cbranch_execz .LBB94_37
; %bb.29:
	s_bitcmp0_b32 s10, 0
	s_mov_b32 s16, 0
	s_cbranch_scc0 .LBB94_34
; %bb.30:
	s_ashr_i32 s3, s5, 31
	s_mul_hi_u32 s10, s5, s20
	s_mul_i32 s3, s3, s20
	s_mul_i32 s12, s5, s20
	s_add_i32 s13, s10, s3
	s_mov_b32 s10, s7
	s_delay_alu instid0(SALU_CYCLE_1) | instskip(NEXT) | instid1(SALU_CYCLE_1)
	s_or_b64 s[18:19], s[12:13], s[10:11]
	s_mov_b32 s17, s19
	s_delay_alu instid0(SALU_CYCLE_1)
	s_cmp_lg_u64 s[16:17], 0
	s_cbranch_scc0 .LBB94_45
; %bb.31:
	s_add_u32 s18, s10, s11
	s_mov_b32 s16, s11
	s_mov_b32 s17, s11
	s_addc_u32 s19, s11, s11
	s_delay_alu instid0(SALU_CYCLE_1) | instskip(NEXT) | instid1(SALU_CYCLE_1)
	s_xor_b64 s[18:19], s[18:19], s[16:17]
	v_cvt_f32_u32_e32 v1, s18
	v_cvt_f32_u32_e32 v2, s19
	s_sub_u32 s11, 0, s18
	s_subb_u32 s22, 0, s19
	s_delay_alu instid0(VALU_DEP_1) | instskip(NEXT) | instid1(VALU_DEP_1)
	v_fmamk_f32 v1, v2, 0x4f800000, v1
	v_rcp_f32_e32 v1, v1
	s_waitcnt_depctr 0xfff
	v_mul_f32_e32 v1, 0x5f7ffffc, v1
	s_delay_alu instid0(VALU_DEP_1) | instskip(NEXT) | instid1(VALU_DEP_1)
	v_mul_f32_e32 v2, 0x2f800000, v1
	v_trunc_f32_e32 v2, v2
	s_delay_alu instid0(VALU_DEP_1) | instskip(SKIP_1) | instid1(VALU_DEP_2)
	v_fmamk_f32 v1, v2, 0xcf800000, v1
	v_cvt_u32_f32_e32 v2, v2
	v_cvt_u32_f32_e32 v1, v1
	s_delay_alu instid0(VALU_DEP_2) | instskip(NEXT) | instid1(VALU_DEP_2)
	v_readfirstlane_b32 s3, v2
	v_readfirstlane_b32 s7, v1
	s_delay_alu instid0(VALU_DEP_2) | instskip(NEXT) | instid1(VALU_DEP_1)
	s_mul_i32 s23, s11, s3
	s_mul_hi_u32 s25, s11, s7
	s_mul_i32 s24, s22, s7
	s_add_i32 s23, s25, s23
	s_mul_i32 s26, s11, s7
	s_add_i32 s23, s23, s24
	s_mul_hi_u32 s25, s7, s26
	s_mul_hi_u32 s27, s3, s26
	s_mul_i32 s24, s3, s26
	s_mul_hi_u32 s26, s7, s23
	s_mul_i32 s7, s7, s23
	s_mul_hi_u32 s28, s3, s23
	s_add_u32 s7, s25, s7
	s_addc_u32 s25, 0, s26
	s_add_u32 s7, s7, s24
	s_mul_i32 s23, s3, s23
	s_addc_u32 s7, s25, s27
	s_addc_u32 s24, s28, 0
	s_add_u32 s7, s7, s23
	s_addc_u32 s23, 0, s24
	v_add_co_u32 v1, s7, v1, s7
	s_delay_alu instid0(VALU_DEP_1) | instskip(SKIP_1) | instid1(VALU_DEP_1)
	s_cmp_lg_u32 s7, 0
	s_addc_u32 s3, s3, s23
	v_readfirstlane_b32 s7, v1
	s_mul_i32 s23, s11, s3
	s_delay_alu instid0(VALU_DEP_1)
	s_mul_hi_u32 s24, s11, s7
	s_mul_i32 s22, s22, s7
	s_add_i32 s23, s24, s23
	s_mul_i32 s11, s11, s7
	s_add_i32 s23, s23, s22
	s_mul_hi_u32 s24, s3, s11
	s_mul_i32 s25, s3, s11
	s_mul_hi_u32 s11, s7, s11
	s_mul_hi_u32 s26, s7, s23
	s_mul_i32 s7, s7, s23
	s_mul_hi_u32 s22, s3, s23
	s_add_u32 s7, s11, s7
	s_addc_u32 s11, 0, s26
	s_add_u32 s7, s7, s25
	s_mul_i32 s23, s3, s23
	s_addc_u32 s7, s11, s24
	s_addc_u32 s11, s22, 0
	s_add_u32 s7, s7, s23
	s_addc_u32 s11, 0, s11
	v_add_co_u32 v1, s7, v1, s7
	s_delay_alu instid0(VALU_DEP_1) | instskip(SKIP_2) | instid1(VALU_DEP_1)
	s_cmp_lg_u32 s7, 0
	s_addc_u32 s3, s3, s11
	s_ashr_i32 s22, s13, 31
	v_readfirstlane_b32 s7, v1
	s_add_u32 s24, s12, s22
	s_mov_b32 s23, s22
	s_addc_u32 s25, s13, s22
	s_delay_alu instid0(SALU_CYCLE_1) | instskip(NEXT) | instid1(SALU_CYCLE_1)
	s_xor_b64 s[24:25], s[24:25], s[22:23]
	s_mul_i32 s13, s24, s3
	s_mul_hi_u32 s26, s24, s7
	s_mul_hi_u32 s11, s24, s3
	;; [unrolled: 1-line block ×3, first 2 shown]
	s_mul_i32 s7, s25, s7
	s_add_u32 s13, s26, s13
	s_addc_u32 s11, 0, s11
	s_mul_hi_u32 s27, s25, s3
	s_add_u32 s7, s13, s7
	s_mul_i32 s3, s25, s3
	s_addc_u32 s7, s11, s28
	s_addc_u32 s11, s27, 0
	s_add_u32 s7, s7, s3
	s_addc_u32 s11, 0, s11
	s_mul_i32 s27, s18, s7
	s_mul_hi_u32 s3, s18, s7
	s_mul_i32 s26, s18, s11
	v_sub_co_u32 v1, s24, s24, s27
	s_mul_i32 s13, s19, s7
	s_add_i32 s3, s3, s26
	s_delay_alu instid0(SALU_CYCLE_1) | instskip(NEXT) | instid1(VALU_DEP_1)
	s_add_i32 s3, s3, s13
	v_sub_co_u32 v2, s26, v1, s18
	s_sub_i32 s13, s25, s3
	s_cmp_lg_u32 s24, 0
	s_subb_u32 s13, s13, s19
	s_cmp_lg_u32 s26, 0
	v_cmp_le_u32_e32 vcc_lo, s18, v2
	s_subb_u32 s13, s13, 0
	s_delay_alu instid0(SALU_CYCLE_1)
	s_cmp_ge_u32 s13, s19
	v_cndmask_b32_e64 v2, 0, -1, vcc_lo
	s_cselect_b32 s26, -1, 0
	s_cmp_eq_u32 s13, s19
	s_cselect_b32 vcc_lo, -1, 0
	s_add_u32 s13, s7, 1
	v_cndmask_b32_e32 v2, s26, v2, vcc_lo
	s_addc_u32 s26, s11, 0
	s_add_u32 s27, s7, 2
	s_addc_u32 s28, s11, 0
	s_cmp_lg_u32 s24, 0
	v_cmp_le_u32_e32 vcc_lo, s18, v1
	s_subb_u32 s3, s25, s3
	v_mov_b32_e32 v16, s27
	s_cmp_ge_u32 s3, s19
	v_cndmask_b32_e64 v1, 0, -1, vcc_lo
	s_cselect_b32 s18, -1, 0
	s_cmp_eq_u32 s3, s19
	v_cmp_ne_u32_e32 vcc_lo, 0, v2
	v_mov_b32_e32 v2, s28
	s_cselect_b32 s3, -1, 0
	s_xor_b64 s[16:17], s[22:23], s[16:17]
	v_cndmask_b32_e64 v1, s18, v1, s3
	v_cndmask_b32_e32 v16, s13, v16, vcc_lo
	v_cndmask_b32_e32 v2, s26, v2, vcc_lo
	s_delay_alu instid0(VALU_DEP_3) | instskip(NEXT) | instid1(VALU_DEP_2)
	v_cmp_ne_u32_e32 vcc_lo, 0, v1
	v_cndmask_b32_e32 v1, s11, v2, vcc_lo
	s_delay_alu instid0(VALU_DEP_4) | instskip(NEXT) | instid1(VALU_DEP_2)
	v_cndmask_b32_e32 v2, s7, v16, vcc_lo
	v_xor_b32_e32 v16, s17, v1
	s_delay_alu instid0(VALU_DEP_2) | instskip(NEXT) | instid1(VALU_DEP_1)
	v_xor_b32_e32 v2, s16, v2
	v_sub_co_u32 v1, vcc_lo, v2, s16
	s_delay_alu instid0(VALU_DEP_3)
	v_subrev_co_ci_u32_e32 v2, vcc_lo, s17, v16, vcc_lo
	s_cbranch_execnz .LBB94_33
.LBB94_32:
	v_cvt_f32_u32_e32 v1, s10
	s_sub_i32 s7, 0, s10
	s_delay_alu instid0(VALU_DEP_1) | instskip(SKIP_2) | instid1(VALU_DEP_1)
	v_rcp_iflag_f32_e32 v1, v1
	s_waitcnt_depctr 0xfff
	v_mul_f32_e32 v1, 0x4f7ffffe, v1
	v_cvt_u32_f32_e32 v1, v1
	s_delay_alu instid0(VALU_DEP_1) | instskip(NEXT) | instid1(VALU_DEP_1)
	v_readfirstlane_b32 s3, v1
	s_mul_i32 s7, s7, s3
	s_delay_alu instid0(SALU_CYCLE_1) | instskip(NEXT) | instid1(SALU_CYCLE_1)
	s_mul_hi_u32 s7, s3, s7
	s_add_i32 s3, s3, s7
	s_delay_alu instid0(SALU_CYCLE_1) | instskip(NEXT) | instid1(SALU_CYCLE_1)
	s_mul_hi_u32 s3, s12, s3
	s_mul_i32 s7, s3, s10
	s_add_i32 s11, s3, 1
	s_sub_i32 s7, s12, s7
	s_delay_alu instid0(SALU_CYCLE_1)
	s_sub_i32 s12, s7, s10
	s_cmp_ge_u32 s7, s10
	s_cselect_b32 s3, s11, s3
	s_cselect_b32 s7, s12, s7
	s_add_i32 s12, s3, 1
	s_cmp_ge_u32 s7, s10
	s_mov_b32 s11, 0
	s_cselect_b32 s10, s12, s3
	s_delay_alu instid0(SALU_CYCLE_1)
	v_dual_mov_b32 v1, s10 :: v_dual_mov_b32 v2, s11
.LBB94_33:
	s_delay_alu instid0(VALU_DEP_1) | instskip(NEXT) | instid1(VALU_DEP_2)
	v_add_co_u32 v1, vcc_lo, v1, v15
	v_add_co_ci_u32_e32 v2, vcc_lo, 0, v2, vcc_lo
	s_branch .LBB94_36
.LBB94_34:
                                        ; implicit-def: $vgpr1_vgpr2
	s_cbranch_execz .LBB94_36
; %bb.35:
	v_mul_lo_u32 v1, v15, s4
	s_delay_alu instid0(VALU_DEP_1) | instskip(SKIP_1) | instid1(VALU_DEP_2)
	v_ashrrev_i32_e32 v2, 31, v1
	v_add_co_u32 v1, vcc_lo, v1, s20
	v_add_co_ci_u32_e32 v2, vcc_lo, 0, v2, vcc_lo
.LBB94_36:
	s_mov_b32 s3, exec_lo
.LBB94_37:
	s_or_b32 exec_lo, exec_lo, s14
	s_delay_alu instid0(SALU_CYCLE_1)
	s_and_b32 vcc_lo, exec_lo, s15
	s_cbranch_vccz .LBB94_41
.LBB94_38:
	v_mov_b32_dpp v1, v13 quad_perm:[1,0,3,2] row_mask:0xf bank_mask:0xf
	s_delay_alu instid0(VALU_DEP_1) | instskip(SKIP_1) | instid1(VALU_DEP_1)
	v_cmp_gt_f32_e32 vcc_lo, v13, v1
	v_cndmask_b32_e32 v1, v1, v13, vcc_lo
	v_mov_b32_dpp v2, v1 quad_perm:[2,3,0,1] row_mask:0xf bank_mask:0xf
	s_delay_alu instid0(VALU_DEP_1) | instskip(SKIP_1) | instid1(VALU_DEP_1)
	v_cmp_gt_f32_e32 vcc_lo, v1, v2
	v_cndmask_b32_e32 v1, v2, v1, vcc_lo
	v_mov_b32_dpp v2, v1 row_xmask:7 row_mask:0xf bank_mask:0xf
	s_delay_alu instid0(VALU_DEP_1) | instskip(SKIP_1) | instid1(VALU_DEP_1)
	v_cmp_gt_f32_e32 vcc_lo, v1, v2
	v_cndmask_b32_e32 v1, v2, v1, vcc_lo
	v_mov_b32_dpp v2, v1 row_xmask:15 row_mask:0xf bank_mask:0xf
	s_delay_alu instid0(VALU_DEP_1)
	v_cmp_gt_f32_e32 vcc_lo, v1, v2
	s_and_saveexec_b32 s3, s2
	s_cbranch_execz .LBB94_40
; %bb.39:
	v_cndmask_b32_e32 v1, v2, v1, vcc_lo
	v_lshrrev_b32_e32 v2, 3, v0
	s_mov_b32 s2, 0x76543210
	s_delay_alu instid0(VALU_DEP_1) | instskip(NEXT) | instid1(VALU_DEP_3)
	v_and_b32_e32 v2, 0x7c, v2
	v_permlanex16_b32 v13, v1, s2, 0xfedcba98 op_sel:[1,1]
	s_delay_alu instid0(VALU_DEP_1)
	v_cmp_gt_f32_e32 vcc_lo, v1, v13
	v_cndmask_b32_e32 v1, v13, v1, vcc_lo
	ds_store_b32 v2, v1
.LBB94_40:
	s_or_b32 exec_lo, exec_lo, s3
	s_waitcnt lgkmcnt(0)
	s_barrier
	buffer_gl0_inv
	ds_load_b32 v1, v6
	v_cmp_eq_u32_e64 s3, 0, v0
	s_waitcnt lgkmcnt(0)
	v_mov_b32_dpp v2, v1 quad_perm:[1,0,3,2] row_mask:0xf bank_mask:0xf
	s_delay_alu instid0(VALU_DEP_1) | instskip(SKIP_1) | instid1(VALU_DEP_1)
	v_cmp_gt_f32_e32 vcc_lo, v1, v2
	v_cndmask_b32_e32 v1, v2, v1, vcc_lo
	v_mov_b32_dpp v2, v1 quad_perm:[2,3,0,1] row_mask:0xf bank_mask:0xf
	s_delay_alu instid0(VALU_DEP_1) | instskip(SKIP_1) | instid1(VALU_DEP_1)
	v_cmp_gt_f32_e32 vcc_lo, v1, v2
	v_cndmask_b32_e32 v1, v2, v1, vcc_lo
	v_dual_mul_f32 v14, 0x3c010204, v1 :: v_dual_mov_b32 v1, s20
	v_mov_b32_e32 v2, s21
.LBB94_41:
	s_and_saveexec_b32 s2, s3
	s_cbranch_execz .LBB94_43
; %bb.42:
	s_delay_alu instid0(VALU_DEP_1) | instskip(NEXT) | instid1(VALU_DEP_1)
	v_lshlrev_b64 v[0:1], 2, v[1:2]
	v_add_co_u32 v0, vcc_lo, s8, v0
	s_delay_alu instid0(VALU_DEP_2)
	v_add_co_ci_u32_e32 v1, vcc_lo, s9, v1, vcc_lo
	global_store_b32 v[0:1], v14, off
.LBB94_43:
	s_or_b32 exec_lo, exec_lo, s2
	;;#ASMSTART
	v_rcp_f32 v0, v14
	;;#ASMEND
	v_mul_f32_e32 v7, v7, v0
	v_mul_f32_e32 v1, v12, v0
	;; [unrolled: 1-line block ×4, first 2 shown]
	s_load_b64 s[0:1], s[0:1], 0x0
	v_cvt_i32_f32_e32 v7, v7
	v_mul_f32_e32 v2, v11, v0
	v_cvt_i32_f32_e32 v1, v1
	v_mul_f32_e32 v6, v9, v0
	v_cvt_i32_f32_e32 v4, v4
	v_and_b32_e32 v7, 0xff, v7
	v_cvt_i32_f32_e32 v2, v2
	v_and_b32_e32 v1, 0xff, v1
	s_add_i32 s2, s5, 3
	v_lshlrev_b16 v4, 8, v4
	s_ashr_i32 s3, s2, 31
	v_lshlrev_b16 v2, 8, v2
	s_lshr_b32 s3, s3, 30
	s_mul_hi_u32 s4, s6, s20
	s_add_i32 s2, s2, s3
	s_ashr_i32 s3, s6, 31
	v_or_b32_e32 v1, v1, v2
	v_mul_f32_e32 v9, v10, v0
	v_mul_f32_e32 v0, v3, v0
	v_cvt_i32_f32_e32 v3, v6
	s_mul_i32 s3, s3, s20
	s_mul_i32 s5, s6, s20
	s_and_b32 s2, s2, -4
	v_cvt_i32_f32_e32 v0, v0
	v_and_b32_e32 v3, 0xff, v3
	v_cvt_i32_f32_e32 v6, v8
	s_add_i32 s4, s4, s3
	s_waitcnt lgkmcnt(0)
	s_add_u32 s0, s0, s5
	v_and_b32_e32 v0, 0xff, v0
	s_addc_u32 s1, s1, s4
	v_lshlrev_b16 v6, 8, v6
	s_and_b32 s1, s1, 0xffff
	s_mov_b32 s3, -1
	v_or_b32_e32 v0, v0, v4
	v_and_b32_e32 v4, 0xffff, v1
	v_cvt_i32_f32_e32 v8, v9
	v_or_b32_e32 v6, v7, v6
	s_delay_alu instid0(VALU_DEP_4) | instskip(NEXT) | instid1(VALU_DEP_3)
	v_lshlrev_b32_e32 v0, 16, v0
	v_lshlrev_b16 v8, 8, v8
	s_delay_alu instid0(VALU_DEP_1) | instskip(NEXT) | instid1(VALU_DEP_4)
	v_or_b32_e32 v2, v3, v8
	v_and_b32_e32 v3, 0xffff, v6
	s_delay_alu instid0(VALU_DEP_2) | instskip(NEXT) | instid1(VALU_DEP_2)
	v_lshlrev_b32_e32 v2, 16, v2
	v_or_b32_e32 v1, v3, v0
	s_delay_alu instid0(VALU_DEP_2)
	v_or_b32_e32 v0, v4, v2
	buffer_store_b64 v[0:1], v5, s[0:3], 0 offen
	;;#ASMSTART
	s_nop 0
	;;#ASMEND
.LBB94_44:
	s_nop 0
	s_sendmsg sendmsg(MSG_DEALLOC_VGPRS)
	s_endpgm
.LBB94_45:
                                        ; implicit-def: $vgpr1_vgpr2
	s_branch .LBB94_32
	.section	.rodata,"a",@progbits
	.p2align	6, 0x0
	.amdhsa_kernel _ZN5aiter24add_rmsnorm_quant_kernelItaLi128ELi8ELb0ELb1ELb1ELi1EEEvPT0_PT_PfS4_S4_S4_diiiiiiib
		.amdhsa_group_segment_fixed_size 32
		.amdhsa_private_segment_fixed_size 0
		.amdhsa_kernarg_size 88
		.amdhsa_user_sgpr_count 15
		.amdhsa_user_sgpr_dispatch_ptr 0
		.amdhsa_user_sgpr_queue_ptr 0
		.amdhsa_user_sgpr_kernarg_segment_ptr 1
		.amdhsa_user_sgpr_dispatch_id 0
		.amdhsa_user_sgpr_private_segment_size 0
		.amdhsa_wavefront_size32 1
		.amdhsa_uses_dynamic_stack 0
		.amdhsa_enable_private_segment 0
		.amdhsa_system_sgpr_workgroup_id_x 1
		.amdhsa_system_sgpr_workgroup_id_y 0
		.amdhsa_system_sgpr_workgroup_id_z 0
		.amdhsa_system_sgpr_workgroup_info 0
		.amdhsa_system_vgpr_workitem_id 0
		.amdhsa_next_free_vgpr 23
		.amdhsa_next_free_sgpr 29
		.amdhsa_reserve_vcc 1
		.amdhsa_float_round_mode_32 0
		.amdhsa_float_round_mode_16_64 0
		.amdhsa_float_denorm_mode_32 3
		.amdhsa_float_denorm_mode_16_64 3
		.amdhsa_dx10_clamp 1
		.amdhsa_ieee_mode 1
		.amdhsa_fp16_overflow 0
		.amdhsa_workgroup_processor_mode 1
		.amdhsa_memory_ordered 1
		.amdhsa_forward_progress 0
		.amdhsa_shared_vgpr_count 0
		.amdhsa_exception_fp_ieee_invalid_op 0
		.amdhsa_exception_fp_denorm_src 0
		.amdhsa_exception_fp_ieee_div_zero 0
		.amdhsa_exception_fp_ieee_overflow 0
		.amdhsa_exception_fp_ieee_underflow 0
		.amdhsa_exception_fp_ieee_inexact 0
		.amdhsa_exception_int_div_zero 0
	.end_amdhsa_kernel
	.section	.text._ZN5aiter24add_rmsnorm_quant_kernelItaLi128ELi8ELb0ELb1ELb1ELi1EEEvPT0_PT_PfS4_S4_S4_diiiiiiib,"axG",@progbits,_ZN5aiter24add_rmsnorm_quant_kernelItaLi128ELi8ELb0ELb1ELb1ELi1EEEvPT0_PT_PfS4_S4_S4_diiiiiiib,comdat
.Lfunc_end94:
	.size	_ZN5aiter24add_rmsnorm_quant_kernelItaLi128ELi8ELb0ELb1ELb1ELi1EEEvPT0_PT_PfS4_S4_S4_diiiiiiib, .Lfunc_end94-_ZN5aiter24add_rmsnorm_quant_kernelItaLi128ELi8ELb0ELb1ELb1ELi1EEEvPT0_PT_PfS4_S4_S4_diiiiiiib
                                        ; -- End function
	.section	.AMDGPU.csdata,"",@progbits
; Kernel info:
; codeLenInByte = 3256
; NumSgprs: 31
; NumVgprs: 23
; ScratchSize: 0
; MemoryBound: 0
; FloatMode: 240
; IeeeMode: 1
; LDSByteSize: 32 bytes/workgroup (compile time only)
; SGPRBlocks: 3
; VGPRBlocks: 2
; NumSGPRsForWavesPerEU: 31
; NumVGPRsForWavesPerEU: 23
; Occupancy: 16
; WaveLimiterHint : 0
; COMPUTE_PGM_RSRC2:SCRATCH_EN: 0
; COMPUTE_PGM_RSRC2:USER_SGPR: 15
; COMPUTE_PGM_RSRC2:TRAP_HANDLER: 0
; COMPUTE_PGM_RSRC2:TGID_X_EN: 1
; COMPUTE_PGM_RSRC2:TGID_Y_EN: 0
; COMPUTE_PGM_RSRC2:TGID_Z_EN: 0
; COMPUTE_PGM_RSRC2:TIDIG_COMP_CNT: 0
	.section	.text._ZN5aiter24add_rmsnorm_quant_kernelIDF16_aLi128ELi8ELb0ELb1ELb0ELi1EEEvPT0_PT_PfS4_S4_S4_diiiiiiib,"axG",@progbits,_ZN5aiter24add_rmsnorm_quant_kernelIDF16_aLi128ELi8ELb0ELb1ELb0ELi1EEEvPT0_PT_PfS4_S4_S4_diiiiiiib,comdat
	.protected	_ZN5aiter24add_rmsnorm_quant_kernelIDF16_aLi128ELi8ELb0ELb1ELb0ELi1EEEvPT0_PT_PfS4_S4_S4_diiiiiiib ; -- Begin function _ZN5aiter24add_rmsnorm_quant_kernelIDF16_aLi128ELi8ELb0ELb1ELb0ELi1EEEvPT0_PT_PfS4_S4_S4_diiiiiiib
	.globl	_ZN5aiter24add_rmsnorm_quant_kernelIDF16_aLi128ELi8ELb0ELb1ELb0ELi1EEEvPT0_PT_PfS4_S4_S4_diiiiiiib
	.p2align	8
	.type	_ZN5aiter24add_rmsnorm_quant_kernelIDF16_aLi128ELi8ELb0ELb1ELb0ELi1EEEvPT0_PT_PfS4_S4_S4_diiiiiiib,@function
_ZN5aiter24add_rmsnorm_quant_kernelIDF16_aLi128ELi8ELb0ELb1ELb0ELi1EEEvPT0_PT_PfS4_S4_S4_diiiiiiib: ; @_ZN5aiter24add_rmsnorm_quant_kernelIDF16_aLi128ELi8ELb0ELb1ELb0ELi1EEEvPT0_PT_PfS4_S4_S4_diiiiiiib
; %bb.0:
	s_load_b128 s[4:7], s[0:1], 0x38
	s_mov_b32 s20, s15
	s_mov_b32 s21, 0
	s_waitcnt lgkmcnt(0)
	s_ashr_i32 s3, s4, 31
	s_mov_b32 s2, s4
	s_delay_alu instid0(SALU_CYCLE_1) | instskip(NEXT) | instid1(VALU_DEP_1)
	v_cmp_ge_i64_e64 s2, s[20:21], s[2:3]
	s_and_b32 vcc_lo, exec_lo, s2
	s_cbranch_vccnz .LBB95_44
; %bb.1:
	s_clause 0x1
	s_load_b128 s[8:11], s[0:1], 0x10
	s_load_b128 s[16:19], s[0:1], 0x28
	s_ashr_i32 s2, s6, 31
	s_mul_hi_u32 s3, s6, s20
	s_mul_i32 s7, s2, s20
	s_mul_i32 s2, s6, s20
	s_add_i32 s3, s3, s7
	v_lshlrev_b32_e32 v1, 4, v0
	s_lshl_b64 s[2:3], s[2:3], 1
	s_mov_b32 s15, -1
	v_and_b32_e32 v15, 31, v0
	s_mov_b32 s27, s15
	s_waitcnt lgkmcnt(0)
	s_add_u32 s12, s10, s2
	s_addc_u32 s2, s11, s3
	s_add_i32 s3, s5, 1
	s_and_b32 s13, s2, 0xffff
	s_lshr_b32 s6, s3, 31
	s_mov_b32 s24, s16
	s_add_i32 s3, s3, s6
	s_and_b32 s25, s17, 0xffff
	s_lshl_b32 s3, s3, 1
	v_cmp_eq_u32_e64 s2, 31, v15
	s_and_b32 s14, s3, -4
	buffer_load_b128 v[9:12], v1, s[12:15], 0 offen glc slc
	s_mov_b32 s26, s14
	buffer_load_b128 v[1:4], v1, s[24:27], 0 offen
	s_waitcnt vmcnt(1)
	v_lshrrev_b32_e32 v5, 16, v9
	v_lshrrev_b32_e32 v13, 16, v10
	;; [unrolled: 1-line block ×4, first 2 shown]
	v_cvt_f32_f16_e32 v8, v10
	v_cvt_f32_f16_e32 v7, v5
	;; [unrolled: 1-line block ×4, first 2 shown]
	s_delay_alu instid0(VALU_DEP_3) | instskip(NEXT) | instid1(VALU_DEP_1)
	v_mul_f32_e32 v5, v7, v7
	v_fma_mix_f32 v5, v9, v9, v5 op_sel_hi:[1,1,0]
	v_cvt_f32_f16_e32 v9, v9
	s_delay_alu instid0(VALU_DEP_2) | instskip(NEXT) | instid1(VALU_DEP_1)
	v_fma_mix_f32 v5, v10, v10, v5 op_sel_hi:[1,1,0]
	v_fma_mix_f32 v5, v10, v10, v5 op_sel:[1,1,0] op_sel_hi:[1,1,0]
	v_cvt_f32_f16_e32 v10, v11
	s_delay_alu instid0(VALU_DEP_2) | instskip(NEXT) | instid1(VALU_DEP_1)
	v_fma_mix_f32 v5, v11, v11, v5 op_sel_hi:[1,1,0]
	v_fma_mix_f32 v5, v11, v11, v5 op_sel:[1,1,0] op_sel_hi:[1,1,0]
	;; [unrolled: 4-line block ×3, first 2 shown]
	v_cvt_f32_f16_e32 v12, v17
	s_delay_alu instid0(VALU_DEP_2) | instskip(NEXT) | instid1(VALU_DEP_1)
	v_mov_b32_dpp v6, v5 quad_perm:[1,0,3,2] row_mask:0xf bank_mask:0xf
	v_add_f32_e32 v5, v5, v6
	s_delay_alu instid0(VALU_DEP_1) | instskip(NEXT) | instid1(VALU_DEP_1)
	v_mov_b32_dpp v6, v5 quad_perm:[2,3,0,1] row_mask:0xf bank_mask:0xf
	v_add_f32_e32 v5, v5, v6
	s_delay_alu instid0(VALU_DEP_1) | instskip(NEXT) | instid1(VALU_DEP_1)
	v_mov_b32_dpp v6, v5 row_xmask:7 row_mask:0xf bank_mask:0xf
	v_add_f32_e32 v5, v5, v6
	s_delay_alu instid0(VALU_DEP_1)
	v_mov_b32_dpp v6, v5 row_xmask:15 row_mask:0xf bank_mask:0xf
	s_and_saveexec_b32 s3, s2
	s_cbranch_execz .LBB95_3
; %bb.2:
	s_delay_alu instid0(VALU_DEP_1) | instskip(SKIP_2) | instid1(VALU_DEP_2)
	v_add_f32_e32 v5, v5, v6
	s_mov_b32 s6, 0x76543210
	v_lshrrev_b32_e32 v6, 3, v0
	v_permlanex16_b32 v15, v5, s6, 0xfedcba98 op_sel:[1,1]
	s_delay_alu instid0(VALU_DEP_1)
	v_dual_add_f32 v5, v5, v15 :: v_dual_and_b32 v6, 0x7c, v6
	ds_store_b32 v6, v5 offset:16
.LBB95_3:
	s_or_b32 exec_lo, exec_lo, s3
	v_and_b32_e32 v5, 3, v0
	s_waitcnt vmcnt(0) lgkmcnt(0)
	s_barrier
	buffer_gl0_inv
	v_cvt_f32_i32_e32 v16, s5
	v_lshlrev_b32_e32 v6, 2, v5
	ds_load_b32 v5, v6 offset:16
	s_clause 0x1
	s_load_b64 s[6:7], s[0:1], 0x4c
	s_load_b32 s10, s[0:1], 0x54
	s_waitcnt lgkmcnt(0)
	s_cmp_lg_u32 s7, 0
	v_mov_b32_dpp v15, v5 quad_perm:[1,0,3,2] row_mask:0xf bank_mask:0xf
	s_delay_alu instid0(VALU_DEP_1) | instskip(NEXT) | instid1(VALU_DEP_1)
	v_add_f32_e32 v5, v5, v15
	v_mov_b32_dpp v15, v5 quad_perm:[2,3,0,1] row_mask:0xf bank_mask:0xf
	s_delay_alu instid0(VALU_DEP_1) | instskip(NEXT) | instid1(VALU_DEP_1)
	v_add_f32_e32 v5, v5, v15
	v_div_scale_f32 v15, null, v16, v16, v5
	v_div_scale_f32 v19, vcc_lo, v5, v16, v5
	s_delay_alu instid0(VALU_DEP_2) | instskip(SKIP_2) | instid1(VALU_DEP_1)
	v_rcp_f32_e32 v17, v15
	s_waitcnt_depctr 0xfff
	v_fma_f32 v18, -v15, v17, 1.0
	v_fmac_f32_e32 v17, v18, v17
	s_delay_alu instid0(VALU_DEP_1) | instskip(NEXT) | instid1(VALU_DEP_1)
	v_mul_f32_e32 v18, v19, v17
	v_fma_f32 v20, -v15, v18, v19
	s_delay_alu instid0(VALU_DEP_1) | instskip(SKIP_2) | instid1(VALU_DEP_3)
	v_fmac_f32_e32 v18, v20, v17
	v_cvt_f32_f16_e32 v20, v4
	v_lshrrev_b32_e32 v4, 16, v4
	v_fma_f32 v15, -v15, v18, v19
	s_delay_alu instid0(VALU_DEP_2) | instskip(NEXT) | instid1(VALU_DEP_2)
	v_cvt_f32_f16_e32 v4, v4
	v_div_fmas_f32 v15, v15, v17, v18
	v_cvt_f32_f16_e32 v17, v2
	v_lshrrev_b32_e32 v2, 16, v2
	v_cvt_f32_f16_e32 v18, v3
	v_lshrrev_b32_e32 v3, 16, v3
	v_div_fixup_f32 v5, v15, v16, v5
	s_delay_alu instid0(VALU_DEP_4) | instskip(NEXT) | instid1(VALU_DEP_3)
	v_cvt_f32_f16_e32 v2, v2
	v_cvt_f32_f16_e32 v3, v3
	s_delay_alu instid0(VALU_DEP_3) | instskip(NEXT) | instid1(VALU_DEP_1)
	v_cvt_f64_f32_e32 v[15:16], v5
	v_add_f64 v[15:16], v[15:16], s[18:19]
	s_delay_alu instid0(VALU_DEP_1) | instskip(SKIP_2) | instid1(VALU_DEP_1)
	v_cvt_f32_f64_e32 v5, v[15:16]
	v_cvt_f32_f16_e32 v16, v1
	v_lshrrev_b32_e32 v1, 16, v1
	v_cvt_f32_f16_e32 v1, v1
	s_delay_alu instid0(VALU_DEP_4) | instskip(SKIP_1) | instid1(VALU_DEP_2)
	v_mul_f32_e32 v15, 0x4b800000, v5
	v_cmp_gt_f32_e32 vcc_lo, 0x800000, v5
	v_cndmask_b32_e32 v5, v5, v15, vcc_lo
	s_delay_alu instid0(VALU_DEP_1) | instskip(SKIP_2) | instid1(VALU_DEP_1)
	v_rsq_f32_e32 v15, v5
	s_waitcnt_depctr 0xfff
	v_mul_f32_e32 v19, 0x45800000, v15
	v_cndmask_b32_e32 v15, v15, v19, vcc_lo
	s_delay_alu instid0(VALU_DEP_1) | instskip(SKIP_1) | instid1(VALU_DEP_2)
	v_mul_f32_e32 v14, v15, v14
	v_mul_f32_e32 v19, v15, v10
	;; [unrolled: 1-line block ×3, first 2 shown]
	s_delay_alu instid0(VALU_DEP_1) | instskip(SKIP_3) | instid1(VALU_DEP_4)
	v_dual_mul_f32 v7, v15, v7 :: v_dual_and_b32 v14, 0x7fffffff, v10
	v_dual_mul_f32 v22, v15, v11 :: v_dual_lshlrev_b32 v5, 3, v0
	v_mul_f32_e32 v8, v15, v8
	v_mul_f32_e32 v13, v15, v13
	;; [unrolled: 1-line block ×5, first 2 shown]
	v_mov_b32_e32 v21, 0x2edbe6ff
	s_delay_alu instid0(VALU_DEP_4) | instskip(NEXT) | instid1(VALU_DEP_4)
	v_dual_mul_f32 v7, v19, v18 :: v_dual_and_b32 v2, 0x7fffffff, v11
	v_dual_mul_f32 v12, v9, v16 :: v_dual_mul_f32 v9, v8, v17
	s_delay_alu instid0(VALU_DEP_4) | instskip(SKIP_1) | instid1(VALU_DEP_3)
	v_mul_f32_e32 v4, v15, v4
	v_dual_mul_f32 v8, v13, v3 :: v_dual_mul_f32 v3, v22, v20
	v_and_b32_e32 v1, 0x7fffffff, v12
	;;#ASMSTART
	v_max3_f32 v1, v21, v1, v2

	;;#ASMEND
	v_and_b32_e32 v13, 0x7fffffff, v9
	;;#ASMSTART
	v_max3_f32 v1, v1, v13, v14

	;;#ASMEND
	v_and_b32_e32 v15, 0x7fffffff, v7
	v_and_b32_e32 v16, 0x7fffffff, v8
	;; [unrolled: 1-line block ×4, first 2 shown]
	;;#ASMSTART
	v_max3_f32 v1, v1, v15, v16

	;;#ASMEND
	;;#ASMSTART
	v_max3_f32 v13, v1, v17, v18

	;;#ASMEND
	s_cbranch_scc0 .LBB95_10
; %bb.4:
	s_ashr_i32 s11, s7, 31
	s_delay_alu instid0(SALU_CYCLE_1) | instskip(NEXT) | instid1(SALU_CYCLE_1)
	s_lshr_b32 s3, s11, 29
	s_add_i32 s3, s7, s3
	s_delay_alu instid0(SALU_CYCLE_1) | instskip(NEXT) | instid1(SALU_CYCLE_1)
	s_ashr_i32 s3, s3, 3
	s_cmp_lt_i32 s3, 8
	s_cbranch_scc1 .LBB95_11
; %bb.5:
	s_cmp_lt_i32 s3, 16
	s_cbranch_scc1 .LBB95_12
; %bb.6:
	;; [unrolled: 3-line block ×3, first 2 shown]
	v_mov_b32_e32 v1, v13
	s_cmp_eq_u32 s3, 32
	s_cbranch_scc0 .LBB95_9
; %bb.8:
	s_delay_alu instid0(VALU_DEP_1) | instskip(SKIP_1) | instid1(VALU_DEP_1)
	v_mov_b32_dpp v1, v13 quad_perm:[1,0,3,2] row_mask:0xf bank_mask:0xf
	s_mov_b32 s12, 0x76543210
	v_cmp_gt_f32_e32 vcc_lo, v13, v1
	v_cndmask_b32_e32 v1, v1, v13, vcc_lo
	s_delay_alu instid0(VALU_DEP_1) | instskip(NEXT) | instid1(VALU_DEP_1)
	v_mov_b32_dpp v2, v1 quad_perm:[2,3,0,1] row_mask:0xf bank_mask:0xf
	v_cmp_gt_f32_e32 vcc_lo, v1, v2
	v_cndmask_b32_e32 v1, v2, v1, vcc_lo
	s_delay_alu instid0(VALU_DEP_1) | instskip(NEXT) | instid1(VALU_DEP_1)
	v_mov_b32_dpp v2, v1 row_xmask:7 row_mask:0xf bank_mask:0xf
	v_cmp_gt_f32_e32 vcc_lo, v1, v2
	v_cndmask_b32_e32 v1, v2, v1, vcc_lo
	s_delay_alu instid0(VALU_DEP_1) | instskip(NEXT) | instid1(VALU_DEP_1)
	v_mov_b32_dpp v2, v1 row_xmask:15 row_mask:0xf bank_mask:0xf
	v_cmp_gt_f32_e32 vcc_lo, v1, v2
	v_cndmask_b32_e32 v1, v2, v1, vcc_lo
	s_delay_alu instid0(VALU_DEP_1) | instskip(NEXT) | instid1(VALU_DEP_1)
	v_permlanex16_b32 v2, v1, s12, 0xfedcba98 op_sel:[1,1]
	v_cmp_gt_f32_e32 vcc_lo, v1, v2
	v_cndmask_b32_e32 v1, v2, v1, vcc_lo
.LBB95_9:
	s_mov_b32 s12, 0
	s_branch .LBB95_14
.LBB95_10:
	s_mov_b32 s3, 0
                                        ; implicit-def: $vgpr14
                                        ; implicit-def: $vgpr1_vgpr2
	s_and_b32 vcc_lo, exec_lo, s15
	s_cbranch_vccnz .LBB95_38
	s_branch .LBB95_41
.LBB95_11:
                                        ; implicit-def: $vgpr1
	s_branch .LBB95_21
.LBB95_12:
                                        ; implicit-def: $vgpr1
	s_branch .LBB95_18
.LBB95_13:
	s_mov_b32 s12, -1
                                        ; implicit-def: $vgpr1
.LBB95_14:
	s_delay_alu instid0(SALU_CYCLE_1)
	s_and_not1_b32 vcc_lo, exec_lo, s12
	s_cbranch_vccnz .LBB95_17
; %bb.15:
	v_mov_b32_e32 v1, v13
	s_cmp_eq_u32 s3, 16
	s_cbranch_scc0 .LBB95_17
; %bb.16:
	s_delay_alu instid0(VALU_DEP_1) | instskip(NEXT) | instid1(VALU_DEP_1)
	v_mov_b32_dpp v1, v13 quad_perm:[1,0,3,2] row_mask:0xf bank_mask:0xf
	v_cmp_gt_f32_e32 vcc_lo, v13, v1
	v_cndmask_b32_e32 v1, v1, v13, vcc_lo
	s_delay_alu instid0(VALU_DEP_1) | instskip(NEXT) | instid1(VALU_DEP_1)
	v_mov_b32_dpp v2, v1 quad_perm:[2,3,0,1] row_mask:0xf bank_mask:0xf
	v_cmp_gt_f32_e32 vcc_lo, v1, v2
	v_cndmask_b32_e32 v1, v2, v1, vcc_lo
	s_delay_alu instid0(VALU_DEP_1) | instskip(NEXT) | instid1(VALU_DEP_1)
	v_mov_b32_dpp v2, v1 row_half_mirror row_mask:0xf bank_mask:0xf
	v_cmp_gt_f32_e32 vcc_lo, v1, v2
	v_cndmask_b32_e32 v1, v2, v1, vcc_lo
	s_delay_alu instid0(VALU_DEP_1) | instskip(NEXT) | instid1(VALU_DEP_1)
	v_mov_b32_dpp v2, v1 row_mirror row_mask:0xf bank_mask:0xf
	v_cmp_gt_f32_e32 vcc_lo, v1, v2
	v_cndmask_b32_e32 v1, v2, v1, vcc_lo
.LBB95_17:
	s_cbranch_execnz .LBB95_20
.LBB95_18:
	v_mov_b32_e32 v1, v13
	s_cmp_eq_u32 s3, 8
	s_cbranch_scc0 .LBB95_20
; %bb.19:
	s_delay_alu instid0(VALU_DEP_1) | instskip(NEXT) | instid1(VALU_DEP_1)
	v_mov_b32_dpp v1, v13 quad_perm:[1,0,3,2] row_mask:0xf bank_mask:0xf
	v_cmp_gt_f32_e32 vcc_lo, v13, v1
	v_cndmask_b32_e32 v1, v1, v13, vcc_lo
	s_delay_alu instid0(VALU_DEP_1) | instskip(NEXT) | instid1(VALU_DEP_1)
	v_mov_b32_dpp v2, v1 quad_perm:[2,3,0,1] row_mask:0xf bank_mask:0xf
	v_cmp_gt_f32_e32 vcc_lo, v1, v2
	v_cndmask_b32_e32 v1, v2, v1, vcc_lo
	s_delay_alu instid0(VALU_DEP_1) | instskip(NEXT) | instid1(VALU_DEP_1)
	v_mov_b32_dpp v2, v1 row_half_mirror row_mask:0xf bank_mask:0xf
	v_cmp_gt_f32_e32 vcc_lo, v1, v2
	v_cndmask_b32_e32 v1, v2, v1, vcc_lo
.LBB95_20:
	s_cbranch_execnz .LBB95_28
.LBB95_21:
	s_cmp_lt_i32 s3, 4
	s_cbranch_scc1 .LBB95_24
; %bb.22:
	v_mov_b32_e32 v1, v13
	s_cmp_eq_u32 s3, 4
	s_cbranch_scc0 .LBB95_25
; %bb.23:
	s_delay_alu instid0(VALU_DEP_1) | instskip(NEXT) | instid1(VALU_DEP_1)
	v_mov_b32_dpp v1, v13 quad_perm:[1,0,3,2] row_mask:0xf bank_mask:0xf
	v_cmp_gt_f32_e32 vcc_lo, v13, v1
	v_cndmask_b32_e32 v1, v1, v13, vcc_lo
	s_delay_alu instid0(VALU_DEP_1) | instskip(NEXT) | instid1(VALU_DEP_1)
	v_mov_b32_dpp v2, v1 quad_perm:[2,3,0,1] row_mask:0xf bank_mask:0xf
	v_cmp_gt_f32_e32 vcc_lo, v1, v2
	v_cndmask_b32_e32 v1, v2, v1, vcc_lo
	s_cbranch_execz .LBB95_26
	s_branch .LBB95_28
.LBB95_24:
                                        ; implicit-def: $vgpr1
	s_branch .LBB95_26
.LBB95_25:
	s_cbranch_execnz .LBB95_28
.LBB95_26:
	v_mov_b32_e32 v1, v13
	s_cmp_lg_u32 s3, 2
	s_cbranch_scc1 .LBB95_28
; %bb.27:
	s_delay_alu instid0(VALU_DEP_1) | instskip(NEXT) | instid1(VALU_DEP_1)
	v_mov_b32_dpp v1, v13 quad_perm:[1,0,3,2] row_mask:0xf bank_mask:0xf
	v_cmp_gt_f32_e32 vcc_lo, v13, v1
	v_cndmask_b32_e32 v1, v1, v13, vcc_lo
.LBB95_28:
	v_cvt_f32_u32_e32 v2, s3
	s_sub_i32 s12, 0, s3
	s_mov_b32 s15, 0
	s_delay_alu instid0(VALU_DEP_1) | instskip(SKIP_2) | instid1(VALU_DEP_1)
	v_rcp_iflag_f32_e32 v2, v2
	s_waitcnt_depctr 0xfff
	v_mul_f32_e32 v2, 0x4f7ffffe, v2
	v_cvt_u32_f32_e32 v2, v2
	s_delay_alu instid0(VALU_DEP_1) | instskip(NEXT) | instid1(VALU_DEP_1)
	v_mul_lo_u32 v14, s12, v2
	v_mul_hi_u32 v14, v2, v14
	s_delay_alu instid0(VALU_DEP_1) | instskip(NEXT) | instid1(VALU_DEP_1)
	v_add_nc_u32_e32 v2, v2, v14
	v_mul_hi_u32 v2, v0, v2
	s_delay_alu instid0(VALU_DEP_1) | instskip(NEXT) | instid1(VALU_DEP_1)
	v_mul_lo_u32 v14, v2, s3
	v_sub_nc_u32_e32 v14, v0, v14
	s_delay_alu instid0(VALU_DEP_1) | instskip(SKIP_1) | instid1(VALU_DEP_2)
	v_subrev_nc_u32_e32 v16, s3, v14
	v_cmp_le_u32_e32 vcc_lo, s3, v14
	v_dual_cndmask_b32 v14, v14, v16 :: v_dual_add_nc_u32 v15, 1, v2
	s_delay_alu instid0(VALU_DEP_1) | instskip(NEXT) | instid1(VALU_DEP_2)
	v_cndmask_b32_e32 v2, v2, v15, vcc_lo
	v_cmp_le_u32_e32 vcc_lo, s3, v14
	s_delay_alu instid0(VALU_DEP_2) | instskip(NEXT) | instid1(VALU_DEP_1)
	v_dual_mul_f32 v14, 0x3c010204, v1 :: v_dual_add_nc_u32 v15, 1, v2
	v_cndmask_b32_e32 v15, v2, v15, vcc_lo
	v_cmp_gt_u32_e32 vcc_lo, s5, v5
	s_delay_alu instid0(VALU_DEP_2) | instskip(NEXT) | instid1(VALU_DEP_1)
	v_mul_lo_u32 v2, v15, s3
	v_sub_nc_u32_e32 v2, v0, v2
	s_delay_alu instid0(VALU_DEP_1) | instskip(NEXT) | instid1(VALU_DEP_1)
	v_cmp_eq_u32_e64 s3, 0, v2
                                        ; implicit-def: $vgpr1_vgpr2
	s_and_b32 s12, s3, vcc_lo
	s_mov_b32 s3, 0
	s_and_saveexec_b32 s13, s12
	s_delay_alu instid0(SALU_CYCLE_1)
	s_xor_b32 s14, exec_lo, s13
	s_cbranch_execz .LBB95_37
; %bb.29:
	s_bitcmp0_b32 s10, 0
	s_mov_b32 s16, 0
	s_cbranch_scc0 .LBB95_34
; %bb.30:
	s_ashr_i32 s3, s5, 31
	s_mul_hi_u32 s10, s5, s20
	s_mul_i32 s3, s3, s20
	s_mul_i32 s12, s5, s20
	s_add_i32 s13, s10, s3
	s_mov_b32 s10, s7
	s_delay_alu instid0(SALU_CYCLE_1) | instskip(NEXT) | instid1(SALU_CYCLE_1)
	s_or_b64 s[18:19], s[12:13], s[10:11]
	s_mov_b32 s17, s19
	s_delay_alu instid0(SALU_CYCLE_1)
	s_cmp_lg_u64 s[16:17], 0
	s_cbranch_scc0 .LBB95_45
; %bb.31:
	s_add_u32 s18, s10, s11
	s_mov_b32 s16, s11
	s_mov_b32 s17, s11
	s_addc_u32 s19, s11, s11
	s_delay_alu instid0(SALU_CYCLE_1) | instskip(NEXT) | instid1(SALU_CYCLE_1)
	s_xor_b64 s[18:19], s[18:19], s[16:17]
	v_cvt_f32_u32_e32 v1, s18
	v_cvt_f32_u32_e32 v2, s19
	s_sub_u32 s11, 0, s18
	s_subb_u32 s22, 0, s19
	s_delay_alu instid0(VALU_DEP_1) | instskip(NEXT) | instid1(VALU_DEP_1)
	v_fmamk_f32 v1, v2, 0x4f800000, v1
	v_rcp_f32_e32 v1, v1
	s_waitcnt_depctr 0xfff
	v_mul_f32_e32 v1, 0x5f7ffffc, v1
	s_delay_alu instid0(VALU_DEP_1) | instskip(NEXT) | instid1(VALU_DEP_1)
	v_mul_f32_e32 v2, 0x2f800000, v1
	v_trunc_f32_e32 v2, v2
	s_delay_alu instid0(VALU_DEP_1) | instskip(SKIP_1) | instid1(VALU_DEP_2)
	v_fmamk_f32 v1, v2, 0xcf800000, v1
	v_cvt_u32_f32_e32 v2, v2
	v_cvt_u32_f32_e32 v1, v1
	s_delay_alu instid0(VALU_DEP_2) | instskip(NEXT) | instid1(VALU_DEP_2)
	v_readfirstlane_b32 s3, v2
	v_readfirstlane_b32 s7, v1
	s_delay_alu instid0(VALU_DEP_2) | instskip(NEXT) | instid1(VALU_DEP_1)
	s_mul_i32 s23, s11, s3
	s_mul_hi_u32 s25, s11, s7
	s_mul_i32 s24, s22, s7
	s_add_i32 s23, s25, s23
	s_mul_i32 s26, s11, s7
	s_add_i32 s23, s23, s24
	s_mul_hi_u32 s25, s7, s26
	s_mul_hi_u32 s27, s3, s26
	s_mul_i32 s24, s3, s26
	s_mul_hi_u32 s26, s7, s23
	s_mul_i32 s7, s7, s23
	s_mul_hi_u32 s28, s3, s23
	s_add_u32 s7, s25, s7
	s_addc_u32 s25, 0, s26
	s_add_u32 s7, s7, s24
	s_mul_i32 s23, s3, s23
	s_addc_u32 s7, s25, s27
	s_addc_u32 s24, s28, 0
	s_add_u32 s7, s7, s23
	s_addc_u32 s23, 0, s24
	v_add_co_u32 v1, s7, v1, s7
	s_delay_alu instid0(VALU_DEP_1) | instskip(SKIP_1) | instid1(VALU_DEP_1)
	s_cmp_lg_u32 s7, 0
	s_addc_u32 s3, s3, s23
	v_readfirstlane_b32 s7, v1
	s_mul_i32 s23, s11, s3
	s_delay_alu instid0(VALU_DEP_1)
	s_mul_hi_u32 s24, s11, s7
	s_mul_i32 s22, s22, s7
	s_add_i32 s23, s24, s23
	s_mul_i32 s11, s11, s7
	s_add_i32 s23, s23, s22
	s_mul_hi_u32 s24, s3, s11
	s_mul_i32 s25, s3, s11
	s_mul_hi_u32 s11, s7, s11
	s_mul_hi_u32 s26, s7, s23
	s_mul_i32 s7, s7, s23
	s_mul_hi_u32 s22, s3, s23
	s_add_u32 s7, s11, s7
	s_addc_u32 s11, 0, s26
	s_add_u32 s7, s7, s25
	s_mul_i32 s23, s3, s23
	s_addc_u32 s7, s11, s24
	s_addc_u32 s11, s22, 0
	s_add_u32 s7, s7, s23
	s_addc_u32 s11, 0, s11
	v_add_co_u32 v1, s7, v1, s7
	s_delay_alu instid0(VALU_DEP_1) | instskip(SKIP_2) | instid1(VALU_DEP_1)
	s_cmp_lg_u32 s7, 0
	s_addc_u32 s3, s3, s11
	s_ashr_i32 s22, s13, 31
	v_readfirstlane_b32 s7, v1
	s_add_u32 s24, s12, s22
	s_mov_b32 s23, s22
	s_addc_u32 s25, s13, s22
	s_delay_alu instid0(SALU_CYCLE_1) | instskip(NEXT) | instid1(SALU_CYCLE_1)
	s_xor_b64 s[24:25], s[24:25], s[22:23]
	s_mul_i32 s13, s24, s3
	s_mul_hi_u32 s26, s24, s7
	s_mul_hi_u32 s11, s24, s3
	;; [unrolled: 1-line block ×3, first 2 shown]
	s_mul_i32 s7, s25, s7
	s_add_u32 s13, s26, s13
	s_addc_u32 s11, 0, s11
	s_mul_hi_u32 s27, s25, s3
	s_add_u32 s7, s13, s7
	s_mul_i32 s3, s25, s3
	s_addc_u32 s7, s11, s28
	s_addc_u32 s11, s27, 0
	s_add_u32 s7, s7, s3
	s_addc_u32 s11, 0, s11
	s_mul_i32 s27, s18, s7
	s_mul_hi_u32 s3, s18, s7
	s_mul_i32 s26, s18, s11
	v_sub_co_u32 v1, s24, s24, s27
	s_mul_i32 s13, s19, s7
	s_add_i32 s3, s3, s26
	s_delay_alu instid0(SALU_CYCLE_1) | instskip(NEXT) | instid1(VALU_DEP_1)
	s_add_i32 s3, s3, s13
	v_sub_co_u32 v2, s26, v1, s18
	s_sub_i32 s13, s25, s3
	s_cmp_lg_u32 s24, 0
	s_subb_u32 s13, s13, s19
	s_cmp_lg_u32 s26, 0
	v_cmp_le_u32_e32 vcc_lo, s18, v2
	s_subb_u32 s13, s13, 0
	s_delay_alu instid0(SALU_CYCLE_1)
	s_cmp_ge_u32 s13, s19
	v_cndmask_b32_e64 v2, 0, -1, vcc_lo
	s_cselect_b32 s26, -1, 0
	s_cmp_eq_u32 s13, s19
	s_cselect_b32 vcc_lo, -1, 0
	s_add_u32 s13, s7, 1
	v_cndmask_b32_e32 v2, s26, v2, vcc_lo
	s_addc_u32 s26, s11, 0
	s_add_u32 s27, s7, 2
	s_addc_u32 s28, s11, 0
	s_cmp_lg_u32 s24, 0
	v_cmp_le_u32_e32 vcc_lo, s18, v1
	s_subb_u32 s3, s25, s3
	v_mov_b32_e32 v16, s27
	s_cmp_ge_u32 s3, s19
	v_cndmask_b32_e64 v1, 0, -1, vcc_lo
	s_cselect_b32 s18, -1, 0
	s_cmp_eq_u32 s3, s19
	v_cmp_ne_u32_e32 vcc_lo, 0, v2
	v_mov_b32_e32 v2, s28
	s_cselect_b32 s3, -1, 0
	s_xor_b64 s[16:17], s[22:23], s[16:17]
	v_cndmask_b32_e64 v1, s18, v1, s3
	v_cndmask_b32_e32 v16, s13, v16, vcc_lo
	v_cndmask_b32_e32 v2, s26, v2, vcc_lo
	s_delay_alu instid0(VALU_DEP_3) | instskip(NEXT) | instid1(VALU_DEP_2)
	v_cmp_ne_u32_e32 vcc_lo, 0, v1
	v_cndmask_b32_e32 v1, s11, v2, vcc_lo
	s_delay_alu instid0(VALU_DEP_4) | instskip(NEXT) | instid1(VALU_DEP_2)
	v_cndmask_b32_e32 v2, s7, v16, vcc_lo
	v_xor_b32_e32 v16, s17, v1
	s_delay_alu instid0(VALU_DEP_2) | instskip(NEXT) | instid1(VALU_DEP_1)
	v_xor_b32_e32 v2, s16, v2
	v_sub_co_u32 v1, vcc_lo, v2, s16
	s_delay_alu instid0(VALU_DEP_3)
	v_subrev_co_ci_u32_e32 v2, vcc_lo, s17, v16, vcc_lo
	s_cbranch_execnz .LBB95_33
.LBB95_32:
	v_cvt_f32_u32_e32 v1, s10
	s_sub_i32 s7, 0, s10
	s_delay_alu instid0(VALU_DEP_1) | instskip(SKIP_2) | instid1(VALU_DEP_1)
	v_rcp_iflag_f32_e32 v1, v1
	s_waitcnt_depctr 0xfff
	v_mul_f32_e32 v1, 0x4f7ffffe, v1
	v_cvt_u32_f32_e32 v1, v1
	s_delay_alu instid0(VALU_DEP_1) | instskip(NEXT) | instid1(VALU_DEP_1)
	v_readfirstlane_b32 s3, v1
	s_mul_i32 s7, s7, s3
	s_delay_alu instid0(SALU_CYCLE_1) | instskip(NEXT) | instid1(SALU_CYCLE_1)
	s_mul_hi_u32 s7, s3, s7
	s_add_i32 s3, s3, s7
	s_delay_alu instid0(SALU_CYCLE_1) | instskip(NEXT) | instid1(SALU_CYCLE_1)
	s_mul_hi_u32 s3, s12, s3
	s_mul_i32 s7, s3, s10
	s_add_i32 s11, s3, 1
	s_sub_i32 s7, s12, s7
	s_delay_alu instid0(SALU_CYCLE_1)
	s_sub_i32 s12, s7, s10
	s_cmp_ge_u32 s7, s10
	s_cselect_b32 s3, s11, s3
	s_cselect_b32 s7, s12, s7
	s_add_i32 s12, s3, 1
	s_cmp_ge_u32 s7, s10
	s_mov_b32 s11, 0
	s_cselect_b32 s10, s12, s3
	s_delay_alu instid0(SALU_CYCLE_1)
	v_dual_mov_b32 v1, s10 :: v_dual_mov_b32 v2, s11
.LBB95_33:
	s_delay_alu instid0(VALU_DEP_1) | instskip(NEXT) | instid1(VALU_DEP_2)
	v_add_co_u32 v1, vcc_lo, v1, v15
	v_add_co_ci_u32_e32 v2, vcc_lo, 0, v2, vcc_lo
	s_branch .LBB95_36
.LBB95_34:
                                        ; implicit-def: $vgpr1_vgpr2
	s_cbranch_execz .LBB95_36
; %bb.35:
	v_mul_lo_u32 v1, v15, s4
	s_delay_alu instid0(VALU_DEP_1) | instskip(SKIP_1) | instid1(VALU_DEP_2)
	v_ashrrev_i32_e32 v2, 31, v1
	v_add_co_u32 v1, vcc_lo, v1, s20
	v_add_co_ci_u32_e32 v2, vcc_lo, 0, v2, vcc_lo
.LBB95_36:
	s_mov_b32 s3, exec_lo
.LBB95_37:
	s_or_b32 exec_lo, exec_lo, s14
	s_delay_alu instid0(SALU_CYCLE_1)
	s_and_b32 vcc_lo, exec_lo, s15
	s_cbranch_vccz .LBB95_41
.LBB95_38:
	v_mov_b32_dpp v1, v13 quad_perm:[1,0,3,2] row_mask:0xf bank_mask:0xf
	s_delay_alu instid0(VALU_DEP_1) | instskip(SKIP_1) | instid1(VALU_DEP_1)
	v_cmp_gt_f32_e32 vcc_lo, v13, v1
	v_cndmask_b32_e32 v1, v1, v13, vcc_lo
	v_mov_b32_dpp v2, v1 quad_perm:[2,3,0,1] row_mask:0xf bank_mask:0xf
	s_delay_alu instid0(VALU_DEP_1) | instskip(SKIP_1) | instid1(VALU_DEP_1)
	v_cmp_gt_f32_e32 vcc_lo, v1, v2
	v_cndmask_b32_e32 v1, v2, v1, vcc_lo
	v_mov_b32_dpp v2, v1 row_xmask:7 row_mask:0xf bank_mask:0xf
	s_delay_alu instid0(VALU_DEP_1) | instskip(SKIP_1) | instid1(VALU_DEP_1)
	v_cmp_gt_f32_e32 vcc_lo, v1, v2
	v_cndmask_b32_e32 v1, v2, v1, vcc_lo
	v_mov_b32_dpp v2, v1 row_xmask:15 row_mask:0xf bank_mask:0xf
	s_delay_alu instid0(VALU_DEP_1)
	v_cmp_gt_f32_e32 vcc_lo, v1, v2
	s_and_saveexec_b32 s3, s2
	s_cbranch_execz .LBB95_40
; %bb.39:
	v_cndmask_b32_e32 v1, v2, v1, vcc_lo
	v_lshrrev_b32_e32 v2, 3, v0
	s_mov_b32 s2, 0x76543210
	s_delay_alu instid0(VALU_DEP_1) | instskip(NEXT) | instid1(VALU_DEP_3)
	v_and_b32_e32 v2, 0x7c, v2
	v_permlanex16_b32 v13, v1, s2, 0xfedcba98 op_sel:[1,1]
	s_delay_alu instid0(VALU_DEP_1)
	v_cmp_gt_f32_e32 vcc_lo, v1, v13
	v_cndmask_b32_e32 v1, v13, v1, vcc_lo
	ds_store_b32 v2, v1
.LBB95_40:
	s_or_b32 exec_lo, exec_lo, s3
	s_waitcnt lgkmcnt(0)
	s_barrier
	buffer_gl0_inv
	ds_load_b32 v1, v6
	v_cmp_eq_u32_e64 s3, 0, v0
	s_waitcnt lgkmcnt(0)
	v_mov_b32_dpp v2, v1 quad_perm:[1,0,3,2] row_mask:0xf bank_mask:0xf
	s_delay_alu instid0(VALU_DEP_1) | instskip(SKIP_1) | instid1(VALU_DEP_1)
	v_cmp_gt_f32_e32 vcc_lo, v1, v2
	v_cndmask_b32_e32 v1, v2, v1, vcc_lo
	v_mov_b32_dpp v2, v1 quad_perm:[2,3,0,1] row_mask:0xf bank_mask:0xf
	s_delay_alu instid0(VALU_DEP_1) | instskip(SKIP_1) | instid1(VALU_DEP_1)
	v_cmp_gt_f32_e32 vcc_lo, v1, v2
	v_cndmask_b32_e32 v1, v2, v1, vcc_lo
	v_dual_mul_f32 v14, 0x3c010204, v1 :: v_dual_mov_b32 v1, s20
	v_mov_b32_e32 v2, s21
.LBB95_41:
	s_and_saveexec_b32 s2, s3
	s_cbranch_execz .LBB95_43
; %bb.42:
	s_delay_alu instid0(VALU_DEP_1) | instskip(NEXT) | instid1(VALU_DEP_1)
	v_lshlrev_b64 v[0:1], 2, v[1:2]
	v_add_co_u32 v0, vcc_lo, s8, v0
	s_delay_alu instid0(VALU_DEP_2)
	v_add_co_ci_u32_e32 v1, vcc_lo, s9, v1, vcc_lo
	global_store_b32 v[0:1], v14, off
.LBB95_43:
	s_or_b32 exec_lo, exec_lo, s2
	;;#ASMSTART
	v_rcp_f32 v0, v14
	;;#ASMEND
	v_mul_f32_e32 v7, v7, v0
	v_mul_f32_e32 v1, v12, v0
	v_mul_f32_e32 v8, v8, v0
	v_mul_f32_e32 v4, v4, v0
	s_load_b64 s[0:1], s[0:1], 0x0
	v_cvt_i32_f32_e32 v7, v7
	v_mul_f32_e32 v2, v11, v0
	v_cvt_i32_f32_e32 v1, v1
	v_mul_f32_e32 v6, v9, v0
	v_cvt_i32_f32_e32 v4, v4
	v_and_b32_e32 v7, 0xff, v7
	v_cvt_i32_f32_e32 v2, v2
	v_and_b32_e32 v1, 0xff, v1
	s_add_i32 s2, s5, 3
	v_lshlrev_b16 v4, 8, v4
	s_ashr_i32 s3, s2, 31
	v_lshlrev_b16 v2, 8, v2
	s_lshr_b32 s3, s3, 30
	s_mul_hi_u32 s4, s6, s20
	s_add_i32 s2, s2, s3
	s_ashr_i32 s3, s6, 31
	v_or_b32_e32 v1, v1, v2
	v_mul_f32_e32 v9, v10, v0
	v_mul_f32_e32 v0, v3, v0
	v_cvt_i32_f32_e32 v3, v6
	s_mul_i32 s3, s3, s20
	s_mul_i32 s5, s6, s20
	s_and_b32 s2, s2, -4
	v_cvt_i32_f32_e32 v0, v0
	v_and_b32_e32 v3, 0xff, v3
	v_cvt_i32_f32_e32 v6, v8
	s_add_i32 s4, s4, s3
	s_waitcnt lgkmcnt(0)
	s_add_u32 s0, s0, s5
	v_and_b32_e32 v0, 0xff, v0
	s_addc_u32 s1, s1, s4
	v_lshlrev_b16 v6, 8, v6
	s_and_b32 s1, s1, 0xffff
	s_mov_b32 s3, -1
	v_or_b32_e32 v0, v0, v4
	v_and_b32_e32 v4, 0xffff, v1
	v_cvt_i32_f32_e32 v8, v9
	v_or_b32_e32 v6, v7, v6
	s_delay_alu instid0(VALU_DEP_4) | instskip(NEXT) | instid1(VALU_DEP_3)
	v_lshlrev_b32_e32 v0, 16, v0
	v_lshlrev_b16 v8, 8, v8
	s_delay_alu instid0(VALU_DEP_1) | instskip(NEXT) | instid1(VALU_DEP_4)
	v_or_b32_e32 v2, v3, v8
	v_and_b32_e32 v3, 0xffff, v6
	s_delay_alu instid0(VALU_DEP_2) | instskip(NEXT) | instid1(VALU_DEP_2)
	v_lshlrev_b32_e32 v2, 16, v2
	v_or_b32_e32 v1, v3, v0
	s_delay_alu instid0(VALU_DEP_2)
	v_or_b32_e32 v0, v4, v2
	buffer_store_b64 v[0:1], v5, s[0:3], 0 offen
	;;#ASMSTART
	s_nop 0
	;;#ASMEND
.LBB95_44:
	s_nop 0
	s_sendmsg sendmsg(MSG_DEALLOC_VGPRS)
	s_endpgm
.LBB95_45:
                                        ; implicit-def: $vgpr1_vgpr2
	s_branch .LBB95_32
	.section	.rodata,"a",@progbits
	.p2align	6, 0x0
	.amdhsa_kernel _ZN5aiter24add_rmsnorm_quant_kernelIDF16_aLi128ELi8ELb0ELb1ELb0ELi1EEEvPT0_PT_PfS4_S4_S4_diiiiiiib
		.amdhsa_group_segment_fixed_size 32
		.amdhsa_private_segment_fixed_size 0
		.amdhsa_kernarg_size 88
		.amdhsa_user_sgpr_count 15
		.amdhsa_user_sgpr_dispatch_ptr 0
		.amdhsa_user_sgpr_queue_ptr 0
		.amdhsa_user_sgpr_kernarg_segment_ptr 1
		.amdhsa_user_sgpr_dispatch_id 0
		.amdhsa_user_sgpr_private_segment_size 0
		.amdhsa_wavefront_size32 1
		.amdhsa_uses_dynamic_stack 0
		.amdhsa_enable_private_segment 0
		.amdhsa_system_sgpr_workgroup_id_x 1
		.amdhsa_system_sgpr_workgroup_id_y 0
		.amdhsa_system_sgpr_workgroup_id_z 0
		.amdhsa_system_sgpr_workgroup_info 0
		.amdhsa_system_vgpr_workitem_id 0
		.amdhsa_next_free_vgpr 23
		.amdhsa_next_free_sgpr 29
		.amdhsa_reserve_vcc 1
		.amdhsa_float_round_mode_32 0
		.amdhsa_float_round_mode_16_64 0
		.amdhsa_float_denorm_mode_32 3
		.amdhsa_float_denorm_mode_16_64 3
		.amdhsa_dx10_clamp 1
		.amdhsa_ieee_mode 1
		.amdhsa_fp16_overflow 0
		.amdhsa_workgroup_processor_mode 1
		.amdhsa_memory_ordered 1
		.amdhsa_forward_progress 0
		.amdhsa_shared_vgpr_count 0
		.amdhsa_exception_fp_ieee_invalid_op 0
		.amdhsa_exception_fp_denorm_src 0
		.amdhsa_exception_fp_ieee_div_zero 0
		.amdhsa_exception_fp_ieee_overflow 0
		.amdhsa_exception_fp_ieee_underflow 0
		.amdhsa_exception_fp_ieee_inexact 0
		.amdhsa_exception_int_div_zero 0
	.end_amdhsa_kernel
	.section	.text._ZN5aiter24add_rmsnorm_quant_kernelIDF16_aLi128ELi8ELb0ELb1ELb0ELi1EEEvPT0_PT_PfS4_S4_S4_diiiiiiib,"axG",@progbits,_ZN5aiter24add_rmsnorm_quant_kernelIDF16_aLi128ELi8ELb0ELb1ELb0ELi1EEEvPT0_PT_PfS4_S4_S4_diiiiiiib,comdat
.Lfunc_end95:
	.size	_ZN5aiter24add_rmsnorm_quant_kernelIDF16_aLi128ELi8ELb0ELb1ELb0ELi1EEEvPT0_PT_PfS4_S4_S4_diiiiiiib, .Lfunc_end95-_ZN5aiter24add_rmsnorm_quant_kernelIDF16_aLi128ELi8ELb0ELb1ELb0ELi1EEEvPT0_PT_PfS4_S4_S4_diiiiiiib
                                        ; -- End function
	.section	.AMDGPU.csdata,"",@progbits
; Kernel info:
; codeLenInByte = 3212
; NumSgprs: 31
; NumVgprs: 23
; ScratchSize: 0
; MemoryBound: 0
; FloatMode: 240
; IeeeMode: 1
; LDSByteSize: 32 bytes/workgroup (compile time only)
; SGPRBlocks: 3
; VGPRBlocks: 2
; NumSGPRsForWavesPerEU: 31
; NumVGPRsForWavesPerEU: 23
; Occupancy: 16
; WaveLimiterHint : 0
; COMPUTE_PGM_RSRC2:SCRATCH_EN: 0
; COMPUTE_PGM_RSRC2:USER_SGPR: 15
; COMPUTE_PGM_RSRC2:TRAP_HANDLER: 0
; COMPUTE_PGM_RSRC2:TGID_X_EN: 1
; COMPUTE_PGM_RSRC2:TGID_Y_EN: 0
; COMPUTE_PGM_RSRC2:TGID_Z_EN: 0
; COMPUTE_PGM_RSRC2:TIDIG_COMP_CNT: 0
	.section	.text._ZN5aiter24add_rmsnorm_quant_kernelItaLi128ELi8ELb0ELb1ELb0ELi1EEEvPT0_PT_PfS4_S4_S4_diiiiiiib,"axG",@progbits,_ZN5aiter24add_rmsnorm_quant_kernelItaLi128ELi8ELb0ELb1ELb0ELi1EEEvPT0_PT_PfS4_S4_S4_diiiiiiib,comdat
	.protected	_ZN5aiter24add_rmsnorm_quant_kernelItaLi128ELi8ELb0ELb1ELb0ELi1EEEvPT0_PT_PfS4_S4_S4_diiiiiiib ; -- Begin function _ZN5aiter24add_rmsnorm_quant_kernelItaLi128ELi8ELb0ELb1ELb0ELi1EEEvPT0_PT_PfS4_S4_S4_diiiiiiib
	.globl	_ZN5aiter24add_rmsnorm_quant_kernelItaLi128ELi8ELb0ELb1ELb0ELi1EEEvPT0_PT_PfS4_S4_S4_diiiiiiib
	.p2align	8
	.type	_ZN5aiter24add_rmsnorm_quant_kernelItaLi128ELi8ELb0ELb1ELb0ELi1EEEvPT0_PT_PfS4_S4_S4_diiiiiiib,@function
_ZN5aiter24add_rmsnorm_quant_kernelItaLi128ELi8ELb0ELb1ELb0ELi1EEEvPT0_PT_PfS4_S4_S4_diiiiiiib: ; @_ZN5aiter24add_rmsnorm_quant_kernelItaLi128ELi8ELb0ELb1ELb0ELi1EEEvPT0_PT_PfS4_S4_S4_diiiiiiib
; %bb.0:
	s_load_b128 s[4:7], s[0:1], 0x38
	s_mov_b32 s20, s15
	s_mov_b32 s21, 0
	s_waitcnt lgkmcnt(0)
	s_ashr_i32 s3, s4, 31
	s_mov_b32 s2, s4
	s_delay_alu instid0(SALU_CYCLE_1) | instskip(NEXT) | instid1(VALU_DEP_1)
	v_cmp_ge_i64_e64 s2, s[20:21], s[2:3]
	s_and_b32 vcc_lo, exec_lo, s2
	s_cbranch_vccnz .LBB96_44
; %bb.1:
	s_clause 0x1
	s_load_b128 s[8:11], s[0:1], 0x10
	s_load_b128 s[16:19], s[0:1], 0x28
	s_ashr_i32 s2, s6, 31
	s_mul_hi_u32 s3, s6, s20
	s_mul_i32 s7, s2, s20
	s_mul_i32 s2, s6, s20
	s_add_i32 s3, s3, s7
	v_lshlrev_b32_e32 v1, 4, v0
	s_lshl_b64 s[2:3], s[2:3], 1
	s_mov_b32 s15, -1
	v_and_b32_e32 v15, 31, v0
	s_mov_b32 s27, s15
	s_waitcnt lgkmcnt(0)
	s_add_u32 s12, s10, s2
	s_addc_u32 s2, s11, s3
	s_add_i32 s3, s5, 1
	s_and_b32 s13, s2, 0xffff
	s_lshr_b32 s6, s3, 31
	s_mov_b32 s24, s16
	s_add_i32 s3, s3, s6
	s_and_b32 s25, s17, 0xffff
	s_lshl_b32 s3, s3, 1
	v_cmp_eq_u32_e64 s2, 31, v15
	s_and_b32 s14, s3, -4
	buffer_load_b128 v[10:13], v1, s[12:15], 0 offen glc slc
	s_mov_b32 s26, s14
	s_waitcnt vmcnt(0)
	v_lshrrev_b32_e32 v5, 16, v10
	v_and_b32_e32 v6, 0xffff, v10
	v_lshrrev_b32_e32 v10, 16, v11
	v_lshrrev_b32_e32 v14, 16, v13
	s_delay_alu instid0(VALU_DEP_4) | instskip(NEXT) | instid1(VALU_DEP_4)
	v_cvt_f32_u32_e32 v7, v5
	v_cvt_f32_u32_e32 v8, v6
	s_delay_alu instid0(VALU_DEP_4) | instskip(NEXT) | instid1(VALU_DEP_4)
	v_cvt_f32_u32_e32 v10, v10
	v_cvt_f32_u32_e32 v14, v14
	s_delay_alu instid0(VALU_DEP_4) | instskip(SKIP_2) | instid1(VALU_DEP_1)
	v_mul_f32_e32 v6, v7, v7
	buffer_load_b128 v[1:4], v1, s[24:27], 0 offen
	v_dual_fmac_f32 v6, v8, v8 :: v_dual_and_b32 v5, 0xffff, v11
	v_cvt_f32_u32_e32 v9, v5
	v_and_b32_e32 v5, 0xffff, v12
	v_lshrrev_b32_e32 v12, 16, v12
	s_delay_alu instid0(VALU_DEP_3) | instskip(NEXT) | instid1(VALU_DEP_3)
	v_fmac_f32_e32 v6, v9, v9
	v_cvt_f32_u32_e32 v11, v5
	v_and_b32_e32 v5, 0xffff, v13
	s_delay_alu instid0(VALU_DEP_4) | instskip(NEXT) | instid1(VALU_DEP_4)
	v_cvt_f32_u32_e32 v12, v12
	v_fmac_f32_e32 v6, v10, v10
	s_delay_alu instid0(VALU_DEP_3) | instskip(NEXT) | instid1(VALU_DEP_2)
	v_cvt_f32_u32_e32 v13, v5
	v_fmac_f32_e32 v6, v11, v11
	s_delay_alu instid0(VALU_DEP_1) | instskip(NEXT) | instid1(VALU_DEP_1)
	v_fmac_f32_e32 v6, v12, v12
	v_fmac_f32_e32 v6, v13, v13
	s_delay_alu instid0(VALU_DEP_1) | instskip(NEXT) | instid1(VALU_DEP_1)
	v_fmac_f32_e32 v6, v14, v14
	v_mov_b32_dpp v5, v6 quad_perm:[1,0,3,2] row_mask:0xf bank_mask:0xf
	s_delay_alu instid0(VALU_DEP_1) | instskip(NEXT) | instid1(VALU_DEP_1)
	v_add_f32_e32 v5, v6, v5
	v_mov_b32_dpp v6, v5 quad_perm:[2,3,0,1] row_mask:0xf bank_mask:0xf
	s_delay_alu instid0(VALU_DEP_1) | instskip(NEXT) | instid1(VALU_DEP_1)
	v_add_f32_e32 v5, v5, v6
	v_mov_b32_dpp v6, v5 row_xmask:7 row_mask:0xf bank_mask:0xf
	s_delay_alu instid0(VALU_DEP_1) | instskip(NEXT) | instid1(VALU_DEP_1)
	v_add_f32_e32 v5, v5, v6
	v_mov_b32_dpp v6, v5 row_xmask:15 row_mask:0xf bank_mask:0xf
	s_and_saveexec_b32 s3, s2
	s_cbranch_execz .LBB96_3
; %bb.2:
	s_delay_alu instid0(VALU_DEP_1) | instskip(SKIP_2) | instid1(VALU_DEP_2)
	v_add_f32_e32 v5, v5, v6
	s_mov_b32 s6, 0x76543210
	v_lshrrev_b32_e32 v6, 3, v0
	v_permlanex16_b32 v15, v5, s6, 0xfedcba98 op_sel:[1,1]
	s_delay_alu instid0(VALU_DEP_1)
	v_dual_add_f32 v5, v5, v15 :: v_dual_and_b32 v6, 0x7c, v6
	ds_store_b32 v6, v5 offset:16
.LBB96_3:
	s_or_b32 exec_lo, exec_lo, s3
	v_and_b32_e32 v5, 3, v0
	s_waitcnt vmcnt(0) lgkmcnt(0)
	s_barrier
	buffer_gl0_inv
	v_cvt_f32_i32_e32 v16, s5
	v_lshlrev_b32_e32 v6, 2, v5
	ds_load_b32 v5, v6 offset:16
	s_clause 0x1
	s_load_b64 s[6:7], s[0:1], 0x4c
	s_load_b32 s10, s[0:1], 0x54
	s_waitcnt lgkmcnt(0)
	s_cmp_lg_u32 s7, 0
	v_mov_b32_dpp v15, v5 quad_perm:[1,0,3,2] row_mask:0xf bank_mask:0xf
	s_delay_alu instid0(VALU_DEP_1) | instskip(NEXT) | instid1(VALU_DEP_1)
	v_add_f32_e32 v5, v5, v15
	v_mov_b32_dpp v15, v5 quad_perm:[2,3,0,1] row_mask:0xf bank_mask:0xf
	s_delay_alu instid0(VALU_DEP_1) | instskip(NEXT) | instid1(VALU_DEP_1)
	v_add_f32_e32 v5, v5, v15
	v_div_scale_f32 v15, null, v16, v16, v5
	v_div_scale_f32 v19, vcc_lo, v5, v16, v5
	s_delay_alu instid0(VALU_DEP_2) | instskip(SKIP_2) | instid1(VALU_DEP_1)
	v_rcp_f32_e32 v17, v15
	s_waitcnt_depctr 0xfff
	v_fma_f32 v18, -v15, v17, 1.0
	v_fmac_f32_e32 v17, v18, v17
	s_delay_alu instid0(VALU_DEP_1) | instskip(NEXT) | instid1(VALU_DEP_1)
	v_mul_f32_e32 v18, v19, v17
	v_fma_f32 v20, -v15, v18, v19
	s_delay_alu instid0(VALU_DEP_1) | instskip(SKIP_1) | instid1(VALU_DEP_2)
	v_fmac_f32_e32 v18, v20, v17
	v_mov_b32_e32 v20, 0x2edbe6ff
	v_fma_f32 v15, -v15, v18, v19
	s_delay_alu instid0(VALU_DEP_1) | instskip(SKIP_2) | instid1(VALU_DEP_3)
	v_div_fmas_f32 v15, v15, v17, v18
	v_and_b32_e32 v18, 0xffff, v3
	v_lshrrev_b32_e32 v3, 16, v3
	v_div_fixup_f32 v5, v15, v16, v5
	s_delay_alu instid0(VALU_DEP_3) | instskip(NEXT) | instid1(VALU_DEP_3)
	v_cvt_f32_u32_e32 v18, v18
	v_cvt_f32_u32_e32 v3, v3
	s_delay_alu instid0(VALU_DEP_3) | instskip(NEXT) | instid1(VALU_DEP_1)
	v_cvt_f64_f32_e32 v[15:16], v5
	v_add_f64 v[15:16], v[15:16], s[18:19]
	s_delay_alu instid0(VALU_DEP_1) | instskip(SKIP_2) | instid1(VALU_DEP_2)
	v_cvt_f32_f64_e32 v5, v[15:16]
	v_and_b32_e32 v16, 0xffff, v1
	v_lshrrev_b32_e32 v1, 16, v1
	v_cvt_f32_u32_e32 v16, v16
	s_delay_alu instid0(VALU_DEP_2) | instskip(SKIP_2) | instid1(VALU_DEP_2)
	v_cvt_f32_u32_e32 v1, v1
	v_mul_f32_e32 v15, 0x4b800000, v5
	v_cmp_gt_f32_e32 vcc_lo, 0x800000, v5
	v_cndmask_b32_e32 v15, v5, v15, vcc_lo
	s_delay_alu instid0(VALU_DEP_1) | instskip(SKIP_2) | instid1(VALU_DEP_1)
	v_rsq_f32_e32 v15, v15
	s_waitcnt_depctr 0xfff
	v_mul_f32_e32 v21, 0x45800000, v15
	v_cndmask_b32_e32 v15, v15, v21, vcc_lo
	v_and_b32_e32 v17, 0xffff, v2
	v_lshrrev_b32_e32 v2, 16, v2
	s_delay_alu instid0(VALU_DEP_3) | instskip(NEXT) | instid1(VALU_DEP_2)
	v_dual_mul_f32 v10, v15, v10 :: v_dual_lshlrev_b32 v5, 3, v0
	v_cvt_f32_u32_e32 v2, v2
	s_delay_alu instid0(VALU_DEP_1)
	v_dual_mul_f32 v10, v10, v2 :: v_dual_and_b32 v19, 0xffff, v4
	v_mul_f32_e32 v14, v15, v14
	v_lshrrev_b32_e32 v4, 16, v4
	v_mul_f32_e32 v7, v15, v7
	v_mul_f32_e32 v8, v15, v8
	v_cvt_f32_u32_e32 v17, v17
	v_mul_f32_e32 v22, v15, v12
	v_cvt_f32_u32_e32 v4, v4
	;; [unrolled: 2-line block ×3, first 2 shown]
	v_mul_f32_e32 v21, v15, v11
	s_delay_alu instid0(VALU_DEP_4) | instskip(SKIP_2) | instid1(VALU_DEP_3)
	v_dual_mul_f32 v11, v7, v1 :: v_dual_mul_f32 v4, v14, v4
	v_dual_mul_f32 v13, v15, v13 :: v_dual_and_b32 v14, 0x7fffffff, v10
	v_mul_f32_e32 v12, v8, v16
	v_and_b32_e32 v2, 0x7fffffff, v11
	v_dual_mul_f32 v8, v22, v3 :: v_dual_mul_f32 v9, v9, v17
	v_dual_mul_f32 v7, v21, v18 :: v_dual_and_b32 v18, 0x7fffffff, v4
	v_mul_f32_e32 v3, v13, v19
	v_and_b32_e32 v1, 0x7fffffff, v12
	;;#ASMSTART
	v_max3_f32 v1, v20, v1, v2

	;;#ASMEND
	v_and_b32_e32 v16, 0x7fffffff, v8
	v_and_b32_e32 v13, 0x7fffffff, v9
	;;#ASMSTART
	v_max3_f32 v1, v1, v13, v14

	;;#ASMEND
	v_and_b32_e32 v15, 0x7fffffff, v7
	v_and_b32_e32 v17, 0x7fffffff, v3
	;;#ASMSTART
	v_max3_f32 v1, v1, v15, v16

	;;#ASMEND
	;;#ASMSTART
	v_max3_f32 v13, v1, v17, v18

	;;#ASMEND
	s_cbranch_scc0 .LBB96_10
; %bb.4:
	s_ashr_i32 s11, s7, 31
	s_delay_alu instid0(SALU_CYCLE_1) | instskip(NEXT) | instid1(SALU_CYCLE_1)
	s_lshr_b32 s3, s11, 29
	s_add_i32 s3, s7, s3
	s_delay_alu instid0(SALU_CYCLE_1) | instskip(NEXT) | instid1(SALU_CYCLE_1)
	s_ashr_i32 s3, s3, 3
	s_cmp_lt_i32 s3, 8
	s_cbranch_scc1 .LBB96_11
; %bb.5:
	s_cmp_lt_i32 s3, 16
	s_cbranch_scc1 .LBB96_12
; %bb.6:
	;; [unrolled: 3-line block ×3, first 2 shown]
	v_mov_b32_e32 v1, v13
	s_cmp_eq_u32 s3, 32
	s_cbranch_scc0 .LBB96_9
; %bb.8:
	s_delay_alu instid0(VALU_DEP_1) | instskip(SKIP_1) | instid1(VALU_DEP_1)
	v_mov_b32_dpp v1, v13 quad_perm:[1,0,3,2] row_mask:0xf bank_mask:0xf
	s_mov_b32 s12, 0x76543210
	v_cmp_gt_f32_e32 vcc_lo, v13, v1
	v_cndmask_b32_e32 v1, v1, v13, vcc_lo
	s_delay_alu instid0(VALU_DEP_1) | instskip(NEXT) | instid1(VALU_DEP_1)
	v_mov_b32_dpp v2, v1 quad_perm:[2,3,0,1] row_mask:0xf bank_mask:0xf
	v_cmp_gt_f32_e32 vcc_lo, v1, v2
	v_cndmask_b32_e32 v1, v2, v1, vcc_lo
	s_delay_alu instid0(VALU_DEP_1) | instskip(NEXT) | instid1(VALU_DEP_1)
	v_mov_b32_dpp v2, v1 row_xmask:7 row_mask:0xf bank_mask:0xf
	v_cmp_gt_f32_e32 vcc_lo, v1, v2
	v_cndmask_b32_e32 v1, v2, v1, vcc_lo
	s_delay_alu instid0(VALU_DEP_1) | instskip(NEXT) | instid1(VALU_DEP_1)
	v_mov_b32_dpp v2, v1 row_xmask:15 row_mask:0xf bank_mask:0xf
	v_cmp_gt_f32_e32 vcc_lo, v1, v2
	v_cndmask_b32_e32 v1, v2, v1, vcc_lo
	s_delay_alu instid0(VALU_DEP_1) | instskip(NEXT) | instid1(VALU_DEP_1)
	v_permlanex16_b32 v2, v1, s12, 0xfedcba98 op_sel:[1,1]
	v_cmp_gt_f32_e32 vcc_lo, v1, v2
	v_cndmask_b32_e32 v1, v2, v1, vcc_lo
.LBB96_9:
	s_mov_b32 s12, 0
	s_branch .LBB96_14
.LBB96_10:
	s_mov_b32 s3, 0
                                        ; implicit-def: $vgpr14
                                        ; implicit-def: $vgpr1_vgpr2
	s_and_b32 vcc_lo, exec_lo, s15
	s_cbranch_vccnz .LBB96_38
	s_branch .LBB96_41
.LBB96_11:
                                        ; implicit-def: $vgpr1
	s_branch .LBB96_21
.LBB96_12:
                                        ; implicit-def: $vgpr1
	s_branch .LBB96_18
.LBB96_13:
	s_mov_b32 s12, -1
                                        ; implicit-def: $vgpr1
.LBB96_14:
	s_delay_alu instid0(SALU_CYCLE_1)
	s_and_not1_b32 vcc_lo, exec_lo, s12
	s_cbranch_vccnz .LBB96_17
; %bb.15:
	v_mov_b32_e32 v1, v13
	s_cmp_eq_u32 s3, 16
	s_cbranch_scc0 .LBB96_17
; %bb.16:
	s_delay_alu instid0(VALU_DEP_1) | instskip(NEXT) | instid1(VALU_DEP_1)
	v_mov_b32_dpp v1, v13 quad_perm:[1,0,3,2] row_mask:0xf bank_mask:0xf
	v_cmp_gt_f32_e32 vcc_lo, v13, v1
	v_cndmask_b32_e32 v1, v1, v13, vcc_lo
	s_delay_alu instid0(VALU_DEP_1) | instskip(NEXT) | instid1(VALU_DEP_1)
	v_mov_b32_dpp v2, v1 quad_perm:[2,3,0,1] row_mask:0xf bank_mask:0xf
	v_cmp_gt_f32_e32 vcc_lo, v1, v2
	v_cndmask_b32_e32 v1, v2, v1, vcc_lo
	s_delay_alu instid0(VALU_DEP_1) | instskip(NEXT) | instid1(VALU_DEP_1)
	v_mov_b32_dpp v2, v1 row_half_mirror row_mask:0xf bank_mask:0xf
	v_cmp_gt_f32_e32 vcc_lo, v1, v2
	v_cndmask_b32_e32 v1, v2, v1, vcc_lo
	s_delay_alu instid0(VALU_DEP_1) | instskip(NEXT) | instid1(VALU_DEP_1)
	v_mov_b32_dpp v2, v1 row_mirror row_mask:0xf bank_mask:0xf
	v_cmp_gt_f32_e32 vcc_lo, v1, v2
	v_cndmask_b32_e32 v1, v2, v1, vcc_lo
.LBB96_17:
	s_cbranch_execnz .LBB96_20
.LBB96_18:
	v_mov_b32_e32 v1, v13
	s_cmp_eq_u32 s3, 8
	s_cbranch_scc0 .LBB96_20
; %bb.19:
	s_delay_alu instid0(VALU_DEP_1) | instskip(NEXT) | instid1(VALU_DEP_1)
	v_mov_b32_dpp v1, v13 quad_perm:[1,0,3,2] row_mask:0xf bank_mask:0xf
	v_cmp_gt_f32_e32 vcc_lo, v13, v1
	v_cndmask_b32_e32 v1, v1, v13, vcc_lo
	s_delay_alu instid0(VALU_DEP_1) | instskip(NEXT) | instid1(VALU_DEP_1)
	v_mov_b32_dpp v2, v1 quad_perm:[2,3,0,1] row_mask:0xf bank_mask:0xf
	v_cmp_gt_f32_e32 vcc_lo, v1, v2
	v_cndmask_b32_e32 v1, v2, v1, vcc_lo
	s_delay_alu instid0(VALU_DEP_1) | instskip(NEXT) | instid1(VALU_DEP_1)
	v_mov_b32_dpp v2, v1 row_half_mirror row_mask:0xf bank_mask:0xf
	v_cmp_gt_f32_e32 vcc_lo, v1, v2
	v_cndmask_b32_e32 v1, v2, v1, vcc_lo
.LBB96_20:
	s_cbranch_execnz .LBB96_28
.LBB96_21:
	s_cmp_lt_i32 s3, 4
	s_cbranch_scc1 .LBB96_24
; %bb.22:
	v_mov_b32_e32 v1, v13
	s_cmp_eq_u32 s3, 4
	s_cbranch_scc0 .LBB96_25
; %bb.23:
	s_delay_alu instid0(VALU_DEP_1) | instskip(NEXT) | instid1(VALU_DEP_1)
	v_mov_b32_dpp v1, v13 quad_perm:[1,0,3,2] row_mask:0xf bank_mask:0xf
	v_cmp_gt_f32_e32 vcc_lo, v13, v1
	v_cndmask_b32_e32 v1, v1, v13, vcc_lo
	s_delay_alu instid0(VALU_DEP_1) | instskip(NEXT) | instid1(VALU_DEP_1)
	v_mov_b32_dpp v2, v1 quad_perm:[2,3,0,1] row_mask:0xf bank_mask:0xf
	v_cmp_gt_f32_e32 vcc_lo, v1, v2
	v_cndmask_b32_e32 v1, v2, v1, vcc_lo
	s_cbranch_execz .LBB96_26
	s_branch .LBB96_28
.LBB96_24:
                                        ; implicit-def: $vgpr1
	s_branch .LBB96_26
.LBB96_25:
	s_cbranch_execnz .LBB96_28
.LBB96_26:
	v_mov_b32_e32 v1, v13
	s_cmp_lg_u32 s3, 2
	s_cbranch_scc1 .LBB96_28
; %bb.27:
	s_delay_alu instid0(VALU_DEP_1) | instskip(NEXT) | instid1(VALU_DEP_1)
	v_mov_b32_dpp v1, v13 quad_perm:[1,0,3,2] row_mask:0xf bank_mask:0xf
	v_cmp_gt_f32_e32 vcc_lo, v13, v1
	v_cndmask_b32_e32 v1, v1, v13, vcc_lo
.LBB96_28:
	v_cvt_f32_u32_e32 v2, s3
	s_sub_i32 s12, 0, s3
	s_mov_b32 s15, 0
	s_delay_alu instid0(VALU_DEP_1) | instskip(SKIP_2) | instid1(VALU_DEP_1)
	v_rcp_iflag_f32_e32 v2, v2
	s_waitcnt_depctr 0xfff
	v_mul_f32_e32 v2, 0x4f7ffffe, v2
	v_cvt_u32_f32_e32 v2, v2
	s_delay_alu instid0(VALU_DEP_1) | instskip(NEXT) | instid1(VALU_DEP_1)
	v_mul_lo_u32 v14, s12, v2
	v_mul_hi_u32 v14, v2, v14
	s_delay_alu instid0(VALU_DEP_1) | instskip(NEXT) | instid1(VALU_DEP_1)
	v_add_nc_u32_e32 v2, v2, v14
	v_mul_hi_u32 v2, v0, v2
	s_delay_alu instid0(VALU_DEP_1) | instskip(NEXT) | instid1(VALU_DEP_1)
	v_mul_lo_u32 v14, v2, s3
	v_sub_nc_u32_e32 v14, v0, v14
	s_delay_alu instid0(VALU_DEP_1) | instskip(SKIP_1) | instid1(VALU_DEP_2)
	v_subrev_nc_u32_e32 v16, s3, v14
	v_cmp_le_u32_e32 vcc_lo, s3, v14
	v_dual_cndmask_b32 v14, v14, v16 :: v_dual_add_nc_u32 v15, 1, v2
	s_delay_alu instid0(VALU_DEP_1) | instskip(NEXT) | instid1(VALU_DEP_2)
	v_cndmask_b32_e32 v2, v2, v15, vcc_lo
	v_cmp_le_u32_e32 vcc_lo, s3, v14
	s_delay_alu instid0(VALU_DEP_2) | instskip(NEXT) | instid1(VALU_DEP_1)
	v_dual_mul_f32 v14, 0x3c010204, v1 :: v_dual_add_nc_u32 v15, 1, v2
	v_cndmask_b32_e32 v15, v2, v15, vcc_lo
	v_cmp_gt_u32_e32 vcc_lo, s5, v5
	s_delay_alu instid0(VALU_DEP_2) | instskip(NEXT) | instid1(VALU_DEP_1)
	v_mul_lo_u32 v2, v15, s3
	v_sub_nc_u32_e32 v2, v0, v2
	s_delay_alu instid0(VALU_DEP_1) | instskip(NEXT) | instid1(VALU_DEP_1)
	v_cmp_eq_u32_e64 s3, 0, v2
                                        ; implicit-def: $vgpr1_vgpr2
	s_and_b32 s12, s3, vcc_lo
	s_mov_b32 s3, 0
	s_and_saveexec_b32 s13, s12
	s_delay_alu instid0(SALU_CYCLE_1)
	s_xor_b32 s14, exec_lo, s13
	s_cbranch_execz .LBB96_37
; %bb.29:
	s_bitcmp0_b32 s10, 0
	s_mov_b32 s16, 0
	s_cbranch_scc0 .LBB96_34
; %bb.30:
	s_ashr_i32 s3, s5, 31
	s_mul_hi_u32 s10, s5, s20
	s_mul_i32 s3, s3, s20
	s_mul_i32 s12, s5, s20
	s_add_i32 s13, s10, s3
	s_mov_b32 s10, s7
	s_delay_alu instid0(SALU_CYCLE_1) | instskip(NEXT) | instid1(SALU_CYCLE_1)
	s_or_b64 s[18:19], s[12:13], s[10:11]
	s_mov_b32 s17, s19
	s_delay_alu instid0(SALU_CYCLE_1)
	s_cmp_lg_u64 s[16:17], 0
	s_cbranch_scc0 .LBB96_45
; %bb.31:
	s_add_u32 s18, s10, s11
	s_mov_b32 s16, s11
	s_mov_b32 s17, s11
	s_addc_u32 s19, s11, s11
	s_delay_alu instid0(SALU_CYCLE_1) | instskip(NEXT) | instid1(SALU_CYCLE_1)
	s_xor_b64 s[18:19], s[18:19], s[16:17]
	v_cvt_f32_u32_e32 v1, s18
	v_cvt_f32_u32_e32 v2, s19
	s_sub_u32 s11, 0, s18
	s_subb_u32 s22, 0, s19
	s_delay_alu instid0(VALU_DEP_1) | instskip(NEXT) | instid1(VALU_DEP_1)
	v_fmamk_f32 v1, v2, 0x4f800000, v1
	v_rcp_f32_e32 v1, v1
	s_waitcnt_depctr 0xfff
	v_mul_f32_e32 v1, 0x5f7ffffc, v1
	s_delay_alu instid0(VALU_DEP_1) | instskip(NEXT) | instid1(VALU_DEP_1)
	v_mul_f32_e32 v2, 0x2f800000, v1
	v_trunc_f32_e32 v2, v2
	s_delay_alu instid0(VALU_DEP_1) | instskip(SKIP_1) | instid1(VALU_DEP_2)
	v_fmamk_f32 v1, v2, 0xcf800000, v1
	v_cvt_u32_f32_e32 v2, v2
	v_cvt_u32_f32_e32 v1, v1
	s_delay_alu instid0(VALU_DEP_2) | instskip(NEXT) | instid1(VALU_DEP_2)
	v_readfirstlane_b32 s3, v2
	v_readfirstlane_b32 s7, v1
	s_delay_alu instid0(VALU_DEP_2) | instskip(NEXT) | instid1(VALU_DEP_1)
	s_mul_i32 s23, s11, s3
	s_mul_hi_u32 s25, s11, s7
	s_mul_i32 s24, s22, s7
	s_add_i32 s23, s25, s23
	s_mul_i32 s26, s11, s7
	s_add_i32 s23, s23, s24
	s_mul_hi_u32 s25, s7, s26
	s_mul_hi_u32 s27, s3, s26
	s_mul_i32 s24, s3, s26
	s_mul_hi_u32 s26, s7, s23
	s_mul_i32 s7, s7, s23
	s_mul_hi_u32 s28, s3, s23
	s_add_u32 s7, s25, s7
	s_addc_u32 s25, 0, s26
	s_add_u32 s7, s7, s24
	s_mul_i32 s23, s3, s23
	s_addc_u32 s7, s25, s27
	s_addc_u32 s24, s28, 0
	s_add_u32 s7, s7, s23
	s_addc_u32 s23, 0, s24
	v_add_co_u32 v1, s7, v1, s7
	s_delay_alu instid0(VALU_DEP_1) | instskip(SKIP_1) | instid1(VALU_DEP_1)
	s_cmp_lg_u32 s7, 0
	s_addc_u32 s3, s3, s23
	v_readfirstlane_b32 s7, v1
	s_mul_i32 s23, s11, s3
	s_delay_alu instid0(VALU_DEP_1)
	s_mul_hi_u32 s24, s11, s7
	s_mul_i32 s22, s22, s7
	s_add_i32 s23, s24, s23
	s_mul_i32 s11, s11, s7
	s_add_i32 s23, s23, s22
	s_mul_hi_u32 s24, s3, s11
	s_mul_i32 s25, s3, s11
	s_mul_hi_u32 s11, s7, s11
	s_mul_hi_u32 s26, s7, s23
	s_mul_i32 s7, s7, s23
	s_mul_hi_u32 s22, s3, s23
	s_add_u32 s7, s11, s7
	s_addc_u32 s11, 0, s26
	s_add_u32 s7, s7, s25
	s_mul_i32 s23, s3, s23
	s_addc_u32 s7, s11, s24
	s_addc_u32 s11, s22, 0
	s_add_u32 s7, s7, s23
	s_addc_u32 s11, 0, s11
	v_add_co_u32 v1, s7, v1, s7
	s_delay_alu instid0(VALU_DEP_1) | instskip(SKIP_2) | instid1(VALU_DEP_1)
	s_cmp_lg_u32 s7, 0
	s_addc_u32 s3, s3, s11
	s_ashr_i32 s22, s13, 31
	v_readfirstlane_b32 s7, v1
	s_add_u32 s24, s12, s22
	s_mov_b32 s23, s22
	s_addc_u32 s25, s13, s22
	s_delay_alu instid0(SALU_CYCLE_1) | instskip(NEXT) | instid1(SALU_CYCLE_1)
	s_xor_b64 s[24:25], s[24:25], s[22:23]
	s_mul_i32 s13, s24, s3
	s_mul_hi_u32 s26, s24, s7
	s_mul_hi_u32 s11, s24, s3
	s_mul_hi_u32 s28, s25, s7
	s_mul_i32 s7, s25, s7
	s_add_u32 s13, s26, s13
	s_addc_u32 s11, 0, s11
	s_mul_hi_u32 s27, s25, s3
	s_add_u32 s7, s13, s7
	s_mul_i32 s3, s25, s3
	s_addc_u32 s7, s11, s28
	s_addc_u32 s11, s27, 0
	s_add_u32 s7, s7, s3
	s_addc_u32 s11, 0, s11
	s_mul_i32 s27, s18, s7
	s_mul_hi_u32 s3, s18, s7
	s_mul_i32 s26, s18, s11
	v_sub_co_u32 v1, s24, s24, s27
	s_mul_i32 s13, s19, s7
	s_add_i32 s3, s3, s26
	s_delay_alu instid0(SALU_CYCLE_1) | instskip(NEXT) | instid1(VALU_DEP_1)
	s_add_i32 s3, s3, s13
	v_sub_co_u32 v2, s26, v1, s18
	s_sub_i32 s13, s25, s3
	s_cmp_lg_u32 s24, 0
	s_subb_u32 s13, s13, s19
	s_cmp_lg_u32 s26, 0
	v_cmp_le_u32_e32 vcc_lo, s18, v2
	s_subb_u32 s13, s13, 0
	s_delay_alu instid0(SALU_CYCLE_1)
	s_cmp_ge_u32 s13, s19
	v_cndmask_b32_e64 v2, 0, -1, vcc_lo
	s_cselect_b32 s26, -1, 0
	s_cmp_eq_u32 s13, s19
	s_cselect_b32 vcc_lo, -1, 0
	s_add_u32 s13, s7, 1
	v_cndmask_b32_e32 v2, s26, v2, vcc_lo
	s_addc_u32 s26, s11, 0
	s_add_u32 s27, s7, 2
	s_addc_u32 s28, s11, 0
	s_cmp_lg_u32 s24, 0
	v_cmp_le_u32_e32 vcc_lo, s18, v1
	s_subb_u32 s3, s25, s3
	v_mov_b32_e32 v16, s27
	s_cmp_ge_u32 s3, s19
	v_cndmask_b32_e64 v1, 0, -1, vcc_lo
	s_cselect_b32 s18, -1, 0
	s_cmp_eq_u32 s3, s19
	v_cmp_ne_u32_e32 vcc_lo, 0, v2
	v_mov_b32_e32 v2, s28
	s_cselect_b32 s3, -1, 0
	s_xor_b64 s[16:17], s[22:23], s[16:17]
	v_cndmask_b32_e64 v1, s18, v1, s3
	v_cndmask_b32_e32 v16, s13, v16, vcc_lo
	v_cndmask_b32_e32 v2, s26, v2, vcc_lo
	s_delay_alu instid0(VALU_DEP_3) | instskip(NEXT) | instid1(VALU_DEP_2)
	v_cmp_ne_u32_e32 vcc_lo, 0, v1
	v_cndmask_b32_e32 v1, s11, v2, vcc_lo
	s_delay_alu instid0(VALU_DEP_4) | instskip(NEXT) | instid1(VALU_DEP_2)
	v_cndmask_b32_e32 v2, s7, v16, vcc_lo
	v_xor_b32_e32 v16, s17, v1
	s_delay_alu instid0(VALU_DEP_2) | instskip(NEXT) | instid1(VALU_DEP_1)
	v_xor_b32_e32 v2, s16, v2
	v_sub_co_u32 v1, vcc_lo, v2, s16
	s_delay_alu instid0(VALU_DEP_3)
	v_subrev_co_ci_u32_e32 v2, vcc_lo, s17, v16, vcc_lo
	s_cbranch_execnz .LBB96_33
.LBB96_32:
	v_cvt_f32_u32_e32 v1, s10
	s_sub_i32 s7, 0, s10
	s_delay_alu instid0(VALU_DEP_1) | instskip(SKIP_2) | instid1(VALU_DEP_1)
	v_rcp_iflag_f32_e32 v1, v1
	s_waitcnt_depctr 0xfff
	v_mul_f32_e32 v1, 0x4f7ffffe, v1
	v_cvt_u32_f32_e32 v1, v1
	s_delay_alu instid0(VALU_DEP_1) | instskip(NEXT) | instid1(VALU_DEP_1)
	v_readfirstlane_b32 s3, v1
	s_mul_i32 s7, s7, s3
	s_delay_alu instid0(SALU_CYCLE_1) | instskip(NEXT) | instid1(SALU_CYCLE_1)
	s_mul_hi_u32 s7, s3, s7
	s_add_i32 s3, s3, s7
	s_delay_alu instid0(SALU_CYCLE_1) | instskip(NEXT) | instid1(SALU_CYCLE_1)
	s_mul_hi_u32 s3, s12, s3
	s_mul_i32 s7, s3, s10
	s_add_i32 s11, s3, 1
	s_sub_i32 s7, s12, s7
	s_delay_alu instid0(SALU_CYCLE_1)
	s_sub_i32 s12, s7, s10
	s_cmp_ge_u32 s7, s10
	s_cselect_b32 s3, s11, s3
	s_cselect_b32 s7, s12, s7
	s_add_i32 s12, s3, 1
	s_cmp_ge_u32 s7, s10
	s_mov_b32 s11, 0
	s_cselect_b32 s10, s12, s3
	s_delay_alu instid0(SALU_CYCLE_1)
	v_dual_mov_b32 v1, s10 :: v_dual_mov_b32 v2, s11
.LBB96_33:
	s_delay_alu instid0(VALU_DEP_1) | instskip(NEXT) | instid1(VALU_DEP_2)
	v_add_co_u32 v1, vcc_lo, v1, v15
	v_add_co_ci_u32_e32 v2, vcc_lo, 0, v2, vcc_lo
	s_branch .LBB96_36
.LBB96_34:
                                        ; implicit-def: $vgpr1_vgpr2
	s_cbranch_execz .LBB96_36
; %bb.35:
	v_mul_lo_u32 v1, v15, s4
	s_delay_alu instid0(VALU_DEP_1) | instskip(SKIP_1) | instid1(VALU_DEP_2)
	v_ashrrev_i32_e32 v2, 31, v1
	v_add_co_u32 v1, vcc_lo, v1, s20
	v_add_co_ci_u32_e32 v2, vcc_lo, 0, v2, vcc_lo
.LBB96_36:
	s_mov_b32 s3, exec_lo
.LBB96_37:
	s_or_b32 exec_lo, exec_lo, s14
	s_delay_alu instid0(SALU_CYCLE_1)
	s_and_b32 vcc_lo, exec_lo, s15
	s_cbranch_vccz .LBB96_41
.LBB96_38:
	v_mov_b32_dpp v1, v13 quad_perm:[1,0,3,2] row_mask:0xf bank_mask:0xf
	s_delay_alu instid0(VALU_DEP_1) | instskip(SKIP_1) | instid1(VALU_DEP_1)
	v_cmp_gt_f32_e32 vcc_lo, v13, v1
	v_cndmask_b32_e32 v1, v1, v13, vcc_lo
	v_mov_b32_dpp v2, v1 quad_perm:[2,3,0,1] row_mask:0xf bank_mask:0xf
	s_delay_alu instid0(VALU_DEP_1) | instskip(SKIP_1) | instid1(VALU_DEP_1)
	v_cmp_gt_f32_e32 vcc_lo, v1, v2
	v_cndmask_b32_e32 v1, v2, v1, vcc_lo
	v_mov_b32_dpp v2, v1 row_xmask:7 row_mask:0xf bank_mask:0xf
	s_delay_alu instid0(VALU_DEP_1) | instskip(SKIP_1) | instid1(VALU_DEP_1)
	v_cmp_gt_f32_e32 vcc_lo, v1, v2
	v_cndmask_b32_e32 v1, v2, v1, vcc_lo
	v_mov_b32_dpp v2, v1 row_xmask:15 row_mask:0xf bank_mask:0xf
	s_delay_alu instid0(VALU_DEP_1)
	v_cmp_gt_f32_e32 vcc_lo, v1, v2
	s_and_saveexec_b32 s3, s2
	s_cbranch_execz .LBB96_40
; %bb.39:
	v_cndmask_b32_e32 v1, v2, v1, vcc_lo
	v_lshrrev_b32_e32 v2, 3, v0
	s_mov_b32 s2, 0x76543210
	s_delay_alu instid0(VALU_DEP_1) | instskip(NEXT) | instid1(VALU_DEP_3)
	v_and_b32_e32 v2, 0x7c, v2
	v_permlanex16_b32 v13, v1, s2, 0xfedcba98 op_sel:[1,1]
	s_delay_alu instid0(VALU_DEP_1)
	v_cmp_gt_f32_e32 vcc_lo, v1, v13
	v_cndmask_b32_e32 v1, v13, v1, vcc_lo
	ds_store_b32 v2, v1
.LBB96_40:
	s_or_b32 exec_lo, exec_lo, s3
	s_waitcnt lgkmcnt(0)
	s_barrier
	buffer_gl0_inv
	ds_load_b32 v1, v6
	v_cmp_eq_u32_e64 s3, 0, v0
	s_waitcnt lgkmcnt(0)
	v_mov_b32_dpp v2, v1 quad_perm:[1,0,3,2] row_mask:0xf bank_mask:0xf
	s_delay_alu instid0(VALU_DEP_1) | instskip(SKIP_1) | instid1(VALU_DEP_1)
	v_cmp_gt_f32_e32 vcc_lo, v1, v2
	v_cndmask_b32_e32 v1, v2, v1, vcc_lo
	v_mov_b32_dpp v2, v1 quad_perm:[2,3,0,1] row_mask:0xf bank_mask:0xf
	s_delay_alu instid0(VALU_DEP_1) | instskip(SKIP_1) | instid1(VALU_DEP_1)
	v_cmp_gt_f32_e32 vcc_lo, v1, v2
	v_cndmask_b32_e32 v1, v2, v1, vcc_lo
	v_dual_mul_f32 v14, 0x3c010204, v1 :: v_dual_mov_b32 v1, s20
	v_mov_b32_e32 v2, s21
.LBB96_41:
	s_and_saveexec_b32 s2, s3
	s_cbranch_execz .LBB96_43
; %bb.42:
	s_delay_alu instid0(VALU_DEP_1) | instskip(NEXT) | instid1(VALU_DEP_1)
	v_lshlrev_b64 v[0:1], 2, v[1:2]
	v_add_co_u32 v0, vcc_lo, s8, v0
	s_delay_alu instid0(VALU_DEP_2)
	v_add_co_ci_u32_e32 v1, vcc_lo, s9, v1, vcc_lo
	global_store_b32 v[0:1], v14, off
.LBB96_43:
	s_or_b32 exec_lo, exec_lo, s2
	;;#ASMSTART
	v_rcp_f32 v0, v14
	;;#ASMEND
	v_mul_f32_e32 v7, v7, v0
	v_mul_f32_e32 v1, v12, v0
	;; [unrolled: 1-line block ×4, first 2 shown]
	s_load_b64 s[0:1], s[0:1], 0x0
	v_cvt_i32_f32_e32 v7, v7
	v_mul_f32_e32 v2, v11, v0
	v_cvt_i32_f32_e32 v1, v1
	v_mul_f32_e32 v6, v9, v0
	v_cvt_i32_f32_e32 v4, v4
	v_and_b32_e32 v7, 0xff, v7
	v_cvt_i32_f32_e32 v2, v2
	v_and_b32_e32 v1, 0xff, v1
	s_add_i32 s2, s5, 3
	v_lshlrev_b16 v4, 8, v4
	s_ashr_i32 s3, s2, 31
	v_lshlrev_b16 v2, 8, v2
	s_lshr_b32 s3, s3, 30
	s_mul_hi_u32 s4, s6, s20
	s_add_i32 s2, s2, s3
	s_ashr_i32 s3, s6, 31
	v_or_b32_e32 v1, v1, v2
	v_mul_f32_e32 v9, v10, v0
	v_mul_f32_e32 v0, v3, v0
	v_cvt_i32_f32_e32 v3, v6
	s_mul_i32 s3, s3, s20
	s_mul_i32 s5, s6, s20
	s_and_b32 s2, s2, -4
	v_cvt_i32_f32_e32 v0, v0
	v_and_b32_e32 v3, 0xff, v3
	v_cvt_i32_f32_e32 v6, v8
	s_add_i32 s4, s4, s3
	s_waitcnt lgkmcnt(0)
	s_add_u32 s0, s0, s5
	v_and_b32_e32 v0, 0xff, v0
	s_addc_u32 s1, s1, s4
	v_lshlrev_b16 v6, 8, v6
	s_and_b32 s1, s1, 0xffff
	s_mov_b32 s3, -1
	v_or_b32_e32 v0, v0, v4
	v_and_b32_e32 v4, 0xffff, v1
	v_cvt_i32_f32_e32 v8, v9
	v_or_b32_e32 v6, v7, v6
	s_delay_alu instid0(VALU_DEP_4) | instskip(NEXT) | instid1(VALU_DEP_3)
	v_lshlrev_b32_e32 v0, 16, v0
	v_lshlrev_b16 v8, 8, v8
	s_delay_alu instid0(VALU_DEP_1) | instskip(NEXT) | instid1(VALU_DEP_4)
	v_or_b32_e32 v2, v3, v8
	v_and_b32_e32 v3, 0xffff, v6
	s_delay_alu instid0(VALU_DEP_2) | instskip(NEXT) | instid1(VALU_DEP_2)
	v_lshlrev_b32_e32 v2, 16, v2
	v_or_b32_e32 v1, v3, v0
	s_delay_alu instid0(VALU_DEP_2)
	v_or_b32_e32 v0, v4, v2
	buffer_store_b64 v[0:1], v5, s[0:3], 0 offen
	;;#ASMSTART
	s_nop 0
	;;#ASMEND
.LBB96_44:
	s_nop 0
	s_sendmsg sendmsg(MSG_DEALLOC_VGPRS)
	s_endpgm
.LBB96_45:
                                        ; implicit-def: $vgpr1_vgpr2
	s_branch .LBB96_32
	.section	.rodata,"a",@progbits
	.p2align	6, 0x0
	.amdhsa_kernel _ZN5aiter24add_rmsnorm_quant_kernelItaLi128ELi8ELb0ELb1ELb0ELi1EEEvPT0_PT_PfS4_S4_S4_diiiiiiib
		.amdhsa_group_segment_fixed_size 32
		.amdhsa_private_segment_fixed_size 0
		.amdhsa_kernarg_size 88
		.amdhsa_user_sgpr_count 15
		.amdhsa_user_sgpr_dispatch_ptr 0
		.amdhsa_user_sgpr_queue_ptr 0
		.amdhsa_user_sgpr_kernarg_segment_ptr 1
		.amdhsa_user_sgpr_dispatch_id 0
		.amdhsa_user_sgpr_private_segment_size 0
		.amdhsa_wavefront_size32 1
		.amdhsa_uses_dynamic_stack 0
		.amdhsa_enable_private_segment 0
		.amdhsa_system_sgpr_workgroup_id_x 1
		.amdhsa_system_sgpr_workgroup_id_y 0
		.amdhsa_system_sgpr_workgroup_id_z 0
		.amdhsa_system_sgpr_workgroup_info 0
		.amdhsa_system_vgpr_workitem_id 0
		.amdhsa_next_free_vgpr 23
		.amdhsa_next_free_sgpr 29
		.amdhsa_reserve_vcc 1
		.amdhsa_float_round_mode_32 0
		.amdhsa_float_round_mode_16_64 0
		.amdhsa_float_denorm_mode_32 3
		.amdhsa_float_denorm_mode_16_64 3
		.amdhsa_dx10_clamp 1
		.amdhsa_ieee_mode 1
		.amdhsa_fp16_overflow 0
		.amdhsa_workgroup_processor_mode 1
		.amdhsa_memory_ordered 1
		.amdhsa_forward_progress 0
		.amdhsa_shared_vgpr_count 0
		.amdhsa_exception_fp_ieee_invalid_op 0
		.amdhsa_exception_fp_denorm_src 0
		.amdhsa_exception_fp_ieee_div_zero 0
		.amdhsa_exception_fp_ieee_overflow 0
		.amdhsa_exception_fp_ieee_underflow 0
		.amdhsa_exception_fp_ieee_inexact 0
		.amdhsa_exception_int_div_zero 0
	.end_amdhsa_kernel
	.section	.text._ZN5aiter24add_rmsnorm_quant_kernelItaLi128ELi8ELb0ELb1ELb0ELi1EEEvPT0_PT_PfS4_S4_S4_diiiiiiib,"axG",@progbits,_ZN5aiter24add_rmsnorm_quant_kernelItaLi128ELi8ELb0ELb1ELb0ELi1EEEvPT0_PT_PfS4_S4_S4_diiiiiiib,comdat
.Lfunc_end96:
	.size	_ZN5aiter24add_rmsnorm_quant_kernelItaLi128ELi8ELb0ELb1ELb0ELi1EEEvPT0_PT_PfS4_S4_S4_diiiiiiib, .Lfunc_end96-_ZN5aiter24add_rmsnorm_quant_kernelItaLi128ELi8ELb0ELb1ELb0ELi1EEEvPT0_PT_PfS4_S4_S4_diiiiiiib
                                        ; -- End function
	.section	.AMDGPU.csdata,"",@progbits
; Kernel info:
; codeLenInByte = 3256
; NumSgprs: 31
; NumVgprs: 23
; ScratchSize: 0
; MemoryBound: 0
; FloatMode: 240
; IeeeMode: 1
; LDSByteSize: 32 bytes/workgroup (compile time only)
; SGPRBlocks: 3
; VGPRBlocks: 2
; NumSGPRsForWavesPerEU: 31
; NumVGPRsForWavesPerEU: 23
; Occupancy: 16
; WaveLimiterHint : 0
; COMPUTE_PGM_RSRC2:SCRATCH_EN: 0
; COMPUTE_PGM_RSRC2:USER_SGPR: 15
; COMPUTE_PGM_RSRC2:TRAP_HANDLER: 0
; COMPUTE_PGM_RSRC2:TGID_X_EN: 1
; COMPUTE_PGM_RSRC2:TGID_Y_EN: 0
; COMPUTE_PGM_RSRC2:TGID_Z_EN: 0
; COMPUTE_PGM_RSRC2:TIDIG_COMP_CNT: 0
	.section	.text._ZN5aiter24add_rmsnorm_quant_kernelIDF16_aLi256ELi8ELb0ELb1ELb1ELi1EEEvPT0_PT_PfS4_S4_S4_diiiiiiib,"axG",@progbits,_ZN5aiter24add_rmsnorm_quant_kernelIDF16_aLi256ELi8ELb0ELb1ELb1ELi1EEEvPT0_PT_PfS4_S4_S4_diiiiiiib,comdat
	.protected	_ZN5aiter24add_rmsnorm_quant_kernelIDF16_aLi256ELi8ELb0ELb1ELb1ELi1EEEvPT0_PT_PfS4_S4_S4_diiiiiiib ; -- Begin function _ZN5aiter24add_rmsnorm_quant_kernelIDF16_aLi256ELi8ELb0ELb1ELb1ELi1EEEvPT0_PT_PfS4_S4_S4_diiiiiiib
	.globl	_ZN5aiter24add_rmsnorm_quant_kernelIDF16_aLi256ELi8ELb0ELb1ELb1ELi1EEEvPT0_PT_PfS4_S4_S4_diiiiiiib
	.p2align	8
	.type	_ZN5aiter24add_rmsnorm_quant_kernelIDF16_aLi256ELi8ELb0ELb1ELb1ELi1EEEvPT0_PT_PfS4_S4_S4_diiiiiiib,@function
_ZN5aiter24add_rmsnorm_quant_kernelIDF16_aLi256ELi8ELb0ELb1ELb1ELi1EEEvPT0_PT_PfS4_S4_S4_diiiiiiib: ; @_ZN5aiter24add_rmsnorm_quant_kernelIDF16_aLi256ELi8ELb0ELb1ELb1ELi1EEEvPT0_PT_PfS4_S4_S4_diiiiiiib
; %bb.0:
	s_load_b128 s[4:7], s[0:1], 0x38
	s_mov_b32 s20, s15
	s_mov_b32 s21, 0
	s_waitcnt lgkmcnt(0)
	s_ashr_i32 s3, s4, 31
	s_mov_b32 s2, s4
	s_delay_alu instid0(SALU_CYCLE_1) | instskip(NEXT) | instid1(VALU_DEP_1)
	v_cmp_ge_i64_e64 s2, s[20:21], s[2:3]
	s_and_b32 vcc_lo, exec_lo, s2
	s_cbranch_vccnz .LBB97_44
; %bb.1:
	s_clause 0x1
	s_load_b128 s[8:11], s[0:1], 0x10
	s_load_b128 s[16:19], s[0:1], 0x28
	s_ashr_i32 s2, s6, 31
	s_mul_hi_u32 s3, s6, s20
	s_mul_i32 s7, s2, s20
	s_mul_i32 s2, s6, s20
	s_add_i32 s3, s3, s7
	v_lshlrev_b32_e32 v1, 4, v0
	s_lshl_b64 s[2:3], s[2:3], 1
	s_mov_b32 s15, -1
	v_and_b32_e32 v15, 31, v0
	s_mov_b32 s27, s15
	s_waitcnt lgkmcnt(0)
	s_add_u32 s12, s10, s2
	s_addc_u32 s2, s11, s3
	s_add_i32 s3, s5, 1
	s_and_b32 s13, s2, 0xffff
	s_lshr_b32 s6, s3, 31
	s_mov_b32 s24, s16
	s_add_i32 s3, s3, s6
	s_and_b32 s25, s17, 0xffff
	s_lshl_b32 s3, s3, 1
	v_cmp_eq_u32_e64 s2, 31, v15
	s_and_b32 s14, s3, -4
	buffer_load_b128 v[9:12], v1, s[12:15], 0 offen glc slc
	s_mov_b32 s26, s14
	buffer_load_b128 v[1:4], v1, s[24:27], 0 offen
	s_waitcnt vmcnt(1)
	v_lshrrev_b32_e32 v5, 16, v9
	v_lshrrev_b32_e32 v13, 16, v10
	v_lshrrev_b32_e32 v16, 16, v11
	v_lshrrev_b32_e32 v17, 16, v12
	v_cvt_f32_f16_e32 v8, v10
	v_cvt_f32_f16_e32 v7, v5
	;; [unrolled: 1-line block ×4, first 2 shown]
	s_delay_alu instid0(VALU_DEP_3) | instskip(NEXT) | instid1(VALU_DEP_1)
	v_mul_f32_e32 v5, v7, v7
	v_fma_mix_f32 v5, v9, v9, v5 op_sel_hi:[1,1,0]
	v_cvt_f32_f16_e32 v9, v9
	s_delay_alu instid0(VALU_DEP_2) | instskip(NEXT) | instid1(VALU_DEP_1)
	v_fma_mix_f32 v5, v10, v10, v5 op_sel_hi:[1,1,0]
	v_fma_mix_f32 v5, v10, v10, v5 op_sel:[1,1,0] op_sel_hi:[1,1,0]
	v_cvt_f32_f16_e32 v10, v11
	s_delay_alu instid0(VALU_DEP_2) | instskip(NEXT) | instid1(VALU_DEP_1)
	v_fma_mix_f32 v5, v11, v11, v5 op_sel_hi:[1,1,0]
	v_fma_mix_f32 v5, v11, v11, v5 op_sel:[1,1,0] op_sel_hi:[1,1,0]
	v_cvt_f32_f16_e32 v11, v12
	s_delay_alu instid0(VALU_DEP_2) | instskip(NEXT) | instid1(VALU_DEP_1)
	v_fma_mix_f32 v5, v12, v12, v5 op_sel_hi:[1,1,0]
	v_fma_mix_f32 v5, v12, v12, v5 op_sel:[1,1,0] op_sel_hi:[1,1,0]
	v_cvt_f32_f16_e32 v12, v17
	s_delay_alu instid0(VALU_DEP_2) | instskip(NEXT) | instid1(VALU_DEP_1)
	v_mov_b32_dpp v6, v5 quad_perm:[1,0,3,2] row_mask:0xf bank_mask:0xf
	v_add_f32_e32 v5, v5, v6
	s_delay_alu instid0(VALU_DEP_1) | instskip(NEXT) | instid1(VALU_DEP_1)
	v_mov_b32_dpp v6, v5 quad_perm:[2,3,0,1] row_mask:0xf bank_mask:0xf
	v_add_f32_e32 v5, v5, v6
	s_delay_alu instid0(VALU_DEP_1) | instskip(NEXT) | instid1(VALU_DEP_1)
	v_mov_b32_dpp v6, v5 row_xmask:7 row_mask:0xf bank_mask:0xf
	v_add_f32_e32 v5, v5, v6
	s_delay_alu instid0(VALU_DEP_1)
	v_mov_b32_dpp v6, v5 row_xmask:15 row_mask:0xf bank_mask:0xf
	s_and_saveexec_b32 s3, s2
	s_cbranch_execz .LBB97_3
; %bb.2:
	s_delay_alu instid0(VALU_DEP_1) | instskip(SKIP_2) | instid1(VALU_DEP_2)
	v_add_f32_e32 v5, v5, v6
	s_mov_b32 s6, 0x76543210
	v_lshrrev_b32_e32 v6, 3, v0
	v_permlanex16_b32 v15, v5, s6, 0xfedcba98 op_sel:[1,1]
	s_delay_alu instid0(VALU_DEP_1)
	v_dual_add_f32 v5, v5, v15 :: v_dual_and_b32 v6, 0x7c, v6
	ds_store_b32 v6, v5 offset:32
.LBB97_3:
	s_or_b32 exec_lo, exec_lo, s3
	v_and_b32_e32 v5, 7, v0
	s_waitcnt vmcnt(0) lgkmcnt(0)
	s_barrier
	buffer_gl0_inv
	v_cvt_f32_i32_e32 v16, s5
	v_lshlrev_b32_e32 v6, 2, v5
	ds_load_b32 v5, v6 offset:32
	s_clause 0x1
	s_load_b64 s[6:7], s[0:1], 0x4c
	s_load_b32 s10, s[0:1], 0x54
	s_waitcnt lgkmcnt(0)
	s_cmp_lg_u32 s7, 0
	v_mov_b32_dpp v15, v5 quad_perm:[1,0,3,2] row_mask:0xf bank_mask:0xf
	s_delay_alu instid0(VALU_DEP_1) | instskip(NEXT) | instid1(VALU_DEP_1)
	v_add_f32_e32 v5, v5, v15
	v_mov_b32_dpp v15, v5 quad_perm:[2,3,0,1] row_mask:0xf bank_mask:0xf
	s_delay_alu instid0(VALU_DEP_1) | instskip(NEXT) | instid1(VALU_DEP_1)
	v_add_f32_e32 v5, v5, v15
	v_mov_b32_dpp v15, v5 row_xmask:7 row_mask:0xf bank_mask:0xf
	s_delay_alu instid0(VALU_DEP_1) | instskip(NEXT) | instid1(VALU_DEP_1)
	v_add_f32_e32 v5, v5, v15
	v_div_scale_f32 v15, null, v16, v16, v5
	v_div_scale_f32 v19, vcc_lo, v5, v16, v5
	s_delay_alu instid0(VALU_DEP_2) | instskip(SKIP_2) | instid1(VALU_DEP_1)
	v_rcp_f32_e32 v17, v15
	s_waitcnt_depctr 0xfff
	v_fma_f32 v18, -v15, v17, 1.0
	v_fmac_f32_e32 v17, v18, v17
	s_delay_alu instid0(VALU_DEP_1) | instskip(NEXT) | instid1(VALU_DEP_1)
	v_mul_f32_e32 v18, v19, v17
	v_fma_f32 v20, -v15, v18, v19
	s_delay_alu instid0(VALU_DEP_1) | instskip(SKIP_2) | instid1(VALU_DEP_3)
	v_fmac_f32_e32 v18, v20, v17
	v_cvt_f32_f16_e32 v20, v4
	v_lshrrev_b32_e32 v4, 16, v4
	v_fma_f32 v15, -v15, v18, v19
	s_delay_alu instid0(VALU_DEP_2) | instskip(NEXT) | instid1(VALU_DEP_2)
	v_cvt_f32_f16_e32 v4, v4
	v_div_fmas_f32 v15, v15, v17, v18
	v_cvt_f32_f16_e32 v17, v2
	v_lshrrev_b32_e32 v2, 16, v2
	v_cvt_f32_f16_e32 v18, v3
	v_lshrrev_b32_e32 v3, 16, v3
	v_div_fixup_f32 v5, v15, v16, v5
	s_delay_alu instid0(VALU_DEP_4) | instskip(NEXT) | instid1(VALU_DEP_3)
	v_cvt_f32_f16_e32 v2, v2
	v_cvt_f32_f16_e32 v3, v3
	s_delay_alu instid0(VALU_DEP_3) | instskip(NEXT) | instid1(VALU_DEP_1)
	v_cvt_f64_f32_e32 v[15:16], v5
	v_add_f64 v[15:16], v[15:16], s[18:19]
	s_delay_alu instid0(VALU_DEP_1) | instskip(SKIP_2) | instid1(VALU_DEP_1)
	v_cvt_f32_f64_e32 v5, v[15:16]
	v_cvt_f32_f16_e32 v16, v1
	v_lshrrev_b32_e32 v1, 16, v1
	v_cvt_f32_f16_e32 v1, v1
	s_delay_alu instid0(VALU_DEP_4) | instskip(SKIP_1) | instid1(VALU_DEP_2)
	v_mul_f32_e32 v15, 0x4b800000, v5
	v_cmp_gt_f32_e32 vcc_lo, 0x800000, v5
	v_cndmask_b32_e32 v5, v5, v15, vcc_lo
	s_delay_alu instid0(VALU_DEP_1) | instskip(SKIP_2) | instid1(VALU_DEP_1)
	v_rsq_f32_e32 v15, v5
	s_waitcnt_depctr 0xfff
	v_mul_f32_e32 v19, 0x45800000, v15
	v_cndmask_b32_e32 v15, v15, v19, vcc_lo
	s_delay_alu instid0(VALU_DEP_1) | instskip(SKIP_1) | instid1(VALU_DEP_2)
	v_mul_f32_e32 v14, v15, v14
	v_mul_f32_e32 v19, v15, v10
	;; [unrolled: 1-line block ×3, first 2 shown]
	s_delay_alu instid0(VALU_DEP_1) | instskip(SKIP_3) | instid1(VALU_DEP_4)
	v_dual_mul_f32 v7, v15, v7 :: v_dual_and_b32 v14, 0x7fffffff, v10
	v_dual_mul_f32 v22, v15, v11 :: v_dual_lshlrev_b32 v5, 3, v0
	v_mul_f32_e32 v8, v15, v8
	v_mul_f32_e32 v13, v15, v13
	;; [unrolled: 1-line block ×5, first 2 shown]
	v_mov_b32_e32 v21, 0x2edbe6ff
	s_delay_alu instid0(VALU_DEP_4) | instskip(NEXT) | instid1(VALU_DEP_4)
	v_dual_mul_f32 v7, v19, v18 :: v_dual_and_b32 v2, 0x7fffffff, v11
	v_dual_mul_f32 v12, v9, v16 :: v_dual_mul_f32 v9, v8, v17
	v_dual_mul_f32 v8, v13, v3 :: v_dual_mul_f32 v3, v22, v20
	v_mul_f32_e32 v4, v15, v4
	s_delay_alu instid0(VALU_DEP_3)
	v_and_b32_e32 v1, 0x7fffffff, v12
	;;#ASMSTART
	v_max3_f32 v1, v21, v1, v2

	;;#ASMEND
	v_and_b32_e32 v13, 0x7fffffff, v9
	;;#ASMSTART
	v_max3_f32 v1, v1, v13, v14

	;;#ASMEND
	v_and_b32_e32 v15, 0x7fffffff, v7
	v_and_b32_e32 v16, 0x7fffffff, v8
	;; [unrolled: 1-line block ×4, first 2 shown]
	;;#ASMSTART
	v_max3_f32 v1, v1, v15, v16

	;;#ASMEND
	;;#ASMSTART
	v_max3_f32 v13, v1, v17, v18

	;;#ASMEND
	s_cbranch_scc0 .LBB97_10
; %bb.4:
	s_ashr_i32 s11, s7, 31
	s_delay_alu instid0(SALU_CYCLE_1) | instskip(NEXT) | instid1(SALU_CYCLE_1)
	s_lshr_b32 s3, s11, 29
	s_add_i32 s3, s7, s3
	s_delay_alu instid0(SALU_CYCLE_1) | instskip(NEXT) | instid1(SALU_CYCLE_1)
	s_ashr_i32 s3, s3, 3
	s_cmp_lt_i32 s3, 8
	s_cbranch_scc1 .LBB97_11
; %bb.5:
	s_cmp_lt_i32 s3, 16
	s_cbranch_scc1 .LBB97_12
; %bb.6:
	;; [unrolled: 3-line block ×3, first 2 shown]
	v_mov_b32_e32 v1, v13
	s_cmp_eq_u32 s3, 32
	s_cbranch_scc0 .LBB97_9
; %bb.8:
	s_delay_alu instid0(VALU_DEP_1) | instskip(SKIP_1) | instid1(VALU_DEP_1)
	v_mov_b32_dpp v1, v13 quad_perm:[1,0,3,2] row_mask:0xf bank_mask:0xf
	s_mov_b32 s12, 0x76543210
	v_cmp_gt_f32_e32 vcc_lo, v13, v1
	v_cndmask_b32_e32 v1, v1, v13, vcc_lo
	s_delay_alu instid0(VALU_DEP_1) | instskip(NEXT) | instid1(VALU_DEP_1)
	v_mov_b32_dpp v2, v1 quad_perm:[2,3,0,1] row_mask:0xf bank_mask:0xf
	v_cmp_gt_f32_e32 vcc_lo, v1, v2
	v_cndmask_b32_e32 v1, v2, v1, vcc_lo
	s_delay_alu instid0(VALU_DEP_1) | instskip(NEXT) | instid1(VALU_DEP_1)
	v_mov_b32_dpp v2, v1 row_xmask:7 row_mask:0xf bank_mask:0xf
	v_cmp_gt_f32_e32 vcc_lo, v1, v2
	v_cndmask_b32_e32 v1, v2, v1, vcc_lo
	s_delay_alu instid0(VALU_DEP_1) | instskip(NEXT) | instid1(VALU_DEP_1)
	v_mov_b32_dpp v2, v1 row_xmask:15 row_mask:0xf bank_mask:0xf
	v_cmp_gt_f32_e32 vcc_lo, v1, v2
	v_cndmask_b32_e32 v1, v2, v1, vcc_lo
	s_delay_alu instid0(VALU_DEP_1) | instskip(NEXT) | instid1(VALU_DEP_1)
	v_permlanex16_b32 v2, v1, s12, 0xfedcba98 op_sel:[1,1]
	v_cmp_gt_f32_e32 vcc_lo, v1, v2
	v_cndmask_b32_e32 v1, v2, v1, vcc_lo
.LBB97_9:
	s_mov_b32 s12, 0
	s_branch .LBB97_14
.LBB97_10:
	s_mov_b32 s3, 0
                                        ; implicit-def: $vgpr14
                                        ; implicit-def: $vgpr1_vgpr2
	s_and_b32 vcc_lo, exec_lo, s15
	s_cbranch_vccnz .LBB97_38
	s_branch .LBB97_41
.LBB97_11:
                                        ; implicit-def: $vgpr1
	s_branch .LBB97_21
.LBB97_12:
                                        ; implicit-def: $vgpr1
	s_branch .LBB97_18
.LBB97_13:
	s_mov_b32 s12, -1
                                        ; implicit-def: $vgpr1
.LBB97_14:
	s_delay_alu instid0(SALU_CYCLE_1)
	s_and_not1_b32 vcc_lo, exec_lo, s12
	s_cbranch_vccnz .LBB97_17
; %bb.15:
	v_mov_b32_e32 v1, v13
	s_cmp_eq_u32 s3, 16
	s_cbranch_scc0 .LBB97_17
; %bb.16:
	s_delay_alu instid0(VALU_DEP_1) | instskip(NEXT) | instid1(VALU_DEP_1)
	v_mov_b32_dpp v1, v13 quad_perm:[1,0,3,2] row_mask:0xf bank_mask:0xf
	v_cmp_gt_f32_e32 vcc_lo, v13, v1
	v_cndmask_b32_e32 v1, v1, v13, vcc_lo
	s_delay_alu instid0(VALU_DEP_1) | instskip(NEXT) | instid1(VALU_DEP_1)
	v_mov_b32_dpp v2, v1 quad_perm:[2,3,0,1] row_mask:0xf bank_mask:0xf
	v_cmp_gt_f32_e32 vcc_lo, v1, v2
	v_cndmask_b32_e32 v1, v2, v1, vcc_lo
	s_delay_alu instid0(VALU_DEP_1) | instskip(NEXT) | instid1(VALU_DEP_1)
	v_mov_b32_dpp v2, v1 row_half_mirror row_mask:0xf bank_mask:0xf
	v_cmp_gt_f32_e32 vcc_lo, v1, v2
	v_cndmask_b32_e32 v1, v2, v1, vcc_lo
	s_delay_alu instid0(VALU_DEP_1) | instskip(NEXT) | instid1(VALU_DEP_1)
	v_mov_b32_dpp v2, v1 row_mirror row_mask:0xf bank_mask:0xf
	v_cmp_gt_f32_e32 vcc_lo, v1, v2
	v_cndmask_b32_e32 v1, v2, v1, vcc_lo
.LBB97_17:
	s_cbranch_execnz .LBB97_20
.LBB97_18:
	v_mov_b32_e32 v1, v13
	s_cmp_eq_u32 s3, 8
	s_cbranch_scc0 .LBB97_20
; %bb.19:
	s_delay_alu instid0(VALU_DEP_1) | instskip(NEXT) | instid1(VALU_DEP_1)
	v_mov_b32_dpp v1, v13 quad_perm:[1,0,3,2] row_mask:0xf bank_mask:0xf
	v_cmp_gt_f32_e32 vcc_lo, v13, v1
	v_cndmask_b32_e32 v1, v1, v13, vcc_lo
	s_delay_alu instid0(VALU_DEP_1) | instskip(NEXT) | instid1(VALU_DEP_1)
	v_mov_b32_dpp v2, v1 quad_perm:[2,3,0,1] row_mask:0xf bank_mask:0xf
	v_cmp_gt_f32_e32 vcc_lo, v1, v2
	v_cndmask_b32_e32 v1, v2, v1, vcc_lo
	s_delay_alu instid0(VALU_DEP_1) | instskip(NEXT) | instid1(VALU_DEP_1)
	v_mov_b32_dpp v2, v1 row_half_mirror row_mask:0xf bank_mask:0xf
	v_cmp_gt_f32_e32 vcc_lo, v1, v2
	v_cndmask_b32_e32 v1, v2, v1, vcc_lo
.LBB97_20:
	s_cbranch_execnz .LBB97_28
.LBB97_21:
	s_cmp_lt_i32 s3, 4
	s_cbranch_scc1 .LBB97_24
; %bb.22:
	v_mov_b32_e32 v1, v13
	s_cmp_eq_u32 s3, 4
	s_cbranch_scc0 .LBB97_25
; %bb.23:
	s_delay_alu instid0(VALU_DEP_1) | instskip(NEXT) | instid1(VALU_DEP_1)
	v_mov_b32_dpp v1, v13 quad_perm:[1,0,3,2] row_mask:0xf bank_mask:0xf
	v_cmp_gt_f32_e32 vcc_lo, v13, v1
	v_cndmask_b32_e32 v1, v1, v13, vcc_lo
	s_delay_alu instid0(VALU_DEP_1) | instskip(NEXT) | instid1(VALU_DEP_1)
	v_mov_b32_dpp v2, v1 quad_perm:[2,3,0,1] row_mask:0xf bank_mask:0xf
	v_cmp_gt_f32_e32 vcc_lo, v1, v2
	v_cndmask_b32_e32 v1, v2, v1, vcc_lo
	s_cbranch_execz .LBB97_26
	s_branch .LBB97_28
.LBB97_24:
                                        ; implicit-def: $vgpr1
	s_branch .LBB97_26
.LBB97_25:
	s_cbranch_execnz .LBB97_28
.LBB97_26:
	v_mov_b32_e32 v1, v13
	s_cmp_lg_u32 s3, 2
	s_cbranch_scc1 .LBB97_28
; %bb.27:
	s_delay_alu instid0(VALU_DEP_1) | instskip(NEXT) | instid1(VALU_DEP_1)
	v_mov_b32_dpp v1, v13 quad_perm:[1,0,3,2] row_mask:0xf bank_mask:0xf
	v_cmp_gt_f32_e32 vcc_lo, v13, v1
	v_cndmask_b32_e32 v1, v1, v13, vcc_lo
.LBB97_28:
	v_cvt_f32_u32_e32 v2, s3
	s_sub_i32 s12, 0, s3
	s_mov_b32 s15, 0
	s_delay_alu instid0(VALU_DEP_1) | instskip(SKIP_2) | instid1(VALU_DEP_1)
	v_rcp_iflag_f32_e32 v2, v2
	s_waitcnt_depctr 0xfff
	v_mul_f32_e32 v2, 0x4f7ffffe, v2
	v_cvt_u32_f32_e32 v2, v2
	s_delay_alu instid0(VALU_DEP_1) | instskip(NEXT) | instid1(VALU_DEP_1)
	v_mul_lo_u32 v14, s12, v2
	v_mul_hi_u32 v14, v2, v14
	s_delay_alu instid0(VALU_DEP_1) | instskip(NEXT) | instid1(VALU_DEP_1)
	v_add_nc_u32_e32 v2, v2, v14
	v_mul_hi_u32 v2, v0, v2
	s_delay_alu instid0(VALU_DEP_1) | instskip(NEXT) | instid1(VALU_DEP_1)
	v_mul_lo_u32 v14, v2, s3
	v_sub_nc_u32_e32 v14, v0, v14
	s_delay_alu instid0(VALU_DEP_1) | instskip(SKIP_1) | instid1(VALU_DEP_2)
	v_subrev_nc_u32_e32 v16, s3, v14
	v_cmp_le_u32_e32 vcc_lo, s3, v14
	v_dual_cndmask_b32 v14, v14, v16 :: v_dual_add_nc_u32 v15, 1, v2
	s_delay_alu instid0(VALU_DEP_1) | instskip(NEXT) | instid1(VALU_DEP_2)
	v_cndmask_b32_e32 v2, v2, v15, vcc_lo
	v_cmp_le_u32_e32 vcc_lo, s3, v14
	s_delay_alu instid0(VALU_DEP_2) | instskip(NEXT) | instid1(VALU_DEP_1)
	v_dual_mul_f32 v14, 0x3c010204, v1 :: v_dual_add_nc_u32 v15, 1, v2
	v_cndmask_b32_e32 v15, v2, v15, vcc_lo
	v_cmp_gt_u32_e32 vcc_lo, s5, v5
	s_delay_alu instid0(VALU_DEP_2) | instskip(NEXT) | instid1(VALU_DEP_1)
	v_mul_lo_u32 v2, v15, s3
	v_sub_nc_u32_e32 v2, v0, v2
	s_delay_alu instid0(VALU_DEP_1) | instskip(NEXT) | instid1(VALU_DEP_1)
	v_cmp_eq_u32_e64 s3, 0, v2
                                        ; implicit-def: $vgpr1_vgpr2
	s_and_b32 s12, s3, vcc_lo
	s_mov_b32 s3, 0
	s_and_saveexec_b32 s13, s12
	s_delay_alu instid0(SALU_CYCLE_1)
	s_xor_b32 s14, exec_lo, s13
	s_cbranch_execz .LBB97_37
; %bb.29:
	s_bitcmp0_b32 s10, 0
	s_mov_b32 s16, 0
	s_cbranch_scc0 .LBB97_34
; %bb.30:
	s_ashr_i32 s3, s5, 31
	s_mul_hi_u32 s10, s5, s20
	s_mul_i32 s3, s3, s20
	s_mul_i32 s12, s5, s20
	s_add_i32 s13, s10, s3
	s_mov_b32 s10, s7
	s_delay_alu instid0(SALU_CYCLE_1) | instskip(NEXT) | instid1(SALU_CYCLE_1)
	s_or_b64 s[18:19], s[12:13], s[10:11]
	s_mov_b32 s17, s19
	s_delay_alu instid0(SALU_CYCLE_1)
	s_cmp_lg_u64 s[16:17], 0
	s_cbranch_scc0 .LBB97_45
; %bb.31:
	s_add_u32 s18, s10, s11
	s_mov_b32 s16, s11
	s_mov_b32 s17, s11
	s_addc_u32 s19, s11, s11
	s_delay_alu instid0(SALU_CYCLE_1) | instskip(NEXT) | instid1(SALU_CYCLE_1)
	s_xor_b64 s[18:19], s[18:19], s[16:17]
	v_cvt_f32_u32_e32 v1, s18
	v_cvt_f32_u32_e32 v2, s19
	s_sub_u32 s11, 0, s18
	s_subb_u32 s22, 0, s19
	s_delay_alu instid0(VALU_DEP_1) | instskip(NEXT) | instid1(VALU_DEP_1)
	v_fmamk_f32 v1, v2, 0x4f800000, v1
	v_rcp_f32_e32 v1, v1
	s_waitcnt_depctr 0xfff
	v_mul_f32_e32 v1, 0x5f7ffffc, v1
	s_delay_alu instid0(VALU_DEP_1) | instskip(NEXT) | instid1(VALU_DEP_1)
	v_mul_f32_e32 v2, 0x2f800000, v1
	v_trunc_f32_e32 v2, v2
	s_delay_alu instid0(VALU_DEP_1) | instskip(SKIP_1) | instid1(VALU_DEP_2)
	v_fmamk_f32 v1, v2, 0xcf800000, v1
	v_cvt_u32_f32_e32 v2, v2
	v_cvt_u32_f32_e32 v1, v1
	s_delay_alu instid0(VALU_DEP_2) | instskip(NEXT) | instid1(VALU_DEP_2)
	v_readfirstlane_b32 s3, v2
	v_readfirstlane_b32 s7, v1
	s_delay_alu instid0(VALU_DEP_2) | instskip(NEXT) | instid1(VALU_DEP_1)
	s_mul_i32 s23, s11, s3
	s_mul_hi_u32 s25, s11, s7
	s_mul_i32 s24, s22, s7
	s_add_i32 s23, s25, s23
	s_mul_i32 s26, s11, s7
	s_add_i32 s23, s23, s24
	s_mul_hi_u32 s25, s7, s26
	s_mul_hi_u32 s27, s3, s26
	s_mul_i32 s24, s3, s26
	s_mul_hi_u32 s26, s7, s23
	s_mul_i32 s7, s7, s23
	s_mul_hi_u32 s28, s3, s23
	s_add_u32 s7, s25, s7
	s_addc_u32 s25, 0, s26
	s_add_u32 s7, s7, s24
	s_mul_i32 s23, s3, s23
	s_addc_u32 s7, s25, s27
	s_addc_u32 s24, s28, 0
	s_add_u32 s7, s7, s23
	s_addc_u32 s23, 0, s24
	v_add_co_u32 v1, s7, v1, s7
	s_delay_alu instid0(VALU_DEP_1) | instskip(SKIP_1) | instid1(VALU_DEP_1)
	s_cmp_lg_u32 s7, 0
	s_addc_u32 s3, s3, s23
	v_readfirstlane_b32 s7, v1
	s_mul_i32 s23, s11, s3
	s_delay_alu instid0(VALU_DEP_1)
	s_mul_hi_u32 s24, s11, s7
	s_mul_i32 s22, s22, s7
	s_add_i32 s23, s24, s23
	s_mul_i32 s11, s11, s7
	s_add_i32 s23, s23, s22
	s_mul_hi_u32 s24, s3, s11
	s_mul_i32 s25, s3, s11
	s_mul_hi_u32 s11, s7, s11
	s_mul_hi_u32 s26, s7, s23
	s_mul_i32 s7, s7, s23
	s_mul_hi_u32 s22, s3, s23
	s_add_u32 s7, s11, s7
	s_addc_u32 s11, 0, s26
	s_add_u32 s7, s7, s25
	s_mul_i32 s23, s3, s23
	s_addc_u32 s7, s11, s24
	s_addc_u32 s11, s22, 0
	s_add_u32 s7, s7, s23
	s_addc_u32 s11, 0, s11
	v_add_co_u32 v1, s7, v1, s7
	s_delay_alu instid0(VALU_DEP_1) | instskip(SKIP_2) | instid1(VALU_DEP_1)
	s_cmp_lg_u32 s7, 0
	s_addc_u32 s3, s3, s11
	s_ashr_i32 s22, s13, 31
	v_readfirstlane_b32 s7, v1
	s_add_u32 s24, s12, s22
	s_mov_b32 s23, s22
	s_addc_u32 s25, s13, s22
	s_delay_alu instid0(SALU_CYCLE_1) | instskip(NEXT) | instid1(SALU_CYCLE_1)
	s_xor_b64 s[24:25], s[24:25], s[22:23]
	s_mul_i32 s13, s24, s3
	s_mul_hi_u32 s26, s24, s7
	s_mul_hi_u32 s11, s24, s3
	;; [unrolled: 1-line block ×3, first 2 shown]
	s_mul_i32 s7, s25, s7
	s_add_u32 s13, s26, s13
	s_addc_u32 s11, 0, s11
	s_mul_hi_u32 s27, s25, s3
	s_add_u32 s7, s13, s7
	s_mul_i32 s3, s25, s3
	s_addc_u32 s7, s11, s28
	s_addc_u32 s11, s27, 0
	s_add_u32 s7, s7, s3
	s_addc_u32 s11, 0, s11
	s_mul_i32 s27, s18, s7
	s_mul_hi_u32 s3, s18, s7
	s_mul_i32 s26, s18, s11
	v_sub_co_u32 v1, s24, s24, s27
	s_mul_i32 s13, s19, s7
	s_add_i32 s3, s3, s26
	s_delay_alu instid0(SALU_CYCLE_1) | instskip(NEXT) | instid1(VALU_DEP_1)
	s_add_i32 s3, s3, s13
	v_sub_co_u32 v2, s26, v1, s18
	s_sub_i32 s13, s25, s3
	s_cmp_lg_u32 s24, 0
	s_subb_u32 s13, s13, s19
	s_cmp_lg_u32 s26, 0
	v_cmp_le_u32_e32 vcc_lo, s18, v2
	s_subb_u32 s13, s13, 0
	s_delay_alu instid0(SALU_CYCLE_1)
	s_cmp_ge_u32 s13, s19
	v_cndmask_b32_e64 v2, 0, -1, vcc_lo
	s_cselect_b32 s26, -1, 0
	s_cmp_eq_u32 s13, s19
	s_cselect_b32 vcc_lo, -1, 0
	s_add_u32 s13, s7, 1
	v_cndmask_b32_e32 v2, s26, v2, vcc_lo
	s_addc_u32 s26, s11, 0
	s_add_u32 s27, s7, 2
	s_addc_u32 s28, s11, 0
	s_cmp_lg_u32 s24, 0
	v_cmp_le_u32_e32 vcc_lo, s18, v1
	s_subb_u32 s3, s25, s3
	v_mov_b32_e32 v16, s27
	s_cmp_ge_u32 s3, s19
	v_cndmask_b32_e64 v1, 0, -1, vcc_lo
	s_cselect_b32 s18, -1, 0
	s_cmp_eq_u32 s3, s19
	v_cmp_ne_u32_e32 vcc_lo, 0, v2
	v_mov_b32_e32 v2, s28
	s_cselect_b32 s3, -1, 0
	s_xor_b64 s[16:17], s[22:23], s[16:17]
	v_cndmask_b32_e64 v1, s18, v1, s3
	v_cndmask_b32_e32 v16, s13, v16, vcc_lo
	v_cndmask_b32_e32 v2, s26, v2, vcc_lo
	s_delay_alu instid0(VALU_DEP_3) | instskip(NEXT) | instid1(VALU_DEP_2)
	v_cmp_ne_u32_e32 vcc_lo, 0, v1
	v_cndmask_b32_e32 v1, s11, v2, vcc_lo
	s_delay_alu instid0(VALU_DEP_4) | instskip(NEXT) | instid1(VALU_DEP_2)
	v_cndmask_b32_e32 v2, s7, v16, vcc_lo
	v_xor_b32_e32 v16, s17, v1
	s_delay_alu instid0(VALU_DEP_2) | instskip(NEXT) | instid1(VALU_DEP_1)
	v_xor_b32_e32 v2, s16, v2
	v_sub_co_u32 v1, vcc_lo, v2, s16
	s_delay_alu instid0(VALU_DEP_3)
	v_subrev_co_ci_u32_e32 v2, vcc_lo, s17, v16, vcc_lo
	s_cbranch_execnz .LBB97_33
.LBB97_32:
	v_cvt_f32_u32_e32 v1, s10
	s_sub_i32 s7, 0, s10
	s_delay_alu instid0(VALU_DEP_1) | instskip(SKIP_2) | instid1(VALU_DEP_1)
	v_rcp_iflag_f32_e32 v1, v1
	s_waitcnt_depctr 0xfff
	v_mul_f32_e32 v1, 0x4f7ffffe, v1
	v_cvt_u32_f32_e32 v1, v1
	s_delay_alu instid0(VALU_DEP_1) | instskip(NEXT) | instid1(VALU_DEP_1)
	v_readfirstlane_b32 s3, v1
	s_mul_i32 s7, s7, s3
	s_delay_alu instid0(SALU_CYCLE_1) | instskip(NEXT) | instid1(SALU_CYCLE_1)
	s_mul_hi_u32 s7, s3, s7
	s_add_i32 s3, s3, s7
	s_delay_alu instid0(SALU_CYCLE_1) | instskip(NEXT) | instid1(SALU_CYCLE_1)
	s_mul_hi_u32 s3, s12, s3
	s_mul_i32 s7, s3, s10
	s_add_i32 s11, s3, 1
	s_sub_i32 s7, s12, s7
	s_delay_alu instid0(SALU_CYCLE_1)
	s_sub_i32 s12, s7, s10
	s_cmp_ge_u32 s7, s10
	s_cselect_b32 s3, s11, s3
	s_cselect_b32 s7, s12, s7
	s_add_i32 s12, s3, 1
	s_cmp_ge_u32 s7, s10
	s_mov_b32 s11, 0
	s_cselect_b32 s10, s12, s3
	s_delay_alu instid0(SALU_CYCLE_1)
	v_dual_mov_b32 v1, s10 :: v_dual_mov_b32 v2, s11
.LBB97_33:
	s_delay_alu instid0(VALU_DEP_1) | instskip(NEXT) | instid1(VALU_DEP_2)
	v_add_co_u32 v1, vcc_lo, v1, v15
	v_add_co_ci_u32_e32 v2, vcc_lo, 0, v2, vcc_lo
	s_branch .LBB97_36
.LBB97_34:
                                        ; implicit-def: $vgpr1_vgpr2
	s_cbranch_execz .LBB97_36
; %bb.35:
	v_mul_lo_u32 v1, v15, s4
	s_delay_alu instid0(VALU_DEP_1) | instskip(SKIP_1) | instid1(VALU_DEP_2)
	v_ashrrev_i32_e32 v2, 31, v1
	v_add_co_u32 v1, vcc_lo, v1, s20
	v_add_co_ci_u32_e32 v2, vcc_lo, 0, v2, vcc_lo
.LBB97_36:
	s_mov_b32 s3, exec_lo
.LBB97_37:
	s_or_b32 exec_lo, exec_lo, s14
	s_delay_alu instid0(SALU_CYCLE_1)
	s_and_b32 vcc_lo, exec_lo, s15
	s_cbranch_vccz .LBB97_41
.LBB97_38:
	v_mov_b32_dpp v1, v13 quad_perm:[1,0,3,2] row_mask:0xf bank_mask:0xf
	s_delay_alu instid0(VALU_DEP_1) | instskip(SKIP_1) | instid1(VALU_DEP_1)
	v_cmp_gt_f32_e32 vcc_lo, v13, v1
	v_cndmask_b32_e32 v1, v1, v13, vcc_lo
	v_mov_b32_dpp v2, v1 quad_perm:[2,3,0,1] row_mask:0xf bank_mask:0xf
	s_delay_alu instid0(VALU_DEP_1) | instskip(SKIP_1) | instid1(VALU_DEP_1)
	v_cmp_gt_f32_e32 vcc_lo, v1, v2
	v_cndmask_b32_e32 v1, v2, v1, vcc_lo
	v_mov_b32_dpp v2, v1 row_xmask:7 row_mask:0xf bank_mask:0xf
	s_delay_alu instid0(VALU_DEP_1) | instskip(SKIP_1) | instid1(VALU_DEP_1)
	v_cmp_gt_f32_e32 vcc_lo, v1, v2
	v_cndmask_b32_e32 v1, v2, v1, vcc_lo
	v_mov_b32_dpp v2, v1 row_xmask:15 row_mask:0xf bank_mask:0xf
	s_delay_alu instid0(VALU_DEP_1)
	v_cmp_gt_f32_e32 vcc_lo, v1, v2
	s_and_saveexec_b32 s3, s2
	s_cbranch_execz .LBB97_40
; %bb.39:
	v_cndmask_b32_e32 v1, v2, v1, vcc_lo
	v_lshrrev_b32_e32 v2, 3, v0
	s_mov_b32 s2, 0x76543210
	s_delay_alu instid0(VALU_DEP_1) | instskip(NEXT) | instid1(VALU_DEP_3)
	v_and_b32_e32 v2, 0x7c, v2
	v_permlanex16_b32 v13, v1, s2, 0xfedcba98 op_sel:[1,1]
	s_delay_alu instid0(VALU_DEP_1)
	v_cmp_gt_f32_e32 vcc_lo, v1, v13
	v_cndmask_b32_e32 v1, v13, v1, vcc_lo
	ds_store_b32 v2, v1
.LBB97_40:
	s_or_b32 exec_lo, exec_lo, s3
	s_waitcnt lgkmcnt(0)
	s_barrier
	buffer_gl0_inv
	ds_load_b32 v1, v6
	v_cmp_eq_u32_e64 s3, 0, v0
	s_waitcnt lgkmcnt(0)
	v_mov_b32_dpp v2, v1 quad_perm:[1,0,3,2] row_mask:0xf bank_mask:0xf
	s_delay_alu instid0(VALU_DEP_1) | instskip(SKIP_1) | instid1(VALU_DEP_1)
	v_cmp_gt_f32_e32 vcc_lo, v1, v2
	v_cndmask_b32_e32 v1, v2, v1, vcc_lo
	v_mov_b32_dpp v2, v1 quad_perm:[2,3,0,1] row_mask:0xf bank_mask:0xf
	s_delay_alu instid0(VALU_DEP_1) | instskip(SKIP_1) | instid1(VALU_DEP_1)
	v_cmp_gt_f32_e32 vcc_lo, v1, v2
	v_cndmask_b32_e32 v1, v2, v1, vcc_lo
	v_mov_b32_dpp v2, v1 row_xmask:7 row_mask:0xf bank_mask:0xf
	s_delay_alu instid0(VALU_DEP_1) | instskip(SKIP_1) | instid1(VALU_DEP_1)
	v_cmp_gt_f32_e32 vcc_lo, v1, v2
	v_cndmask_b32_e32 v1, v2, v1, vcc_lo
	v_dual_mul_f32 v14, 0x3c010204, v1 :: v_dual_mov_b32 v1, s20
	v_mov_b32_e32 v2, s21
.LBB97_41:
	s_and_saveexec_b32 s2, s3
	s_cbranch_execz .LBB97_43
; %bb.42:
	s_delay_alu instid0(VALU_DEP_1) | instskip(NEXT) | instid1(VALU_DEP_1)
	v_lshlrev_b64 v[0:1], 2, v[1:2]
	v_add_co_u32 v0, vcc_lo, s8, v0
	s_delay_alu instid0(VALU_DEP_2)
	v_add_co_ci_u32_e32 v1, vcc_lo, s9, v1, vcc_lo
	global_store_b32 v[0:1], v14, off
.LBB97_43:
	s_or_b32 exec_lo, exec_lo, s2
	;;#ASMSTART
	v_rcp_f32 v0, v14
	;;#ASMEND
	v_mul_f32_e32 v7, v7, v0
	v_mul_f32_e32 v1, v12, v0
	;; [unrolled: 1-line block ×4, first 2 shown]
	s_load_b64 s[0:1], s[0:1], 0x0
	v_cvt_i32_f32_e32 v7, v7
	v_mul_f32_e32 v2, v11, v0
	v_cvt_i32_f32_e32 v1, v1
	v_mul_f32_e32 v6, v9, v0
	v_cvt_i32_f32_e32 v4, v4
	v_and_b32_e32 v7, 0xff, v7
	v_cvt_i32_f32_e32 v2, v2
	v_and_b32_e32 v1, 0xff, v1
	s_add_i32 s2, s5, 3
	v_lshlrev_b16 v4, 8, v4
	s_ashr_i32 s3, s2, 31
	v_lshlrev_b16 v2, 8, v2
	s_lshr_b32 s3, s3, 30
	s_mul_hi_u32 s4, s6, s20
	s_add_i32 s2, s2, s3
	s_ashr_i32 s3, s6, 31
	v_or_b32_e32 v1, v1, v2
	v_mul_f32_e32 v9, v10, v0
	v_mul_f32_e32 v0, v3, v0
	v_cvt_i32_f32_e32 v3, v6
	s_mul_i32 s3, s3, s20
	s_mul_i32 s5, s6, s20
	s_and_b32 s2, s2, -4
	v_cvt_i32_f32_e32 v0, v0
	v_and_b32_e32 v3, 0xff, v3
	v_cvt_i32_f32_e32 v6, v8
	s_add_i32 s4, s4, s3
	s_waitcnt lgkmcnt(0)
	s_add_u32 s0, s0, s5
	v_and_b32_e32 v0, 0xff, v0
	s_addc_u32 s1, s1, s4
	v_lshlrev_b16 v6, 8, v6
	s_and_b32 s1, s1, 0xffff
	s_mov_b32 s3, -1
	v_or_b32_e32 v0, v0, v4
	v_and_b32_e32 v4, 0xffff, v1
	v_cvt_i32_f32_e32 v8, v9
	v_or_b32_e32 v6, v7, v6
	s_delay_alu instid0(VALU_DEP_4) | instskip(NEXT) | instid1(VALU_DEP_3)
	v_lshlrev_b32_e32 v0, 16, v0
	v_lshlrev_b16 v8, 8, v8
	s_delay_alu instid0(VALU_DEP_1) | instskip(NEXT) | instid1(VALU_DEP_4)
	v_or_b32_e32 v2, v3, v8
	v_and_b32_e32 v3, 0xffff, v6
	s_delay_alu instid0(VALU_DEP_2) | instskip(NEXT) | instid1(VALU_DEP_2)
	v_lshlrev_b32_e32 v2, 16, v2
	v_or_b32_e32 v1, v3, v0
	s_delay_alu instid0(VALU_DEP_2)
	v_or_b32_e32 v0, v4, v2
	buffer_store_b64 v[0:1], v5, s[0:3], 0 offen
	;;#ASMSTART
	s_nop 0
	;;#ASMEND
.LBB97_44:
	s_nop 0
	s_sendmsg sendmsg(MSG_DEALLOC_VGPRS)
	s_endpgm
.LBB97_45:
                                        ; implicit-def: $vgpr1_vgpr2
	s_branch .LBB97_32
	.section	.rodata,"a",@progbits
	.p2align	6, 0x0
	.amdhsa_kernel _ZN5aiter24add_rmsnorm_quant_kernelIDF16_aLi256ELi8ELb0ELb1ELb1ELi1EEEvPT0_PT_PfS4_S4_S4_diiiiiiib
		.amdhsa_group_segment_fixed_size 64
		.amdhsa_private_segment_fixed_size 0
		.amdhsa_kernarg_size 88
		.amdhsa_user_sgpr_count 15
		.amdhsa_user_sgpr_dispatch_ptr 0
		.amdhsa_user_sgpr_queue_ptr 0
		.amdhsa_user_sgpr_kernarg_segment_ptr 1
		.amdhsa_user_sgpr_dispatch_id 0
		.amdhsa_user_sgpr_private_segment_size 0
		.amdhsa_wavefront_size32 1
		.amdhsa_uses_dynamic_stack 0
		.amdhsa_enable_private_segment 0
		.amdhsa_system_sgpr_workgroup_id_x 1
		.amdhsa_system_sgpr_workgroup_id_y 0
		.amdhsa_system_sgpr_workgroup_id_z 0
		.amdhsa_system_sgpr_workgroup_info 0
		.amdhsa_system_vgpr_workitem_id 0
		.amdhsa_next_free_vgpr 23
		.amdhsa_next_free_sgpr 29
		.amdhsa_reserve_vcc 1
		.amdhsa_float_round_mode_32 0
		.amdhsa_float_round_mode_16_64 0
		.amdhsa_float_denorm_mode_32 3
		.amdhsa_float_denorm_mode_16_64 3
		.amdhsa_dx10_clamp 1
		.amdhsa_ieee_mode 1
		.amdhsa_fp16_overflow 0
		.amdhsa_workgroup_processor_mode 1
		.amdhsa_memory_ordered 1
		.amdhsa_forward_progress 0
		.amdhsa_shared_vgpr_count 0
		.amdhsa_exception_fp_ieee_invalid_op 0
		.amdhsa_exception_fp_denorm_src 0
		.amdhsa_exception_fp_ieee_div_zero 0
		.amdhsa_exception_fp_ieee_overflow 0
		.amdhsa_exception_fp_ieee_underflow 0
		.amdhsa_exception_fp_ieee_inexact 0
		.amdhsa_exception_int_div_zero 0
	.end_amdhsa_kernel
	.section	.text._ZN5aiter24add_rmsnorm_quant_kernelIDF16_aLi256ELi8ELb0ELb1ELb1ELi1EEEvPT0_PT_PfS4_S4_S4_diiiiiiib,"axG",@progbits,_ZN5aiter24add_rmsnorm_quant_kernelIDF16_aLi256ELi8ELb0ELb1ELb1ELi1EEEvPT0_PT_PfS4_S4_S4_diiiiiiib,comdat
.Lfunc_end97:
	.size	_ZN5aiter24add_rmsnorm_quant_kernelIDF16_aLi256ELi8ELb0ELb1ELb1ELi1EEEvPT0_PT_PfS4_S4_S4_diiiiiiib, .Lfunc_end97-_ZN5aiter24add_rmsnorm_quant_kernelIDF16_aLi256ELi8ELb0ELb1ELb1ELi1EEEvPT0_PT_PfS4_S4_S4_diiiiiiib
                                        ; -- End function
	.section	.AMDGPU.csdata,"",@progbits
; Kernel info:
; codeLenInByte = 3248
; NumSgprs: 31
; NumVgprs: 23
; ScratchSize: 0
; MemoryBound: 0
; FloatMode: 240
; IeeeMode: 1
; LDSByteSize: 64 bytes/workgroup (compile time only)
; SGPRBlocks: 3
; VGPRBlocks: 2
; NumSGPRsForWavesPerEU: 31
; NumVGPRsForWavesPerEU: 23
; Occupancy: 16
; WaveLimiterHint : 0
; COMPUTE_PGM_RSRC2:SCRATCH_EN: 0
; COMPUTE_PGM_RSRC2:USER_SGPR: 15
; COMPUTE_PGM_RSRC2:TRAP_HANDLER: 0
; COMPUTE_PGM_RSRC2:TGID_X_EN: 1
; COMPUTE_PGM_RSRC2:TGID_Y_EN: 0
; COMPUTE_PGM_RSRC2:TGID_Z_EN: 0
; COMPUTE_PGM_RSRC2:TIDIG_COMP_CNT: 0
	.section	.text._ZN5aiter24add_rmsnorm_quant_kernelItaLi256ELi8ELb0ELb1ELb1ELi1EEEvPT0_PT_PfS4_S4_S4_diiiiiiib,"axG",@progbits,_ZN5aiter24add_rmsnorm_quant_kernelItaLi256ELi8ELb0ELb1ELb1ELi1EEEvPT0_PT_PfS4_S4_S4_diiiiiiib,comdat
	.protected	_ZN5aiter24add_rmsnorm_quant_kernelItaLi256ELi8ELb0ELb1ELb1ELi1EEEvPT0_PT_PfS4_S4_S4_diiiiiiib ; -- Begin function _ZN5aiter24add_rmsnorm_quant_kernelItaLi256ELi8ELb0ELb1ELb1ELi1EEEvPT0_PT_PfS4_S4_S4_diiiiiiib
	.globl	_ZN5aiter24add_rmsnorm_quant_kernelItaLi256ELi8ELb0ELb1ELb1ELi1EEEvPT0_PT_PfS4_S4_S4_diiiiiiib
	.p2align	8
	.type	_ZN5aiter24add_rmsnorm_quant_kernelItaLi256ELi8ELb0ELb1ELb1ELi1EEEvPT0_PT_PfS4_S4_S4_diiiiiiib,@function
_ZN5aiter24add_rmsnorm_quant_kernelItaLi256ELi8ELb0ELb1ELb1ELi1EEEvPT0_PT_PfS4_S4_S4_diiiiiiib: ; @_ZN5aiter24add_rmsnorm_quant_kernelItaLi256ELi8ELb0ELb1ELb1ELi1EEEvPT0_PT_PfS4_S4_S4_diiiiiiib
; %bb.0:
	s_load_b128 s[4:7], s[0:1], 0x38
	s_mov_b32 s20, s15
	s_mov_b32 s21, 0
	s_waitcnt lgkmcnt(0)
	s_ashr_i32 s3, s4, 31
	s_mov_b32 s2, s4
	s_delay_alu instid0(SALU_CYCLE_1) | instskip(NEXT) | instid1(VALU_DEP_1)
	v_cmp_ge_i64_e64 s2, s[20:21], s[2:3]
	s_and_b32 vcc_lo, exec_lo, s2
	s_cbranch_vccnz .LBB98_44
; %bb.1:
	s_clause 0x1
	s_load_b128 s[8:11], s[0:1], 0x10
	s_load_b128 s[16:19], s[0:1], 0x28
	s_ashr_i32 s2, s6, 31
	s_mul_hi_u32 s3, s6, s20
	s_mul_i32 s7, s2, s20
	s_mul_i32 s2, s6, s20
	s_add_i32 s3, s3, s7
	v_lshlrev_b32_e32 v1, 4, v0
	s_lshl_b64 s[2:3], s[2:3], 1
	s_mov_b32 s15, -1
	v_and_b32_e32 v15, 31, v0
	s_mov_b32 s27, s15
	s_waitcnt lgkmcnt(0)
	s_add_u32 s12, s10, s2
	s_addc_u32 s2, s11, s3
	s_add_i32 s3, s5, 1
	s_and_b32 s13, s2, 0xffff
	s_lshr_b32 s6, s3, 31
	s_mov_b32 s24, s16
	s_add_i32 s3, s3, s6
	s_and_b32 s25, s17, 0xffff
	s_lshl_b32 s3, s3, 1
	v_cmp_eq_u32_e64 s2, 31, v15
	s_and_b32 s14, s3, -4
	buffer_load_b128 v[10:13], v1, s[12:15], 0 offen glc slc
	s_mov_b32 s26, s14
	s_waitcnt vmcnt(0)
	v_lshrrev_b32_e32 v5, 16, v10
	v_and_b32_e32 v6, 0xffff, v10
	v_lshrrev_b32_e32 v10, 16, v11
	v_lshrrev_b32_e32 v14, 16, v13
	s_delay_alu instid0(VALU_DEP_4) | instskip(NEXT) | instid1(VALU_DEP_4)
	v_cvt_f32_u32_e32 v7, v5
	v_cvt_f32_u32_e32 v8, v6
	s_delay_alu instid0(VALU_DEP_4) | instskip(NEXT) | instid1(VALU_DEP_4)
	v_cvt_f32_u32_e32 v10, v10
	v_cvt_f32_u32_e32 v14, v14
	s_delay_alu instid0(VALU_DEP_4) | instskip(SKIP_2) | instid1(VALU_DEP_1)
	v_mul_f32_e32 v6, v7, v7
	buffer_load_b128 v[1:4], v1, s[24:27], 0 offen
	v_dual_fmac_f32 v6, v8, v8 :: v_dual_and_b32 v5, 0xffff, v11
	v_cvt_f32_u32_e32 v9, v5
	v_and_b32_e32 v5, 0xffff, v12
	v_lshrrev_b32_e32 v12, 16, v12
	s_delay_alu instid0(VALU_DEP_3) | instskip(NEXT) | instid1(VALU_DEP_3)
	v_fmac_f32_e32 v6, v9, v9
	v_cvt_f32_u32_e32 v11, v5
	v_and_b32_e32 v5, 0xffff, v13
	s_delay_alu instid0(VALU_DEP_4) | instskip(NEXT) | instid1(VALU_DEP_4)
	v_cvt_f32_u32_e32 v12, v12
	v_fmac_f32_e32 v6, v10, v10
	s_delay_alu instid0(VALU_DEP_3) | instskip(NEXT) | instid1(VALU_DEP_2)
	v_cvt_f32_u32_e32 v13, v5
	v_fmac_f32_e32 v6, v11, v11
	s_delay_alu instid0(VALU_DEP_1) | instskip(NEXT) | instid1(VALU_DEP_1)
	v_fmac_f32_e32 v6, v12, v12
	v_fmac_f32_e32 v6, v13, v13
	s_delay_alu instid0(VALU_DEP_1) | instskip(NEXT) | instid1(VALU_DEP_1)
	v_fmac_f32_e32 v6, v14, v14
	v_mov_b32_dpp v5, v6 quad_perm:[1,0,3,2] row_mask:0xf bank_mask:0xf
	s_delay_alu instid0(VALU_DEP_1) | instskip(NEXT) | instid1(VALU_DEP_1)
	v_add_f32_e32 v5, v6, v5
	v_mov_b32_dpp v6, v5 quad_perm:[2,3,0,1] row_mask:0xf bank_mask:0xf
	s_delay_alu instid0(VALU_DEP_1) | instskip(NEXT) | instid1(VALU_DEP_1)
	v_add_f32_e32 v5, v5, v6
	v_mov_b32_dpp v6, v5 row_xmask:7 row_mask:0xf bank_mask:0xf
	s_delay_alu instid0(VALU_DEP_1) | instskip(NEXT) | instid1(VALU_DEP_1)
	v_add_f32_e32 v5, v5, v6
	v_mov_b32_dpp v6, v5 row_xmask:15 row_mask:0xf bank_mask:0xf
	s_and_saveexec_b32 s3, s2
	s_cbranch_execz .LBB98_3
; %bb.2:
	s_delay_alu instid0(VALU_DEP_1) | instskip(SKIP_2) | instid1(VALU_DEP_2)
	v_add_f32_e32 v5, v5, v6
	s_mov_b32 s6, 0x76543210
	v_lshrrev_b32_e32 v6, 3, v0
	v_permlanex16_b32 v15, v5, s6, 0xfedcba98 op_sel:[1,1]
	s_delay_alu instid0(VALU_DEP_1)
	v_dual_add_f32 v5, v5, v15 :: v_dual_and_b32 v6, 0x7c, v6
	ds_store_b32 v6, v5 offset:32
.LBB98_3:
	s_or_b32 exec_lo, exec_lo, s3
	v_and_b32_e32 v5, 7, v0
	s_waitcnt vmcnt(0) lgkmcnt(0)
	s_barrier
	buffer_gl0_inv
	v_cvt_f32_i32_e32 v16, s5
	v_lshlrev_b32_e32 v6, 2, v5
	ds_load_b32 v5, v6 offset:32
	s_clause 0x1
	s_load_b64 s[6:7], s[0:1], 0x4c
	s_load_b32 s10, s[0:1], 0x54
	s_waitcnt lgkmcnt(0)
	s_cmp_lg_u32 s7, 0
	v_mov_b32_dpp v15, v5 quad_perm:[1,0,3,2] row_mask:0xf bank_mask:0xf
	s_delay_alu instid0(VALU_DEP_1) | instskip(NEXT) | instid1(VALU_DEP_1)
	v_add_f32_e32 v5, v5, v15
	v_mov_b32_dpp v15, v5 quad_perm:[2,3,0,1] row_mask:0xf bank_mask:0xf
	s_delay_alu instid0(VALU_DEP_1) | instskip(NEXT) | instid1(VALU_DEP_1)
	v_add_f32_e32 v5, v5, v15
	v_mov_b32_dpp v15, v5 row_xmask:7 row_mask:0xf bank_mask:0xf
	s_delay_alu instid0(VALU_DEP_1) | instskip(NEXT) | instid1(VALU_DEP_1)
	v_add_f32_e32 v5, v5, v15
	v_div_scale_f32 v15, null, v16, v16, v5
	v_div_scale_f32 v19, vcc_lo, v5, v16, v5
	s_delay_alu instid0(VALU_DEP_2) | instskip(SKIP_2) | instid1(VALU_DEP_1)
	v_rcp_f32_e32 v17, v15
	s_waitcnt_depctr 0xfff
	v_fma_f32 v18, -v15, v17, 1.0
	v_fmac_f32_e32 v17, v18, v17
	s_delay_alu instid0(VALU_DEP_1) | instskip(NEXT) | instid1(VALU_DEP_1)
	v_mul_f32_e32 v18, v19, v17
	v_fma_f32 v20, -v15, v18, v19
	s_delay_alu instid0(VALU_DEP_1) | instskip(SKIP_1) | instid1(VALU_DEP_2)
	v_fmac_f32_e32 v18, v20, v17
	v_mov_b32_e32 v20, 0x2edbe6ff
	v_fma_f32 v15, -v15, v18, v19
	s_delay_alu instid0(VALU_DEP_1) | instskip(SKIP_2) | instid1(VALU_DEP_3)
	v_div_fmas_f32 v15, v15, v17, v18
	v_and_b32_e32 v18, 0xffff, v3
	v_lshrrev_b32_e32 v3, 16, v3
	v_div_fixup_f32 v5, v15, v16, v5
	s_delay_alu instid0(VALU_DEP_3) | instskip(NEXT) | instid1(VALU_DEP_3)
	v_cvt_f32_u32_e32 v18, v18
	v_cvt_f32_u32_e32 v3, v3
	s_delay_alu instid0(VALU_DEP_3) | instskip(NEXT) | instid1(VALU_DEP_1)
	v_cvt_f64_f32_e32 v[15:16], v5
	v_add_f64 v[15:16], v[15:16], s[18:19]
	s_delay_alu instid0(VALU_DEP_1) | instskip(SKIP_2) | instid1(VALU_DEP_2)
	v_cvt_f32_f64_e32 v5, v[15:16]
	v_and_b32_e32 v16, 0xffff, v1
	v_lshrrev_b32_e32 v1, 16, v1
	v_cvt_f32_u32_e32 v16, v16
	s_delay_alu instid0(VALU_DEP_2) | instskip(SKIP_2) | instid1(VALU_DEP_2)
	v_cvt_f32_u32_e32 v1, v1
	v_mul_f32_e32 v15, 0x4b800000, v5
	v_cmp_gt_f32_e32 vcc_lo, 0x800000, v5
	v_cndmask_b32_e32 v15, v5, v15, vcc_lo
	s_delay_alu instid0(VALU_DEP_1) | instskip(SKIP_2) | instid1(VALU_DEP_1)
	v_rsq_f32_e32 v15, v15
	s_waitcnt_depctr 0xfff
	v_mul_f32_e32 v21, 0x45800000, v15
	v_cndmask_b32_e32 v15, v15, v21, vcc_lo
	v_and_b32_e32 v17, 0xffff, v2
	v_lshrrev_b32_e32 v2, 16, v2
	s_delay_alu instid0(VALU_DEP_3) | instskip(NEXT) | instid1(VALU_DEP_2)
	v_dual_mul_f32 v10, v15, v10 :: v_dual_lshlrev_b32 v5, 3, v0
	v_cvt_f32_u32_e32 v2, v2
	s_delay_alu instid0(VALU_DEP_1)
	v_dual_mul_f32 v10, v10, v2 :: v_dual_and_b32 v19, 0xffff, v4
	v_mul_f32_e32 v14, v15, v14
	v_lshrrev_b32_e32 v4, 16, v4
	v_mul_f32_e32 v8, v15, v8
	v_mul_f32_e32 v22, v15, v12
	;; [unrolled: 1-line block ×3, first 2 shown]
	v_cvt_f32_u32_e32 v17, v17
	v_cvt_f32_u32_e32 v4, v4
	v_dual_mul_f32 v7, v15, v7 :: v_dual_mul_f32 v12, v8, v16
	v_mul_f32_e32 v8, v22, v3
	v_cvt_f32_u32_e32 v19, v19
	s_delay_alu instid0(VALU_DEP_4) | instskip(NEXT) | instid1(VALU_DEP_4)
	v_dual_mul_f32 v4, v14, v4 :: v_dual_mul_f32 v21, v15, v11
	v_dual_mul_f32 v11, v7, v1 :: v_dual_and_b32 v14, 0x7fffffff, v10
	s_delay_alu instid0(VALU_DEP_4) | instskip(SKIP_1) | instid1(VALU_DEP_4)
	v_dual_mul_f32 v13, v15, v13 :: v_dual_and_b32 v16, 0x7fffffff, v8
	v_mul_f32_e32 v9, v9, v17
	v_dual_mul_f32 v7, v21, v18 :: v_dual_and_b32 v18, 0x7fffffff, v4
	s_delay_alu instid0(VALU_DEP_4) | instskip(NEXT) | instid1(VALU_DEP_4)
	v_and_b32_e32 v2, 0x7fffffff, v11
	v_mul_f32_e32 v3, v13, v19
	v_and_b32_e32 v1, 0x7fffffff, v12
	;;#ASMSTART
	v_max3_f32 v1, v20, v1, v2

	;;#ASMEND
	v_and_b32_e32 v13, 0x7fffffff, v9
	;;#ASMSTART
	v_max3_f32 v1, v1, v13, v14

	;;#ASMEND
	v_and_b32_e32 v15, 0x7fffffff, v7
	v_and_b32_e32 v17, 0x7fffffff, v3
	;;#ASMSTART
	v_max3_f32 v1, v1, v15, v16

	;;#ASMEND
	;;#ASMSTART
	v_max3_f32 v13, v1, v17, v18

	;;#ASMEND
	s_cbranch_scc0 .LBB98_10
; %bb.4:
	s_ashr_i32 s11, s7, 31
	s_delay_alu instid0(SALU_CYCLE_1) | instskip(NEXT) | instid1(SALU_CYCLE_1)
	s_lshr_b32 s3, s11, 29
	s_add_i32 s3, s7, s3
	s_delay_alu instid0(SALU_CYCLE_1) | instskip(NEXT) | instid1(SALU_CYCLE_1)
	s_ashr_i32 s3, s3, 3
	s_cmp_lt_i32 s3, 8
	s_cbranch_scc1 .LBB98_11
; %bb.5:
	s_cmp_lt_i32 s3, 16
	s_cbranch_scc1 .LBB98_12
; %bb.6:
	;; [unrolled: 3-line block ×3, first 2 shown]
	v_mov_b32_e32 v1, v13
	s_cmp_eq_u32 s3, 32
	s_cbranch_scc0 .LBB98_9
; %bb.8:
	s_delay_alu instid0(VALU_DEP_1) | instskip(SKIP_1) | instid1(VALU_DEP_1)
	v_mov_b32_dpp v1, v13 quad_perm:[1,0,3,2] row_mask:0xf bank_mask:0xf
	s_mov_b32 s12, 0x76543210
	v_cmp_gt_f32_e32 vcc_lo, v13, v1
	v_cndmask_b32_e32 v1, v1, v13, vcc_lo
	s_delay_alu instid0(VALU_DEP_1) | instskip(NEXT) | instid1(VALU_DEP_1)
	v_mov_b32_dpp v2, v1 quad_perm:[2,3,0,1] row_mask:0xf bank_mask:0xf
	v_cmp_gt_f32_e32 vcc_lo, v1, v2
	v_cndmask_b32_e32 v1, v2, v1, vcc_lo
	s_delay_alu instid0(VALU_DEP_1) | instskip(NEXT) | instid1(VALU_DEP_1)
	v_mov_b32_dpp v2, v1 row_xmask:7 row_mask:0xf bank_mask:0xf
	v_cmp_gt_f32_e32 vcc_lo, v1, v2
	v_cndmask_b32_e32 v1, v2, v1, vcc_lo
	s_delay_alu instid0(VALU_DEP_1) | instskip(NEXT) | instid1(VALU_DEP_1)
	v_mov_b32_dpp v2, v1 row_xmask:15 row_mask:0xf bank_mask:0xf
	v_cmp_gt_f32_e32 vcc_lo, v1, v2
	v_cndmask_b32_e32 v1, v2, v1, vcc_lo
	s_delay_alu instid0(VALU_DEP_1) | instskip(NEXT) | instid1(VALU_DEP_1)
	v_permlanex16_b32 v2, v1, s12, 0xfedcba98 op_sel:[1,1]
	v_cmp_gt_f32_e32 vcc_lo, v1, v2
	v_cndmask_b32_e32 v1, v2, v1, vcc_lo
.LBB98_9:
	s_mov_b32 s12, 0
	s_branch .LBB98_14
.LBB98_10:
	s_mov_b32 s3, 0
                                        ; implicit-def: $vgpr14
                                        ; implicit-def: $vgpr1_vgpr2
	s_and_b32 vcc_lo, exec_lo, s15
	s_cbranch_vccnz .LBB98_38
	s_branch .LBB98_41
.LBB98_11:
                                        ; implicit-def: $vgpr1
	s_branch .LBB98_21
.LBB98_12:
                                        ; implicit-def: $vgpr1
	s_branch .LBB98_18
.LBB98_13:
	s_mov_b32 s12, -1
                                        ; implicit-def: $vgpr1
.LBB98_14:
	s_delay_alu instid0(SALU_CYCLE_1)
	s_and_not1_b32 vcc_lo, exec_lo, s12
	s_cbranch_vccnz .LBB98_17
; %bb.15:
	v_mov_b32_e32 v1, v13
	s_cmp_eq_u32 s3, 16
	s_cbranch_scc0 .LBB98_17
; %bb.16:
	s_delay_alu instid0(VALU_DEP_1) | instskip(NEXT) | instid1(VALU_DEP_1)
	v_mov_b32_dpp v1, v13 quad_perm:[1,0,3,2] row_mask:0xf bank_mask:0xf
	v_cmp_gt_f32_e32 vcc_lo, v13, v1
	v_cndmask_b32_e32 v1, v1, v13, vcc_lo
	s_delay_alu instid0(VALU_DEP_1) | instskip(NEXT) | instid1(VALU_DEP_1)
	v_mov_b32_dpp v2, v1 quad_perm:[2,3,0,1] row_mask:0xf bank_mask:0xf
	v_cmp_gt_f32_e32 vcc_lo, v1, v2
	v_cndmask_b32_e32 v1, v2, v1, vcc_lo
	s_delay_alu instid0(VALU_DEP_1) | instskip(NEXT) | instid1(VALU_DEP_1)
	v_mov_b32_dpp v2, v1 row_half_mirror row_mask:0xf bank_mask:0xf
	v_cmp_gt_f32_e32 vcc_lo, v1, v2
	v_cndmask_b32_e32 v1, v2, v1, vcc_lo
	s_delay_alu instid0(VALU_DEP_1) | instskip(NEXT) | instid1(VALU_DEP_1)
	v_mov_b32_dpp v2, v1 row_mirror row_mask:0xf bank_mask:0xf
	v_cmp_gt_f32_e32 vcc_lo, v1, v2
	v_cndmask_b32_e32 v1, v2, v1, vcc_lo
.LBB98_17:
	s_cbranch_execnz .LBB98_20
.LBB98_18:
	v_mov_b32_e32 v1, v13
	s_cmp_eq_u32 s3, 8
	s_cbranch_scc0 .LBB98_20
; %bb.19:
	s_delay_alu instid0(VALU_DEP_1) | instskip(NEXT) | instid1(VALU_DEP_1)
	v_mov_b32_dpp v1, v13 quad_perm:[1,0,3,2] row_mask:0xf bank_mask:0xf
	v_cmp_gt_f32_e32 vcc_lo, v13, v1
	v_cndmask_b32_e32 v1, v1, v13, vcc_lo
	s_delay_alu instid0(VALU_DEP_1) | instskip(NEXT) | instid1(VALU_DEP_1)
	v_mov_b32_dpp v2, v1 quad_perm:[2,3,0,1] row_mask:0xf bank_mask:0xf
	v_cmp_gt_f32_e32 vcc_lo, v1, v2
	v_cndmask_b32_e32 v1, v2, v1, vcc_lo
	s_delay_alu instid0(VALU_DEP_1) | instskip(NEXT) | instid1(VALU_DEP_1)
	v_mov_b32_dpp v2, v1 row_half_mirror row_mask:0xf bank_mask:0xf
	v_cmp_gt_f32_e32 vcc_lo, v1, v2
	v_cndmask_b32_e32 v1, v2, v1, vcc_lo
.LBB98_20:
	s_cbranch_execnz .LBB98_28
.LBB98_21:
	s_cmp_lt_i32 s3, 4
	s_cbranch_scc1 .LBB98_24
; %bb.22:
	v_mov_b32_e32 v1, v13
	s_cmp_eq_u32 s3, 4
	s_cbranch_scc0 .LBB98_25
; %bb.23:
	s_delay_alu instid0(VALU_DEP_1) | instskip(NEXT) | instid1(VALU_DEP_1)
	v_mov_b32_dpp v1, v13 quad_perm:[1,0,3,2] row_mask:0xf bank_mask:0xf
	v_cmp_gt_f32_e32 vcc_lo, v13, v1
	v_cndmask_b32_e32 v1, v1, v13, vcc_lo
	s_delay_alu instid0(VALU_DEP_1) | instskip(NEXT) | instid1(VALU_DEP_1)
	v_mov_b32_dpp v2, v1 quad_perm:[2,3,0,1] row_mask:0xf bank_mask:0xf
	v_cmp_gt_f32_e32 vcc_lo, v1, v2
	v_cndmask_b32_e32 v1, v2, v1, vcc_lo
	s_cbranch_execz .LBB98_26
	s_branch .LBB98_28
.LBB98_24:
                                        ; implicit-def: $vgpr1
	s_branch .LBB98_26
.LBB98_25:
	s_cbranch_execnz .LBB98_28
.LBB98_26:
	v_mov_b32_e32 v1, v13
	s_cmp_lg_u32 s3, 2
	s_cbranch_scc1 .LBB98_28
; %bb.27:
	s_delay_alu instid0(VALU_DEP_1) | instskip(NEXT) | instid1(VALU_DEP_1)
	v_mov_b32_dpp v1, v13 quad_perm:[1,0,3,2] row_mask:0xf bank_mask:0xf
	v_cmp_gt_f32_e32 vcc_lo, v13, v1
	v_cndmask_b32_e32 v1, v1, v13, vcc_lo
.LBB98_28:
	v_cvt_f32_u32_e32 v2, s3
	s_sub_i32 s12, 0, s3
	s_mov_b32 s15, 0
	s_delay_alu instid0(VALU_DEP_1) | instskip(SKIP_2) | instid1(VALU_DEP_1)
	v_rcp_iflag_f32_e32 v2, v2
	s_waitcnt_depctr 0xfff
	v_mul_f32_e32 v2, 0x4f7ffffe, v2
	v_cvt_u32_f32_e32 v2, v2
	s_delay_alu instid0(VALU_DEP_1) | instskip(NEXT) | instid1(VALU_DEP_1)
	v_mul_lo_u32 v14, s12, v2
	v_mul_hi_u32 v14, v2, v14
	s_delay_alu instid0(VALU_DEP_1) | instskip(NEXT) | instid1(VALU_DEP_1)
	v_add_nc_u32_e32 v2, v2, v14
	v_mul_hi_u32 v2, v0, v2
	s_delay_alu instid0(VALU_DEP_1) | instskip(NEXT) | instid1(VALU_DEP_1)
	v_mul_lo_u32 v14, v2, s3
	v_sub_nc_u32_e32 v14, v0, v14
	s_delay_alu instid0(VALU_DEP_1) | instskip(SKIP_1) | instid1(VALU_DEP_2)
	v_subrev_nc_u32_e32 v16, s3, v14
	v_cmp_le_u32_e32 vcc_lo, s3, v14
	v_dual_cndmask_b32 v14, v14, v16 :: v_dual_add_nc_u32 v15, 1, v2
	s_delay_alu instid0(VALU_DEP_1) | instskip(NEXT) | instid1(VALU_DEP_2)
	v_cndmask_b32_e32 v2, v2, v15, vcc_lo
	v_cmp_le_u32_e32 vcc_lo, s3, v14
	s_delay_alu instid0(VALU_DEP_2) | instskip(NEXT) | instid1(VALU_DEP_1)
	v_dual_mul_f32 v14, 0x3c010204, v1 :: v_dual_add_nc_u32 v15, 1, v2
	v_cndmask_b32_e32 v15, v2, v15, vcc_lo
	v_cmp_gt_u32_e32 vcc_lo, s5, v5
	s_delay_alu instid0(VALU_DEP_2) | instskip(NEXT) | instid1(VALU_DEP_1)
	v_mul_lo_u32 v2, v15, s3
	v_sub_nc_u32_e32 v2, v0, v2
	s_delay_alu instid0(VALU_DEP_1) | instskip(NEXT) | instid1(VALU_DEP_1)
	v_cmp_eq_u32_e64 s3, 0, v2
                                        ; implicit-def: $vgpr1_vgpr2
	s_and_b32 s12, s3, vcc_lo
	s_mov_b32 s3, 0
	s_and_saveexec_b32 s13, s12
	s_delay_alu instid0(SALU_CYCLE_1)
	s_xor_b32 s14, exec_lo, s13
	s_cbranch_execz .LBB98_37
; %bb.29:
	s_bitcmp0_b32 s10, 0
	s_mov_b32 s16, 0
	s_cbranch_scc0 .LBB98_34
; %bb.30:
	s_ashr_i32 s3, s5, 31
	s_mul_hi_u32 s10, s5, s20
	s_mul_i32 s3, s3, s20
	s_mul_i32 s12, s5, s20
	s_add_i32 s13, s10, s3
	s_mov_b32 s10, s7
	s_delay_alu instid0(SALU_CYCLE_1) | instskip(NEXT) | instid1(SALU_CYCLE_1)
	s_or_b64 s[18:19], s[12:13], s[10:11]
	s_mov_b32 s17, s19
	s_delay_alu instid0(SALU_CYCLE_1)
	s_cmp_lg_u64 s[16:17], 0
	s_cbranch_scc0 .LBB98_45
; %bb.31:
	s_add_u32 s18, s10, s11
	s_mov_b32 s16, s11
	s_mov_b32 s17, s11
	s_addc_u32 s19, s11, s11
	s_delay_alu instid0(SALU_CYCLE_1) | instskip(NEXT) | instid1(SALU_CYCLE_1)
	s_xor_b64 s[18:19], s[18:19], s[16:17]
	v_cvt_f32_u32_e32 v1, s18
	v_cvt_f32_u32_e32 v2, s19
	s_sub_u32 s11, 0, s18
	s_subb_u32 s22, 0, s19
	s_delay_alu instid0(VALU_DEP_1) | instskip(NEXT) | instid1(VALU_DEP_1)
	v_fmamk_f32 v1, v2, 0x4f800000, v1
	v_rcp_f32_e32 v1, v1
	s_waitcnt_depctr 0xfff
	v_mul_f32_e32 v1, 0x5f7ffffc, v1
	s_delay_alu instid0(VALU_DEP_1) | instskip(NEXT) | instid1(VALU_DEP_1)
	v_mul_f32_e32 v2, 0x2f800000, v1
	v_trunc_f32_e32 v2, v2
	s_delay_alu instid0(VALU_DEP_1) | instskip(SKIP_1) | instid1(VALU_DEP_2)
	v_fmamk_f32 v1, v2, 0xcf800000, v1
	v_cvt_u32_f32_e32 v2, v2
	v_cvt_u32_f32_e32 v1, v1
	s_delay_alu instid0(VALU_DEP_2) | instskip(NEXT) | instid1(VALU_DEP_2)
	v_readfirstlane_b32 s3, v2
	v_readfirstlane_b32 s7, v1
	s_delay_alu instid0(VALU_DEP_2) | instskip(NEXT) | instid1(VALU_DEP_1)
	s_mul_i32 s23, s11, s3
	s_mul_hi_u32 s25, s11, s7
	s_mul_i32 s24, s22, s7
	s_add_i32 s23, s25, s23
	s_mul_i32 s26, s11, s7
	s_add_i32 s23, s23, s24
	s_mul_hi_u32 s25, s7, s26
	s_mul_hi_u32 s27, s3, s26
	s_mul_i32 s24, s3, s26
	s_mul_hi_u32 s26, s7, s23
	s_mul_i32 s7, s7, s23
	s_mul_hi_u32 s28, s3, s23
	s_add_u32 s7, s25, s7
	s_addc_u32 s25, 0, s26
	s_add_u32 s7, s7, s24
	s_mul_i32 s23, s3, s23
	s_addc_u32 s7, s25, s27
	s_addc_u32 s24, s28, 0
	s_add_u32 s7, s7, s23
	s_addc_u32 s23, 0, s24
	v_add_co_u32 v1, s7, v1, s7
	s_delay_alu instid0(VALU_DEP_1) | instskip(SKIP_1) | instid1(VALU_DEP_1)
	s_cmp_lg_u32 s7, 0
	s_addc_u32 s3, s3, s23
	v_readfirstlane_b32 s7, v1
	s_mul_i32 s23, s11, s3
	s_delay_alu instid0(VALU_DEP_1)
	s_mul_hi_u32 s24, s11, s7
	s_mul_i32 s22, s22, s7
	s_add_i32 s23, s24, s23
	s_mul_i32 s11, s11, s7
	s_add_i32 s23, s23, s22
	s_mul_hi_u32 s24, s3, s11
	s_mul_i32 s25, s3, s11
	s_mul_hi_u32 s11, s7, s11
	s_mul_hi_u32 s26, s7, s23
	s_mul_i32 s7, s7, s23
	s_mul_hi_u32 s22, s3, s23
	s_add_u32 s7, s11, s7
	s_addc_u32 s11, 0, s26
	s_add_u32 s7, s7, s25
	s_mul_i32 s23, s3, s23
	s_addc_u32 s7, s11, s24
	s_addc_u32 s11, s22, 0
	s_add_u32 s7, s7, s23
	s_addc_u32 s11, 0, s11
	v_add_co_u32 v1, s7, v1, s7
	s_delay_alu instid0(VALU_DEP_1) | instskip(SKIP_2) | instid1(VALU_DEP_1)
	s_cmp_lg_u32 s7, 0
	s_addc_u32 s3, s3, s11
	s_ashr_i32 s22, s13, 31
	v_readfirstlane_b32 s7, v1
	s_add_u32 s24, s12, s22
	s_mov_b32 s23, s22
	s_addc_u32 s25, s13, s22
	s_delay_alu instid0(SALU_CYCLE_1) | instskip(NEXT) | instid1(SALU_CYCLE_1)
	s_xor_b64 s[24:25], s[24:25], s[22:23]
	s_mul_i32 s13, s24, s3
	s_mul_hi_u32 s26, s24, s7
	s_mul_hi_u32 s11, s24, s3
	;; [unrolled: 1-line block ×3, first 2 shown]
	s_mul_i32 s7, s25, s7
	s_add_u32 s13, s26, s13
	s_addc_u32 s11, 0, s11
	s_mul_hi_u32 s27, s25, s3
	s_add_u32 s7, s13, s7
	s_mul_i32 s3, s25, s3
	s_addc_u32 s7, s11, s28
	s_addc_u32 s11, s27, 0
	s_add_u32 s7, s7, s3
	s_addc_u32 s11, 0, s11
	s_mul_i32 s27, s18, s7
	s_mul_hi_u32 s3, s18, s7
	s_mul_i32 s26, s18, s11
	v_sub_co_u32 v1, s24, s24, s27
	s_mul_i32 s13, s19, s7
	s_add_i32 s3, s3, s26
	s_delay_alu instid0(SALU_CYCLE_1) | instskip(NEXT) | instid1(VALU_DEP_1)
	s_add_i32 s3, s3, s13
	v_sub_co_u32 v2, s26, v1, s18
	s_sub_i32 s13, s25, s3
	s_cmp_lg_u32 s24, 0
	s_subb_u32 s13, s13, s19
	s_cmp_lg_u32 s26, 0
	v_cmp_le_u32_e32 vcc_lo, s18, v2
	s_subb_u32 s13, s13, 0
	s_delay_alu instid0(SALU_CYCLE_1)
	s_cmp_ge_u32 s13, s19
	v_cndmask_b32_e64 v2, 0, -1, vcc_lo
	s_cselect_b32 s26, -1, 0
	s_cmp_eq_u32 s13, s19
	s_cselect_b32 vcc_lo, -1, 0
	s_add_u32 s13, s7, 1
	v_cndmask_b32_e32 v2, s26, v2, vcc_lo
	s_addc_u32 s26, s11, 0
	s_add_u32 s27, s7, 2
	s_addc_u32 s28, s11, 0
	s_cmp_lg_u32 s24, 0
	v_cmp_le_u32_e32 vcc_lo, s18, v1
	s_subb_u32 s3, s25, s3
	v_mov_b32_e32 v16, s27
	s_cmp_ge_u32 s3, s19
	v_cndmask_b32_e64 v1, 0, -1, vcc_lo
	s_cselect_b32 s18, -1, 0
	s_cmp_eq_u32 s3, s19
	v_cmp_ne_u32_e32 vcc_lo, 0, v2
	v_mov_b32_e32 v2, s28
	s_cselect_b32 s3, -1, 0
	s_xor_b64 s[16:17], s[22:23], s[16:17]
	v_cndmask_b32_e64 v1, s18, v1, s3
	v_cndmask_b32_e32 v16, s13, v16, vcc_lo
	v_cndmask_b32_e32 v2, s26, v2, vcc_lo
	s_delay_alu instid0(VALU_DEP_3) | instskip(NEXT) | instid1(VALU_DEP_2)
	v_cmp_ne_u32_e32 vcc_lo, 0, v1
	v_cndmask_b32_e32 v1, s11, v2, vcc_lo
	s_delay_alu instid0(VALU_DEP_4) | instskip(NEXT) | instid1(VALU_DEP_2)
	v_cndmask_b32_e32 v2, s7, v16, vcc_lo
	v_xor_b32_e32 v16, s17, v1
	s_delay_alu instid0(VALU_DEP_2) | instskip(NEXT) | instid1(VALU_DEP_1)
	v_xor_b32_e32 v2, s16, v2
	v_sub_co_u32 v1, vcc_lo, v2, s16
	s_delay_alu instid0(VALU_DEP_3)
	v_subrev_co_ci_u32_e32 v2, vcc_lo, s17, v16, vcc_lo
	s_cbranch_execnz .LBB98_33
.LBB98_32:
	v_cvt_f32_u32_e32 v1, s10
	s_sub_i32 s7, 0, s10
	s_delay_alu instid0(VALU_DEP_1) | instskip(SKIP_2) | instid1(VALU_DEP_1)
	v_rcp_iflag_f32_e32 v1, v1
	s_waitcnt_depctr 0xfff
	v_mul_f32_e32 v1, 0x4f7ffffe, v1
	v_cvt_u32_f32_e32 v1, v1
	s_delay_alu instid0(VALU_DEP_1) | instskip(NEXT) | instid1(VALU_DEP_1)
	v_readfirstlane_b32 s3, v1
	s_mul_i32 s7, s7, s3
	s_delay_alu instid0(SALU_CYCLE_1) | instskip(NEXT) | instid1(SALU_CYCLE_1)
	s_mul_hi_u32 s7, s3, s7
	s_add_i32 s3, s3, s7
	s_delay_alu instid0(SALU_CYCLE_1) | instskip(NEXT) | instid1(SALU_CYCLE_1)
	s_mul_hi_u32 s3, s12, s3
	s_mul_i32 s7, s3, s10
	s_add_i32 s11, s3, 1
	s_sub_i32 s7, s12, s7
	s_delay_alu instid0(SALU_CYCLE_1)
	s_sub_i32 s12, s7, s10
	s_cmp_ge_u32 s7, s10
	s_cselect_b32 s3, s11, s3
	s_cselect_b32 s7, s12, s7
	s_add_i32 s12, s3, 1
	s_cmp_ge_u32 s7, s10
	s_mov_b32 s11, 0
	s_cselect_b32 s10, s12, s3
	s_delay_alu instid0(SALU_CYCLE_1)
	v_dual_mov_b32 v1, s10 :: v_dual_mov_b32 v2, s11
.LBB98_33:
	s_delay_alu instid0(VALU_DEP_1) | instskip(NEXT) | instid1(VALU_DEP_2)
	v_add_co_u32 v1, vcc_lo, v1, v15
	v_add_co_ci_u32_e32 v2, vcc_lo, 0, v2, vcc_lo
	s_branch .LBB98_36
.LBB98_34:
                                        ; implicit-def: $vgpr1_vgpr2
	s_cbranch_execz .LBB98_36
; %bb.35:
	v_mul_lo_u32 v1, v15, s4
	s_delay_alu instid0(VALU_DEP_1) | instskip(SKIP_1) | instid1(VALU_DEP_2)
	v_ashrrev_i32_e32 v2, 31, v1
	v_add_co_u32 v1, vcc_lo, v1, s20
	v_add_co_ci_u32_e32 v2, vcc_lo, 0, v2, vcc_lo
.LBB98_36:
	s_mov_b32 s3, exec_lo
.LBB98_37:
	s_or_b32 exec_lo, exec_lo, s14
	s_delay_alu instid0(SALU_CYCLE_1)
	s_and_b32 vcc_lo, exec_lo, s15
	s_cbranch_vccz .LBB98_41
.LBB98_38:
	v_mov_b32_dpp v1, v13 quad_perm:[1,0,3,2] row_mask:0xf bank_mask:0xf
	s_delay_alu instid0(VALU_DEP_1) | instskip(SKIP_1) | instid1(VALU_DEP_1)
	v_cmp_gt_f32_e32 vcc_lo, v13, v1
	v_cndmask_b32_e32 v1, v1, v13, vcc_lo
	v_mov_b32_dpp v2, v1 quad_perm:[2,3,0,1] row_mask:0xf bank_mask:0xf
	s_delay_alu instid0(VALU_DEP_1) | instskip(SKIP_1) | instid1(VALU_DEP_1)
	v_cmp_gt_f32_e32 vcc_lo, v1, v2
	v_cndmask_b32_e32 v1, v2, v1, vcc_lo
	v_mov_b32_dpp v2, v1 row_xmask:7 row_mask:0xf bank_mask:0xf
	s_delay_alu instid0(VALU_DEP_1) | instskip(SKIP_1) | instid1(VALU_DEP_1)
	v_cmp_gt_f32_e32 vcc_lo, v1, v2
	v_cndmask_b32_e32 v1, v2, v1, vcc_lo
	v_mov_b32_dpp v2, v1 row_xmask:15 row_mask:0xf bank_mask:0xf
	s_delay_alu instid0(VALU_DEP_1)
	v_cmp_gt_f32_e32 vcc_lo, v1, v2
	s_and_saveexec_b32 s3, s2
	s_cbranch_execz .LBB98_40
; %bb.39:
	v_cndmask_b32_e32 v1, v2, v1, vcc_lo
	v_lshrrev_b32_e32 v2, 3, v0
	s_mov_b32 s2, 0x76543210
	s_delay_alu instid0(VALU_DEP_1) | instskip(NEXT) | instid1(VALU_DEP_3)
	v_and_b32_e32 v2, 0x7c, v2
	v_permlanex16_b32 v13, v1, s2, 0xfedcba98 op_sel:[1,1]
	s_delay_alu instid0(VALU_DEP_1)
	v_cmp_gt_f32_e32 vcc_lo, v1, v13
	v_cndmask_b32_e32 v1, v13, v1, vcc_lo
	ds_store_b32 v2, v1
.LBB98_40:
	s_or_b32 exec_lo, exec_lo, s3
	s_waitcnt lgkmcnt(0)
	s_barrier
	buffer_gl0_inv
	ds_load_b32 v1, v6
	v_cmp_eq_u32_e64 s3, 0, v0
	s_waitcnt lgkmcnt(0)
	v_mov_b32_dpp v2, v1 quad_perm:[1,0,3,2] row_mask:0xf bank_mask:0xf
	s_delay_alu instid0(VALU_DEP_1) | instskip(SKIP_1) | instid1(VALU_DEP_1)
	v_cmp_gt_f32_e32 vcc_lo, v1, v2
	v_cndmask_b32_e32 v1, v2, v1, vcc_lo
	v_mov_b32_dpp v2, v1 quad_perm:[2,3,0,1] row_mask:0xf bank_mask:0xf
	s_delay_alu instid0(VALU_DEP_1) | instskip(SKIP_1) | instid1(VALU_DEP_1)
	v_cmp_gt_f32_e32 vcc_lo, v1, v2
	v_cndmask_b32_e32 v1, v2, v1, vcc_lo
	v_mov_b32_dpp v2, v1 row_xmask:7 row_mask:0xf bank_mask:0xf
	s_delay_alu instid0(VALU_DEP_1) | instskip(SKIP_1) | instid1(VALU_DEP_1)
	v_cmp_gt_f32_e32 vcc_lo, v1, v2
	v_cndmask_b32_e32 v1, v2, v1, vcc_lo
	v_dual_mul_f32 v14, 0x3c010204, v1 :: v_dual_mov_b32 v1, s20
	v_mov_b32_e32 v2, s21
.LBB98_41:
	s_and_saveexec_b32 s2, s3
	s_cbranch_execz .LBB98_43
; %bb.42:
	s_delay_alu instid0(VALU_DEP_1) | instskip(NEXT) | instid1(VALU_DEP_1)
	v_lshlrev_b64 v[0:1], 2, v[1:2]
	v_add_co_u32 v0, vcc_lo, s8, v0
	s_delay_alu instid0(VALU_DEP_2)
	v_add_co_ci_u32_e32 v1, vcc_lo, s9, v1, vcc_lo
	global_store_b32 v[0:1], v14, off
.LBB98_43:
	s_or_b32 exec_lo, exec_lo, s2
	;;#ASMSTART
	v_rcp_f32 v0, v14
	;;#ASMEND
	v_mul_f32_e32 v7, v7, v0
	v_mul_f32_e32 v1, v12, v0
	;; [unrolled: 1-line block ×4, first 2 shown]
	s_load_b64 s[0:1], s[0:1], 0x0
	v_cvt_i32_f32_e32 v7, v7
	v_mul_f32_e32 v2, v11, v0
	v_cvt_i32_f32_e32 v1, v1
	v_mul_f32_e32 v6, v9, v0
	v_cvt_i32_f32_e32 v4, v4
	v_and_b32_e32 v7, 0xff, v7
	v_cvt_i32_f32_e32 v2, v2
	v_and_b32_e32 v1, 0xff, v1
	s_add_i32 s2, s5, 3
	v_lshlrev_b16 v4, 8, v4
	s_ashr_i32 s3, s2, 31
	v_lshlrev_b16 v2, 8, v2
	s_lshr_b32 s3, s3, 30
	s_mul_hi_u32 s4, s6, s20
	s_add_i32 s2, s2, s3
	s_ashr_i32 s3, s6, 31
	v_or_b32_e32 v1, v1, v2
	v_mul_f32_e32 v9, v10, v0
	v_mul_f32_e32 v0, v3, v0
	v_cvt_i32_f32_e32 v3, v6
	s_mul_i32 s3, s3, s20
	s_mul_i32 s5, s6, s20
	s_and_b32 s2, s2, -4
	v_cvt_i32_f32_e32 v0, v0
	v_and_b32_e32 v3, 0xff, v3
	v_cvt_i32_f32_e32 v6, v8
	s_add_i32 s4, s4, s3
	s_waitcnt lgkmcnt(0)
	s_add_u32 s0, s0, s5
	v_and_b32_e32 v0, 0xff, v0
	s_addc_u32 s1, s1, s4
	v_lshlrev_b16 v6, 8, v6
	s_and_b32 s1, s1, 0xffff
	s_mov_b32 s3, -1
	v_or_b32_e32 v0, v0, v4
	v_and_b32_e32 v4, 0xffff, v1
	v_cvt_i32_f32_e32 v8, v9
	v_or_b32_e32 v6, v7, v6
	s_delay_alu instid0(VALU_DEP_4) | instskip(NEXT) | instid1(VALU_DEP_3)
	v_lshlrev_b32_e32 v0, 16, v0
	v_lshlrev_b16 v8, 8, v8
	s_delay_alu instid0(VALU_DEP_1) | instskip(NEXT) | instid1(VALU_DEP_4)
	v_or_b32_e32 v2, v3, v8
	v_and_b32_e32 v3, 0xffff, v6
	s_delay_alu instid0(VALU_DEP_2) | instskip(NEXT) | instid1(VALU_DEP_2)
	v_lshlrev_b32_e32 v2, 16, v2
	v_or_b32_e32 v1, v3, v0
	s_delay_alu instid0(VALU_DEP_2)
	v_or_b32_e32 v0, v4, v2
	buffer_store_b64 v[0:1], v5, s[0:3], 0 offen
	;;#ASMSTART
	s_nop 0
	;;#ASMEND
.LBB98_44:
	s_nop 0
	s_sendmsg sendmsg(MSG_DEALLOC_VGPRS)
	s_endpgm
.LBB98_45:
                                        ; implicit-def: $vgpr1_vgpr2
	s_branch .LBB98_32
	.section	.rodata,"a",@progbits
	.p2align	6, 0x0
	.amdhsa_kernel _ZN5aiter24add_rmsnorm_quant_kernelItaLi256ELi8ELb0ELb1ELb1ELi1EEEvPT0_PT_PfS4_S4_S4_diiiiiiib
		.amdhsa_group_segment_fixed_size 64
		.amdhsa_private_segment_fixed_size 0
		.amdhsa_kernarg_size 88
		.amdhsa_user_sgpr_count 15
		.amdhsa_user_sgpr_dispatch_ptr 0
		.amdhsa_user_sgpr_queue_ptr 0
		.amdhsa_user_sgpr_kernarg_segment_ptr 1
		.amdhsa_user_sgpr_dispatch_id 0
		.amdhsa_user_sgpr_private_segment_size 0
		.amdhsa_wavefront_size32 1
		.amdhsa_uses_dynamic_stack 0
		.amdhsa_enable_private_segment 0
		.amdhsa_system_sgpr_workgroup_id_x 1
		.amdhsa_system_sgpr_workgroup_id_y 0
		.amdhsa_system_sgpr_workgroup_id_z 0
		.amdhsa_system_sgpr_workgroup_info 0
		.amdhsa_system_vgpr_workitem_id 0
		.amdhsa_next_free_vgpr 23
		.amdhsa_next_free_sgpr 29
		.amdhsa_reserve_vcc 1
		.amdhsa_float_round_mode_32 0
		.amdhsa_float_round_mode_16_64 0
		.amdhsa_float_denorm_mode_32 3
		.amdhsa_float_denorm_mode_16_64 3
		.amdhsa_dx10_clamp 1
		.amdhsa_ieee_mode 1
		.amdhsa_fp16_overflow 0
		.amdhsa_workgroup_processor_mode 1
		.amdhsa_memory_ordered 1
		.amdhsa_forward_progress 0
		.amdhsa_shared_vgpr_count 0
		.amdhsa_exception_fp_ieee_invalid_op 0
		.amdhsa_exception_fp_denorm_src 0
		.amdhsa_exception_fp_ieee_div_zero 0
		.amdhsa_exception_fp_ieee_overflow 0
		.amdhsa_exception_fp_ieee_underflow 0
		.amdhsa_exception_fp_ieee_inexact 0
		.amdhsa_exception_int_div_zero 0
	.end_amdhsa_kernel
	.section	.text._ZN5aiter24add_rmsnorm_quant_kernelItaLi256ELi8ELb0ELb1ELb1ELi1EEEvPT0_PT_PfS4_S4_S4_diiiiiiib,"axG",@progbits,_ZN5aiter24add_rmsnorm_quant_kernelItaLi256ELi8ELb0ELb1ELb1ELi1EEEvPT0_PT_PfS4_S4_S4_diiiiiiib,comdat
.Lfunc_end98:
	.size	_ZN5aiter24add_rmsnorm_quant_kernelItaLi256ELi8ELb0ELb1ELb1ELi1EEEvPT0_PT_PfS4_S4_S4_diiiiiiib, .Lfunc_end98-_ZN5aiter24add_rmsnorm_quant_kernelItaLi256ELi8ELb0ELb1ELb1ELi1EEEvPT0_PT_PfS4_S4_S4_diiiiiiib
                                        ; -- End function
	.section	.AMDGPU.csdata,"",@progbits
; Kernel info:
; codeLenInByte = 3300
; NumSgprs: 31
; NumVgprs: 23
; ScratchSize: 0
; MemoryBound: 0
; FloatMode: 240
; IeeeMode: 1
; LDSByteSize: 64 bytes/workgroup (compile time only)
; SGPRBlocks: 3
; VGPRBlocks: 2
; NumSGPRsForWavesPerEU: 31
; NumVGPRsForWavesPerEU: 23
; Occupancy: 16
; WaveLimiterHint : 0
; COMPUTE_PGM_RSRC2:SCRATCH_EN: 0
; COMPUTE_PGM_RSRC2:USER_SGPR: 15
; COMPUTE_PGM_RSRC2:TRAP_HANDLER: 0
; COMPUTE_PGM_RSRC2:TGID_X_EN: 1
; COMPUTE_PGM_RSRC2:TGID_Y_EN: 0
; COMPUTE_PGM_RSRC2:TGID_Z_EN: 0
; COMPUTE_PGM_RSRC2:TIDIG_COMP_CNT: 0
	.section	.text._ZN5aiter24add_rmsnorm_quant_kernelIDF16_aLi256ELi8ELb0ELb1ELb0ELi1EEEvPT0_PT_PfS4_S4_S4_diiiiiiib,"axG",@progbits,_ZN5aiter24add_rmsnorm_quant_kernelIDF16_aLi256ELi8ELb0ELb1ELb0ELi1EEEvPT0_PT_PfS4_S4_S4_diiiiiiib,comdat
	.protected	_ZN5aiter24add_rmsnorm_quant_kernelIDF16_aLi256ELi8ELb0ELb1ELb0ELi1EEEvPT0_PT_PfS4_S4_S4_diiiiiiib ; -- Begin function _ZN5aiter24add_rmsnorm_quant_kernelIDF16_aLi256ELi8ELb0ELb1ELb0ELi1EEEvPT0_PT_PfS4_S4_S4_diiiiiiib
	.globl	_ZN5aiter24add_rmsnorm_quant_kernelIDF16_aLi256ELi8ELb0ELb1ELb0ELi1EEEvPT0_PT_PfS4_S4_S4_diiiiiiib
	.p2align	8
	.type	_ZN5aiter24add_rmsnorm_quant_kernelIDF16_aLi256ELi8ELb0ELb1ELb0ELi1EEEvPT0_PT_PfS4_S4_S4_diiiiiiib,@function
_ZN5aiter24add_rmsnorm_quant_kernelIDF16_aLi256ELi8ELb0ELb1ELb0ELi1EEEvPT0_PT_PfS4_S4_S4_diiiiiiib: ; @_ZN5aiter24add_rmsnorm_quant_kernelIDF16_aLi256ELi8ELb0ELb1ELb0ELi1EEEvPT0_PT_PfS4_S4_S4_diiiiiiib
; %bb.0:
	s_load_b128 s[4:7], s[0:1], 0x38
	s_mov_b32 s20, s15
	s_mov_b32 s21, 0
	s_waitcnt lgkmcnt(0)
	s_ashr_i32 s3, s4, 31
	s_mov_b32 s2, s4
	s_delay_alu instid0(SALU_CYCLE_1) | instskip(NEXT) | instid1(VALU_DEP_1)
	v_cmp_ge_i64_e64 s2, s[20:21], s[2:3]
	s_and_b32 vcc_lo, exec_lo, s2
	s_cbranch_vccnz .LBB99_44
; %bb.1:
	s_clause 0x1
	s_load_b128 s[8:11], s[0:1], 0x10
	s_load_b128 s[16:19], s[0:1], 0x28
	s_ashr_i32 s2, s6, 31
	s_mul_hi_u32 s3, s6, s20
	s_mul_i32 s7, s2, s20
	s_mul_i32 s2, s6, s20
	s_add_i32 s3, s3, s7
	v_lshlrev_b32_e32 v1, 4, v0
	s_lshl_b64 s[2:3], s[2:3], 1
	s_mov_b32 s15, -1
	v_and_b32_e32 v15, 31, v0
	s_mov_b32 s27, s15
	s_waitcnt lgkmcnt(0)
	s_add_u32 s12, s10, s2
	s_addc_u32 s2, s11, s3
	s_add_i32 s3, s5, 1
	s_and_b32 s13, s2, 0xffff
	s_lshr_b32 s6, s3, 31
	s_mov_b32 s24, s16
	s_add_i32 s3, s3, s6
	s_and_b32 s25, s17, 0xffff
	s_lshl_b32 s3, s3, 1
	v_cmp_eq_u32_e64 s2, 31, v15
	s_and_b32 s14, s3, -4
	buffer_load_b128 v[9:12], v1, s[12:15], 0 offen glc slc
	s_mov_b32 s26, s14
	buffer_load_b128 v[1:4], v1, s[24:27], 0 offen
	s_waitcnt vmcnt(1)
	v_lshrrev_b32_e32 v5, 16, v9
	v_lshrrev_b32_e32 v13, 16, v10
	;; [unrolled: 1-line block ×4, first 2 shown]
	v_cvt_f32_f16_e32 v8, v10
	v_cvt_f32_f16_e32 v7, v5
	;; [unrolled: 1-line block ×4, first 2 shown]
	s_delay_alu instid0(VALU_DEP_3) | instskip(NEXT) | instid1(VALU_DEP_1)
	v_mul_f32_e32 v5, v7, v7
	v_fma_mix_f32 v5, v9, v9, v5 op_sel_hi:[1,1,0]
	v_cvt_f32_f16_e32 v9, v9
	s_delay_alu instid0(VALU_DEP_2) | instskip(NEXT) | instid1(VALU_DEP_1)
	v_fma_mix_f32 v5, v10, v10, v5 op_sel_hi:[1,1,0]
	v_fma_mix_f32 v5, v10, v10, v5 op_sel:[1,1,0] op_sel_hi:[1,1,0]
	v_cvt_f32_f16_e32 v10, v11
	s_delay_alu instid0(VALU_DEP_2) | instskip(NEXT) | instid1(VALU_DEP_1)
	v_fma_mix_f32 v5, v11, v11, v5 op_sel_hi:[1,1,0]
	v_fma_mix_f32 v5, v11, v11, v5 op_sel:[1,1,0] op_sel_hi:[1,1,0]
	;; [unrolled: 4-line block ×3, first 2 shown]
	v_cvt_f32_f16_e32 v12, v17
	s_delay_alu instid0(VALU_DEP_2) | instskip(NEXT) | instid1(VALU_DEP_1)
	v_mov_b32_dpp v6, v5 quad_perm:[1,0,3,2] row_mask:0xf bank_mask:0xf
	v_add_f32_e32 v5, v5, v6
	s_delay_alu instid0(VALU_DEP_1) | instskip(NEXT) | instid1(VALU_DEP_1)
	v_mov_b32_dpp v6, v5 quad_perm:[2,3,0,1] row_mask:0xf bank_mask:0xf
	v_add_f32_e32 v5, v5, v6
	s_delay_alu instid0(VALU_DEP_1) | instskip(NEXT) | instid1(VALU_DEP_1)
	v_mov_b32_dpp v6, v5 row_xmask:7 row_mask:0xf bank_mask:0xf
	v_add_f32_e32 v5, v5, v6
	s_delay_alu instid0(VALU_DEP_1)
	v_mov_b32_dpp v6, v5 row_xmask:15 row_mask:0xf bank_mask:0xf
	s_and_saveexec_b32 s3, s2
	s_cbranch_execz .LBB99_3
; %bb.2:
	s_delay_alu instid0(VALU_DEP_1) | instskip(SKIP_2) | instid1(VALU_DEP_2)
	v_add_f32_e32 v5, v5, v6
	s_mov_b32 s6, 0x76543210
	v_lshrrev_b32_e32 v6, 3, v0
	v_permlanex16_b32 v15, v5, s6, 0xfedcba98 op_sel:[1,1]
	s_delay_alu instid0(VALU_DEP_1)
	v_dual_add_f32 v5, v5, v15 :: v_dual_and_b32 v6, 0x7c, v6
	ds_store_b32 v6, v5 offset:32
.LBB99_3:
	s_or_b32 exec_lo, exec_lo, s3
	v_and_b32_e32 v5, 7, v0
	s_waitcnt vmcnt(0) lgkmcnt(0)
	s_barrier
	buffer_gl0_inv
	v_cvt_f32_i32_e32 v16, s5
	v_lshlrev_b32_e32 v6, 2, v5
	ds_load_b32 v5, v6 offset:32
	s_clause 0x1
	s_load_b64 s[6:7], s[0:1], 0x4c
	s_load_b32 s10, s[0:1], 0x54
	s_waitcnt lgkmcnt(0)
	s_cmp_lg_u32 s7, 0
	v_mov_b32_dpp v15, v5 quad_perm:[1,0,3,2] row_mask:0xf bank_mask:0xf
	s_delay_alu instid0(VALU_DEP_1) | instskip(NEXT) | instid1(VALU_DEP_1)
	v_add_f32_e32 v5, v5, v15
	v_mov_b32_dpp v15, v5 quad_perm:[2,3,0,1] row_mask:0xf bank_mask:0xf
	s_delay_alu instid0(VALU_DEP_1) | instskip(NEXT) | instid1(VALU_DEP_1)
	v_add_f32_e32 v5, v5, v15
	v_mov_b32_dpp v15, v5 row_xmask:7 row_mask:0xf bank_mask:0xf
	s_delay_alu instid0(VALU_DEP_1) | instskip(NEXT) | instid1(VALU_DEP_1)
	v_add_f32_e32 v5, v5, v15
	v_div_scale_f32 v15, null, v16, v16, v5
	v_div_scale_f32 v19, vcc_lo, v5, v16, v5
	s_delay_alu instid0(VALU_DEP_2) | instskip(SKIP_2) | instid1(VALU_DEP_1)
	v_rcp_f32_e32 v17, v15
	s_waitcnt_depctr 0xfff
	v_fma_f32 v18, -v15, v17, 1.0
	v_fmac_f32_e32 v17, v18, v17
	s_delay_alu instid0(VALU_DEP_1) | instskip(NEXT) | instid1(VALU_DEP_1)
	v_mul_f32_e32 v18, v19, v17
	v_fma_f32 v20, -v15, v18, v19
	s_delay_alu instid0(VALU_DEP_1) | instskip(SKIP_2) | instid1(VALU_DEP_3)
	v_fmac_f32_e32 v18, v20, v17
	v_cvt_f32_f16_e32 v20, v4
	v_lshrrev_b32_e32 v4, 16, v4
	v_fma_f32 v15, -v15, v18, v19
	s_delay_alu instid0(VALU_DEP_2) | instskip(NEXT) | instid1(VALU_DEP_2)
	v_cvt_f32_f16_e32 v4, v4
	v_div_fmas_f32 v15, v15, v17, v18
	v_cvt_f32_f16_e32 v17, v2
	v_lshrrev_b32_e32 v2, 16, v2
	v_cvt_f32_f16_e32 v18, v3
	v_lshrrev_b32_e32 v3, 16, v3
	v_div_fixup_f32 v5, v15, v16, v5
	s_delay_alu instid0(VALU_DEP_4) | instskip(NEXT) | instid1(VALU_DEP_3)
	v_cvt_f32_f16_e32 v2, v2
	v_cvt_f32_f16_e32 v3, v3
	s_delay_alu instid0(VALU_DEP_3) | instskip(NEXT) | instid1(VALU_DEP_1)
	v_cvt_f64_f32_e32 v[15:16], v5
	v_add_f64 v[15:16], v[15:16], s[18:19]
	s_delay_alu instid0(VALU_DEP_1) | instskip(SKIP_2) | instid1(VALU_DEP_1)
	v_cvt_f32_f64_e32 v5, v[15:16]
	v_cvt_f32_f16_e32 v16, v1
	v_lshrrev_b32_e32 v1, 16, v1
	v_cvt_f32_f16_e32 v1, v1
	s_delay_alu instid0(VALU_DEP_4) | instskip(SKIP_1) | instid1(VALU_DEP_2)
	v_mul_f32_e32 v15, 0x4b800000, v5
	v_cmp_gt_f32_e32 vcc_lo, 0x800000, v5
	v_cndmask_b32_e32 v5, v5, v15, vcc_lo
	s_delay_alu instid0(VALU_DEP_1) | instskip(SKIP_2) | instid1(VALU_DEP_1)
	v_rsq_f32_e32 v15, v5
	s_waitcnt_depctr 0xfff
	v_mul_f32_e32 v19, 0x45800000, v15
	v_cndmask_b32_e32 v15, v15, v19, vcc_lo
	s_delay_alu instid0(VALU_DEP_1) | instskip(SKIP_1) | instid1(VALU_DEP_2)
	v_mul_f32_e32 v14, v15, v14
	v_mul_f32_e32 v19, v15, v10
	;; [unrolled: 1-line block ×3, first 2 shown]
	s_delay_alu instid0(VALU_DEP_1) | instskip(SKIP_3) | instid1(VALU_DEP_4)
	v_dual_mul_f32 v7, v15, v7 :: v_dual_and_b32 v14, 0x7fffffff, v10
	v_dual_mul_f32 v22, v15, v11 :: v_dual_lshlrev_b32 v5, 3, v0
	v_mul_f32_e32 v8, v15, v8
	v_mul_f32_e32 v13, v15, v13
	;; [unrolled: 1-line block ×5, first 2 shown]
	v_mov_b32_e32 v21, 0x2edbe6ff
	s_delay_alu instid0(VALU_DEP_4) | instskip(NEXT) | instid1(VALU_DEP_4)
	v_dual_mul_f32 v7, v19, v18 :: v_dual_and_b32 v2, 0x7fffffff, v11
	v_dual_mul_f32 v12, v9, v16 :: v_dual_mul_f32 v9, v8, v17
	v_dual_mul_f32 v8, v13, v3 :: v_dual_mul_f32 v3, v22, v20
	v_mul_f32_e32 v4, v15, v4
	s_delay_alu instid0(VALU_DEP_3)
	v_and_b32_e32 v1, 0x7fffffff, v12
	;;#ASMSTART
	v_max3_f32 v1, v21, v1, v2

	;;#ASMEND
	v_and_b32_e32 v13, 0x7fffffff, v9
	;;#ASMSTART
	v_max3_f32 v1, v1, v13, v14

	;;#ASMEND
	v_and_b32_e32 v15, 0x7fffffff, v7
	v_and_b32_e32 v16, 0x7fffffff, v8
	;; [unrolled: 1-line block ×4, first 2 shown]
	;;#ASMSTART
	v_max3_f32 v1, v1, v15, v16

	;;#ASMEND
	;;#ASMSTART
	v_max3_f32 v13, v1, v17, v18

	;;#ASMEND
	s_cbranch_scc0 .LBB99_10
; %bb.4:
	s_ashr_i32 s11, s7, 31
	s_delay_alu instid0(SALU_CYCLE_1) | instskip(NEXT) | instid1(SALU_CYCLE_1)
	s_lshr_b32 s3, s11, 29
	s_add_i32 s3, s7, s3
	s_delay_alu instid0(SALU_CYCLE_1) | instskip(NEXT) | instid1(SALU_CYCLE_1)
	s_ashr_i32 s3, s3, 3
	s_cmp_lt_i32 s3, 8
	s_cbranch_scc1 .LBB99_11
; %bb.5:
	s_cmp_lt_i32 s3, 16
	s_cbranch_scc1 .LBB99_12
; %bb.6:
	;; [unrolled: 3-line block ×3, first 2 shown]
	v_mov_b32_e32 v1, v13
	s_cmp_eq_u32 s3, 32
	s_cbranch_scc0 .LBB99_9
; %bb.8:
	s_delay_alu instid0(VALU_DEP_1) | instskip(SKIP_1) | instid1(VALU_DEP_1)
	v_mov_b32_dpp v1, v13 quad_perm:[1,0,3,2] row_mask:0xf bank_mask:0xf
	s_mov_b32 s12, 0x76543210
	v_cmp_gt_f32_e32 vcc_lo, v13, v1
	v_cndmask_b32_e32 v1, v1, v13, vcc_lo
	s_delay_alu instid0(VALU_DEP_1) | instskip(NEXT) | instid1(VALU_DEP_1)
	v_mov_b32_dpp v2, v1 quad_perm:[2,3,0,1] row_mask:0xf bank_mask:0xf
	v_cmp_gt_f32_e32 vcc_lo, v1, v2
	v_cndmask_b32_e32 v1, v2, v1, vcc_lo
	s_delay_alu instid0(VALU_DEP_1) | instskip(NEXT) | instid1(VALU_DEP_1)
	v_mov_b32_dpp v2, v1 row_xmask:7 row_mask:0xf bank_mask:0xf
	v_cmp_gt_f32_e32 vcc_lo, v1, v2
	v_cndmask_b32_e32 v1, v2, v1, vcc_lo
	s_delay_alu instid0(VALU_DEP_1) | instskip(NEXT) | instid1(VALU_DEP_1)
	v_mov_b32_dpp v2, v1 row_xmask:15 row_mask:0xf bank_mask:0xf
	v_cmp_gt_f32_e32 vcc_lo, v1, v2
	v_cndmask_b32_e32 v1, v2, v1, vcc_lo
	s_delay_alu instid0(VALU_DEP_1) | instskip(NEXT) | instid1(VALU_DEP_1)
	v_permlanex16_b32 v2, v1, s12, 0xfedcba98 op_sel:[1,1]
	v_cmp_gt_f32_e32 vcc_lo, v1, v2
	v_cndmask_b32_e32 v1, v2, v1, vcc_lo
.LBB99_9:
	s_mov_b32 s12, 0
	s_branch .LBB99_14
.LBB99_10:
	s_mov_b32 s3, 0
                                        ; implicit-def: $vgpr14
                                        ; implicit-def: $vgpr1_vgpr2
	s_and_b32 vcc_lo, exec_lo, s15
	s_cbranch_vccnz .LBB99_38
	s_branch .LBB99_41
.LBB99_11:
                                        ; implicit-def: $vgpr1
	s_branch .LBB99_21
.LBB99_12:
                                        ; implicit-def: $vgpr1
	s_branch .LBB99_18
.LBB99_13:
	s_mov_b32 s12, -1
                                        ; implicit-def: $vgpr1
.LBB99_14:
	s_delay_alu instid0(SALU_CYCLE_1)
	s_and_not1_b32 vcc_lo, exec_lo, s12
	s_cbranch_vccnz .LBB99_17
; %bb.15:
	v_mov_b32_e32 v1, v13
	s_cmp_eq_u32 s3, 16
	s_cbranch_scc0 .LBB99_17
; %bb.16:
	s_delay_alu instid0(VALU_DEP_1) | instskip(NEXT) | instid1(VALU_DEP_1)
	v_mov_b32_dpp v1, v13 quad_perm:[1,0,3,2] row_mask:0xf bank_mask:0xf
	v_cmp_gt_f32_e32 vcc_lo, v13, v1
	v_cndmask_b32_e32 v1, v1, v13, vcc_lo
	s_delay_alu instid0(VALU_DEP_1) | instskip(NEXT) | instid1(VALU_DEP_1)
	v_mov_b32_dpp v2, v1 quad_perm:[2,3,0,1] row_mask:0xf bank_mask:0xf
	v_cmp_gt_f32_e32 vcc_lo, v1, v2
	v_cndmask_b32_e32 v1, v2, v1, vcc_lo
	s_delay_alu instid0(VALU_DEP_1) | instskip(NEXT) | instid1(VALU_DEP_1)
	v_mov_b32_dpp v2, v1 row_half_mirror row_mask:0xf bank_mask:0xf
	v_cmp_gt_f32_e32 vcc_lo, v1, v2
	v_cndmask_b32_e32 v1, v2, v1, vcc_lo
	s_delay_alu instid0(VALU_DEP_1) | instskip(NEXT) | instid1(VALU_DEP_1)
	v_mov_b32_dpp v2, v1 row_mirror row_mask:0xf bank_mask:0xf
	v_cmp_gt_f32_e32 vcc_lo, v1, v2
	v_cndmask_b32_e32 v1, v2, v1, vcc_lo
.LBB99_17:
	s_cbranch_execnz .LBB99_20
.LBB99_18:
	v_mov_b32_e32 v1, v13
	s_cmp_eq_u32 s3, 8
	s_cbranch_scc0 .LBB99_20
; %bb.19:
	s_delay_alu instid0(VALU_DEP_1) | instskip(NEXT) | instid1(VALU_DEP_1)
	v_mov_b32_dpp v1, v13 quad_perm:[1,0,3,2] row_mask:0xf bank_mask:0xf
	v_cmp_gt_f32_e32 vcc_lo, v13, v1
	v_cndmask_b32_e32 v1, v1, v13, vcc_lo
	s_delay_alu instid0(VALU_DEP_1) | instskip(NEXT) | instid1(VALU_DEP_1)
	v_mov_b32_dpp v2, v1 quad_perm:[2,3,0,1] row_mask:0xf bank_mask:0xf
	v_cmp_gt_f32_e32 vcc_lo, v1, v2
	v_cndmask_b32_e32 v1, v2, v1, vcc_lo
	s_delay_alu instid0(VALU_DEP_1) | instskip(NEXT) | instid1(VALU_DEP_1)
	v_mov_b32_dpp v2, v1 row_half_mirror row_mask:0xf bank_mask:0xf
	v_cmp_gt_f32_e32 vcc_lo, v1, v2
	v_cndmask_b32_e32 v1, v2, v1, vcc_lo
.LBB99_20:
	s_cbranch_execnz .LBB99_28
.LBB99_21:
	s_cmp_lt_i32 s3, 4
	s_cbranch_scc1 .LBB99_24
; %bb.22:
	v_mov_b32_e32 v1, v13
	s_cmp_eq_u32 s3, 4
	s_cbranch_scc0 .LBB99_25
; %bb.23:
	s_delay_alu instid0(VALU_DEP_1) | instskip(NEXT) | instid1(VALU_DEP_1)
	v_mov_b32_dpp v1, v13 quad_perm:[1,0,3,2] row_mask:0xf bank_mask:0xf
	v_cmp_gt_f32_e32 vcc_lo, v13, v1
	v_cndmask_b32_e32 v1, v1, v13, vcc_lo
	s_delay_alu instid0(VALU_DEP_1) | instskip(NEXT) | instid1(VALU_DEP_1)
	v_mov_b32_dpp v2, v1 quad_perm:[2,3,0,1] row_mask:0xf bank_mask:0xf
	v_cmp_gt_f32_e32 vcc_lo, v1, v2
	v_cndmask_b32_e32 v1, v2, v1, vcc_lo
	s_cbranch_execz .LBB99_26
	s_branch .LBB99_28
.LBB99_24:
                                        ; implicit-def: $vgpr1
	s_branch .LBB99_26
.LBB99_25:
	s_cbranch_execnz .LBB99_28
.LBB99_26:
	v_mov_b32_e32 v1, v13
	s_cmp_lg_u32 s3, 2
	s_cbranch_scc1 .LBB99_28
; %bb.27:
	s_delay_alu instid0(VALU_DEP_1) | instskip(NEXT) | instid1(VALU_DEP_1)
	v_mov_b32_dpp v1, v13 quad_perm:[1,0,3,2] row_mask:0xf bank_mask:0xf
	v_cmp_gt_f32_e32 vcc_lo, v13, v1
	v_cndmask_b32_e32 v1, v1, v13, vcc_lo
.LBB99_28:
	v_cvt_f32_u32_e32 v2, s3
	s_sub_i32 s12, 0, s3
	s_mov_b32 s15, 0
	s_delay_alu instid0(VALU_DEP_1) | instskip(SKIP_2) | instid1(VALU_DEP_1)
	v_rcp_iflag_f32_e32 v2, v2
	s_waitcnt_depctr 0xfff
	v_mul_f32_e32 v2, 0x4f7ffffe, v2
	v_cvt_u32_f32_e32 v2, v2
	s_delay_alu instid0(VALU_DEP_1) | instskip(NEXT) | instid1(VALU_DEP_1)
	v_mul_lo_u32 v14, s12, v2
	v_mul_hi_u32 v14, v2, v14
	s_delay_alu instid0(VALU_DEP_1) | instskip(NEXT) | instid1(VALU_DEP_1)
	v_add_nc_u32_e32 v2, v2, v14
	v_mul_hi_u32 v2, v0, v2
	s_delay_alu instid0(VALU_DEP_1) | instskip(NEXT) | instid1(VALU_DEP_1)
	v_mul_lo_u32 v14, v2, s3
	v_sub_nc_u32_e32 v14, v0, v14
	s_delay_alu instid0(VALU_DEP_1) | instskip(SKIP_1) | instid1(VALU_DEP_2)
	v_subrev_nc_u32_e32 v16, s3, v14
	v_cmp_le_u32_e32 vcc_lo, s3, v14
	v_dual_cndmask_b32 v14, v14, v16 :: v_dual_add_nc_u32 v15, 1, v2
	s_delay_alu instid0(VALU_DEP_1) | instskip(NEXT) | instid1(VALU_DEP_2)
	v_cndmask_b32_e32 v2, v2, v15, vcc_lo
	v_cmp_le_u32_e32 vcc_lo, s3, v14
	s_delay_alu instid0(VALU_DEP_2) | instskip(NEXT) | instid1(VALU_DEP_1)
	v_dual_mul_f32 v14, 0x3c010204, v1 :: v_dual_add_nc_u32 v15, 1, v2
	v_cndmask_b32_e32 v15, v2, v15, vcc_lo
	v_cmp_gt_u32_e32 vcc_lo, s5, v5
	s_delay_alu instid0(VALU_DEP_2) | instskip(NEXT) | instid1(VALU_DEP_1)
	v_mul_lo_u32 v2, v15, s3
	v_sub_nc_u32_e32 v2, v0, v2
	s_delay_alu instid0(VALU_DEP_1) | instskip(NEXT) | instid1(VALU_DEP_1)
	v_cmp_eq_u32_e64 s3, 0, v2
                                        ; implicit-def: $vgpr1_vgpr2
	s_and_b32 s12, s3, vcc_lo
	s_mov_b32 s3, 0
	s_and_saveexec_b32 s13, s12
	s_delay_alu instid0(SALU_CYCLE_1)
	s_xor_b32 s14, exec_lo, s13
	s_cbranch_execz .LBB99_37
; %bb.29:
	s_bitcmp0_b32 s10, 0
	s_mov_b32 s16, 0
	s_cbranch_scc0 .LBB99_34
; %bb.30:
	s_ashr_i32 s3, s5, 31
	s_mul_hi_u32 s10, s5, s20
	s_mul_i32 s3, s3, s20
	s_mul_i32 s12, s5, s20
	s_add_i32 s13, s10, s3
	s_mov_b32 s10, s7
	s_delay_alu instid0(SALU_CYCLE_1) | instskip(NEXT) | instid1(SALU_CYCLE_1)
	s_or_b64 s[18:19], s[12:13], s[10:11]
	s_mov_b32 s17, s19
	s_delay_alu instid0(SALU_CYCLE_1)
	s_cmp_lg_u64 s[16:17], 0
	s_cbranch_scc0 .LBB99_45
; %bb.31:
	s_add_u32 s18, s10, s11
	s_mov_b32 s16, s11
	s_mov_b32 s17, s11
	s_addc_u32 s19, s11, s11
	s_delay_alu instid0(SALU_CYCLE_1) | instskip(NEXT) | instid1(SALU_CYCLE_1)
	s_xor_b64 s[18:19], s[18:19], s[16:17]
	v_cvt_f32_u32_e32 v1, s18
	v_cvt_f32_u32_e32 v2, s19
	s_sub_u32 s11, 0, s18
	s_subb_u32 s22, 0, s19
	s_delay_alu instid0(VALU_DEP_1) | instskip(NEXT) | instid1(VALU_DEP_1)
	v_fmamk_f32 v1, v2, 0x4f800000, v1
	v_rcp_f32_e32 v1, v1
	s_waitcnt_depctr 0xfff
	v_mul_f32_e32 v1, 0x5f7ffffc, v1
	s_delay_alu instid0(VALU_DEP_1) | instskip(NEXT) | instid1(VALU_DEP_1)
	v_mul_f32_e32 v2, 0x2f800000, v1
	v_trunc_f32_e32 v2, v2
	s_delay_alu instid0(VALU_DEP_1) | instskip(SKIP_1) | instid1(VALU_DEP_2)
	v_fmamk_f32 v1, v2, 0xcf800000, v1
	v_cvt_u32_f32_e32 v2, v2
	v_cvt_u32_f32_e32 v1, v1
	s_delay_alu instid0(VALU_DEP_2) | instskip(NEXT) | instid1(VALU_DEP_2)
	v_readfirstlane_b32 s3, v2
	v_readfirstlane_b32 s7, v1
	s_delay_alu instid0(VALU_DEP_2) | instskip(NEXT) | instid1(VALU_DEP_1)
	s_mul_i32 s23, s11, s3
	s_mul_hi_u32 s25, s11, s7
	s_mul_i32 s24, s22, s7
	s_add_i32 s23, s25, s23
	s_mul_i32 s26, s11, s7
	s_add_i32 s23, s23, s24
	s_mul_hi_u32 s25, s7, s26
	s_mul_hi_u32 s27, s3, s26
	s_mul_i32 s24, s3, s26
	s_mul_hi_u32 s26, s7, s23
	s_mul_i32 s7, s7, s23
	s_mul_hi_u32 s28, s3, s23
	s_add_u32 s7, s25, s7
	s_addc_u32 s25, 0, s26
	s_add_u32 s7, s7, s24
	s_mul_i32 s23, s3, s23
	s_addc_u32 s7, s25, s27
	s_addc_u32 s24, s28, 0
	s_add_u32 s7, s7, s23
	s_addc_u32 s23, 0, s24
	v_add_co_u32 v1, s7, v1, s7
	s_delay_alu instid0(VALU_DEP_1) | instskip(SKIP_1) | instid1(VALU_DEP_1)
	s_cmp_lg_u32 s7, 0
	s_addc_u32 s3, s3, s23
	v_readfirstlane_b32 s7, v1
	s_mul_i32 s23, s11, s3
	s_delay_alu instid0(VALU_DEP_1)
	s_mul_hi_u32 s24, s11, s7
	s_mul_i32 s22, s22, s7
	s_add_i32 s23, s24, s23
	s_mul_i32 s11, s11, s7
	s_add_i32 s23, s23, s22
	s_mul_hi_u32 s24, s3, s11
	s_mul_i32 s25, s3, s11
	s_mul_hi_u32 s11, s7, s11
	s_mul_hi_u32 s26, s7, s23
	s_mul_i32 s7, s7, s23
	s_mul_hi_u32 s22, s3, s23
	s_add_u32 s7, s11, s7
	s_addc_u32 s11, 0, s26
	s_add_u32 s7, s7, s25
	s_mul_i32 s23, s3, s23
	s_addc_u32 s7, s11, s24
	s_addc_u32 s11, s22, 0
	s_add_u32 s7, s7, s23
	s_addc_u32 s11, 0, s11
	v_add_co_u32 v1, s7, v1, s7
	s_delay_alu instid0(VALU_DEP_1) | instskip(SKIP_2) | instid1(VALU_DEP_1)
	s_cmp_lg_u32 s7, 0
	s_addc_u32 s3, s3, s11
	s_ashr_i32 s22, s13, 31
	v_readfirstlane_b32 s7, v1
	s_add_u32 s24, s12, s22
	s_mov_b32 s23, s22
	s_addc_u32 s25, s13, s22
	s_delay_alu instid0(SALU_CYCLE_1) | instskip(NEXT) | instid1(SALU_CYCLE_1)
	s_xor_b64 s[24:25], s[24:25], s[22:23]
	s_mul_i32 s13, s24, s3
	s_mul_hi_u32 s26, s24, s7
	s_mul_hi_u32 s11, s24, s3
	;; [unrolled: 1-line block ×3, first 2 shown]
	s_mul_i32 s7, s25, s7
	s_add_u32 s13, s26, s13
	s_addc_u32 s11, 0, s11
	s_mul_hi_u32 s27, s25, s3
	s_add_u32 s7, s13, s7
	s_mul_i32 s3, s25, s3
	s_addc_u32 s7, s11, s28
	s_addc_u32 s11, s27, 0
	s_add_u32 s7, s7, s3
	s_addc_u32 s11, 0, s11
	s_mul_i32 s27, s18, s7
	s_mul_hi_u32 s3, s18, s7
	s_mul_i32 s26, s18, s11
	v_sub_co_u32 v1, s24, s24, s27
	s_mul_i32 s13, s19, s7
	s_add_i32 s3, s3, s26
	s_delay_alu instid0(SALU_CYCLE_1) | instskip(NEXT) | instid1(VALU_DEP_1)
	s_add_i32 s3, s3, s13
	v_sub_co_u32 v2, s26, v1, s18
	s_sub_i32 s13, s25, s3
	s_cmp_lg_u32 s24, 0
	s_subb_u32 s13, s13, s19
	s_cmp_lg_u32 s26, 0
	v_cmp_le_u32_e32 vcc_lo, s18, v2
	s_subb_u32 s13, s13, 0
	s_delay_alu instid0(SALU_CYCLE_1)
	s_cmp_ge_u32 s13, s19
	v_cndmask_b32_e64 v2, 0, -1, vcc_lo
	s_cselect_b32 s26, -1, 0
	s_cmp_eq_u32 s13, s19
	s_cselect_b32 vcc_lo, -1, 0
	s_add_u32 s13, s7, 1
	v_cndmask_b32_e32 v2, s26, v2, vcc_lo
	s_addc_u32 s26, s11, 0
	s_add_u32 s27, s7, 2
	s_addc_u32 s28, s11, 0
	s_cmp_lg_u32 s24, 0
	v_cmp_le_u32_e32 vcc_lo, s18, v1
	s_subb_u32 s3, s25, s3
	v_mov_b32_e32 v16, s27
	s_cmp_ge_u32 s3, s19
	v_cndmask_b32_e64 v1, 0, -1, vcc_lo
	s_cselect_b32 s18, -1, 0
	s_cmp_eq_u32 s3, s19
	v_cmp_ne_u32_e32 vcc_lo, 0, v2
	v_mov_b32_e32 v2, s28
	s_cselect_b32 s3, -1, 0
	s_xor_b64 s[16:17], s[22:23], s[16:17]
	v_cndmask_b32_e64 v1, s18, v1, s3
	v_cndmask_b32_e32 v16, s13, v16, vcc_lo
	v_cndmask_b32_e32 v2, s26, v2, vcc_lo
	s_delay_alu instid0(VALU_DEP_3) | instskip(NEXT) | instid1(VALU_DEP_2)
	v_cmp_ne_u32_e32 vcc_lo, 0, v1
	v_cndmask_b32_e32 v1, s11, v2, vcc_lo
	s_delay_alu instid0(VALU_DEP_4) | instskip(NEXT) | instid1(VALU_DEP_2)
	v_cndmask_b32_e32 v2, s7, v16, vcc_lo
	v_xor_b32_e32 v16, s17, v1
	s_delay_alu instid0(VALU_DEP_2) | instskip(NEXT) | instid1(VALU_DEP_1)
	v_xor_b32_e32 v2, s16, v2
	v_sub_co_u32 v1, vcc_lo, v2, s16
	s_delay_alu instid0(VALU_DEP_3)
	v_subrev_co_ci_u32_e32 v2, vcc_lo, s17, v16, vcc_lo
	s_cbranch_execnz .LBB99_33
.LBB99_32:
	v_cvt_f32_u32_e32 v1, s10
	s_sub_i32 s7, 0, s10
	s_delay_alu instid0(VALU_DEP_1) | instskip(SKIP_2) | instid1(VALU_DEP_1)
	v_rcp_iflag_f32_e32 v1, v1
	s_waitcnt_depctr 0xfff
	v_mul_f32_e32 v1, 0x4f7ffffe, v1
	v_cvt_u32_f32_e32 v1, v1
	s_delay_alu instid0(VALU_DEP_1) | instskip(NEXT) | instid1(VALU_DEP_1)
	v_readfirstlane_b32 s3, v1
	s_mul_i32 s7, s7, s3
	s_delay_alu instid0(SALU_CYCLE_1) | instskip(NEXT) | instid1(SALU_CYCLE_1)
	s_mul_hi_u32 s7, s3, s7
	s_add_i32 s3, s3, s7
	s_delay_alu instid0(SALU_CYCLE_1) | instskip(NEXT) | instid1(SALU_CYCLE_1)
	s_mul_hi_u32 s3, s12, s3
	s_mul_i32 s7, s3, s10
	s_add_i32 s11, s3, 1
	s_sub_i32 s7, s12, s7
	s_delay_alu instid0(SALU_CYCLE_1)
	s_sub_i32 s12, s7, s10
	s_cmp_ge_u32 s7, s10
	s_cselect_b32 s3, s11, s3
	s_cselect_b32 s7, s12, s7
	s_add_i32 s12, s3, 1
	s_cmp_ge_u32 s7, s10
	s_mov_b32 s11, 0
	s_cselect_b32 s10, s12, s3
	s_delay_alu instid0(SALU_CYCLE_1)
	v_dual_mov_b32 v1, s10 :: v_dual_mov_b32 v2, s11
.LBB99_33:
	s_delay_alu instid0(VALU_DEP_1) | instskip(NEXT) | instid1(VALU_DEP_2)
	v_add_co_u32 v1, vcc_lo, v1, v15
	v_add_co_ci_u32_e32 v2, vcc_lo, 0, v2, vcc_lo
	s_branch .LBB99_36
.LBB99_34:
                                        ; implicit-def: $vgpr1_vgpr2
	s_cbranch_execz .LBB99_36
; %bb.35:
	v_mul_lo_u32 v1, v15, s4
	s_delay_alu instid0(VALU_DEP_1) | instskip(SKIP_1) | instid1(VALU_DEP_2)
	v_ashrrev_i32_e32 v2, 31, v1
	v_add_co_u32 v1, vcc_lo, v1, s20
	v_add_co_ci_u32_e32 v2, vcc_lo, 0, v2, vcc_lo
.LBB99_36:
	s_mov_b32 s3, exec_lo
.LBB99_37:
	s_or_b32 exec_lo, exec_lo, s14
	s_delay_alu instid0(SALU_CYCLE_1)
	s_and_b32 vcc_lo, exec_lo, s15
	s_cbranch_vccz .LBB99_41
.LBB99_38:
	v_mov_b32_dpp v1, v13 quad_perm:[1,0,3,2] row_mask:0xf bank_mask:0xf
	s_delay_alu instid0(VALU_DEP_1) | instskip(SKIP_1) | instid1(VALU_DEP_1)
	v_cmp_gt_f32_e32 vcc_lo, v13, v1
	v_cndmask_b32_e32 v1, v1, v13, vcc_lo
	v_mov_b32_dpp v2, v1 quad_perm:[2,3,0,1] row_mask:0xf bank_mask:0xf
	s_delay_alu instid0(VALU_DEP_1) | instskip(SKIP_1) | instid1(VALU_DEP_1)
	v_cmp_gt_f32_e32 vcc_lo, v1, v2
	v_cndmask_b32_e32 v1, v2, v1, vcc_lo
	v_mov_b32_dpp v2, v1 row_xmask:7 row_mask:0xf bank_mask:0xf
	s_delay_alu instid0(VALU_DEP_1) | instskip(SKIP_1) | instid1(VALU_DEP_1)
	v_cmp_gt_f32_e32 vcc_lo, v1, v2
	v_cndmask_b32_e32 v1, v2, v1, vcc_lo
	v_mov_b32_dpp v2, v1 row_xmask:15 row_mask:0xf bank_mask:0xf
	s_delay_alu instid0(VALU_DEP_1)
	v_cmp_gt_f32_e32 vcc_lo, v1, v2
	s_and_saveexec_b32 s3, s2
	s_cbranch_execz .LBB99_40
; %bb.39:
	v_cndmask_b32_e32 v1, v2, v1, vcc_lo
	v_lshrrev_b32_e32 v2, 3, v0
	s_mov_b32 s2, 0x76543210
	s_delay_alu instid0(VALU_DEP_1) | instskip(NEXT) | instid1(VALU_DEP_3)
	v_and_b32_e32 v2, 0x7c, v2
	v_permlanex16_b32 v13, v1, s2, 0xfedcba98 op_sel:[1,1]
	s_delay_alu instid0(VALU_DEP_1)
	v_cmp_gt_f32_e32 vcc_lo, v1, v13
	v_cndmask_b32_e32 v1, v13, v1, vcc_lo
	ds_store_b32 v2, v1
.LBB99_40:
	s_or_b32 exec_lo, exec_lo, s3
	s_waitcnt lgkmcnt(0)
	s_barrier
	buffer_gl0_inv
	ds_load_b32 v1, v6
	v_cmp_eq_u32_e64 s3, 0, v0
	s_waitcnt lgkmcnt(0)
	v_mov_b32_dpp v2, v1 quad_perm:[1,0,3,2] row_mask:0xf bank_mask:0xf
	s_delay_alu instid0(VALU_DEP_1) | instskip(SKIP_1) | instid1(VALU_DEP_1)
	v_cmp_gt_f32_e32 vcc_lo, v1, v2
	v_cndmask_b32_e32 v1, v2, v1, vcc_lo
	v_mov_b32_dpp v2, v1 quad_perm:[2,3,0,1] row_mask:0xf bank_mask:0xf
	s_delay_alu instid0(VALU_DEP_1) | instskip(SKIP_1) | instid1(VALU_DEP_1)
	v_cmp_gt_f32_e32 vcc_lo, v1, v2
	v_cndmask_b32_e32 v1, v2, v1, vcc_lo
	v_mov_b32_dpp v2, v1 row_xmask:7 row_mask:0xf bank_mask:0xf
	s_delay_alu instid0(VALU_DEP_1) | instskip(SKIP_1) | instid1(VALU_DEP_1)
	v_cmp_gt_f32_e32 vcc_lo, v1, v2
	v_cndmask_b32_e32 v1, v2, v1, vcc_lo
	v_dual_mul_f32 v14, 0x3c010204, v1 :: v_dual_mov_b32 v1, s20
	v_mov_b32_e32 v2, s21
.LBB99_41:
	s_and_saveexec_b32 s2, s3
	s_cbranch_execz .LBB99_43
; %bb.42:
	s_delay_alu instid0(VALU_DEP_1) | instskip(NEXT) | instid1(VALU_DEP_1)
	v_lshlrev_b64 v[0:1], 2, v[1:2]
	v_add_co_u32 v0, vcc_lo, s8, v0
	s_delay_alu instid0(VALU_DEP_2)
	v_add_co_ci_u32_e32 v1, vcc_lo, s9, v1, vcc_lo
	global_store_b32 v[0:1], v14, off
.LBB99_43:
	s_or_b32 exec_lo, exec_lo, s2
	;;#ASMSTART
	v_rcp_f32 v0, v14
	;;#ASMEND
	v_mul_f32_e32 v7, v7, v0
	v_mul_f32_e32 v1, v12, v0
	;; [unrolled: 1-line block ×4, first 2 shown]
	s_load_b64 s[0:1], s[0:1], 0x0
	v_cvt_i32_f32_e32 v7, v7
	v_mul_f32_e32 v2, v11, v0
	v_cvt_i32_f32_e32 v1, v1
	v_mul_f32_e32 v6, v9, v0
	v_cvt_i32_f32_e32 v4, v4
	v_and_b32_e32 v7, 0xff, v7
	v_cvt_i32_f32_e32 v2, v2
	v_and_b32_e32 v1, 0xff, v1
	s_add_i32 s2, s5, 3
	v_lshlrev_b16 v4, 8, v4
	s_ashr_i32 s3, s2, 31
	v_lshlrev_b16 v2, 8, v2
	s_lshr_b32 s3, s3, 30
	s_mul_hi_u32 s4, s6, s20
	s_add_i32 s2, s2, s3
	s_ashr_i32 s3, s6, 31
	v_or_b32_e32 v1, v1, v2
	v_mul_f32_e32 v9, v10, v0
	v_mul_f32_e32 v0, v3, v0
	v_cvt_i32_f32_e32 v3, v6
	s_mul_i32 s3, s3, s20
	s_mul_i32 s5, s6, s20
	s_and_b32 s2, s2, -4
	v_cvt_i32_f32_e32 v0, v0
	v_and_b32_e32 v3, 0xff, v3
	v_cvt_i32_f32_e32 v6, v8
	s_add_i32 s4, s4, s3
	s_waitcnt lgkmcnt(0)
	s_add_u32 s0, s0, s5
	v_and_b32_e32 v0, 0xff, v0
	s_addc_u32 s1, s1, s4
	v_lshlrev_b16 v6, 8, v6
	s_and_b32 s1, s1, 0xffff
	s_mov_b32 s3, -1
	v_or_b32_e32 v0, v0, v4
	v_and_b32_e32 v4, 0xffff, v1
	v_cvt_i32_f32_e32 v8, v9
	v_or_b32_e32 v6, v7, v6
	s_delay_alu instid0(VALU_DEP_4) | instskip(NEXT) | instid1(VALU_DEP_3)
	v_lshlrev_b32_e32 v0, 16, v0
	v_lshlrev_b16 v8, 8, v8
	s_delay_alu instid0(VALU_DEP_1) | instskip(NEXT) | instid1(VALU_DEP_4)
	v_or_b32_e32 v2, v3, v8
	v_and_b32_e32 v3, 0xffff, v6
	s_delay_alu instid0(VALU_DEP_2) | instskip(NEXT) | instid1(VALU_DEP_2)
	v_lshlrev_b32_e32 v2, 16, v2
	v_or_b32_e32 v1, v3, v0
	s_delay_alu instid0(VALU_DEP_2)
	v_or_b32_e32 v0, v4, v2
	buffer_store_b64 v[0:1], v5, s[0:3], 0 offen
	;;#ASMSTART
	s_nop 0
	;;#ASMEND
.LBB99_44:
	s_nop 0
	s_sendmsg sendmsg(MSG_DEALLOC_VGPRS)
	s_endpgm
.LBB99_45:
                                        ; implicit-def: $vgpr1_vgpr2
	s_branch .LBB99_32
	.section	.rodata,"a",@progbits
	.p2align	6, 0x0
	.amdhsa_kernel _ZN5aiter24add_rmsnorm_quant_kernelIDF16_aLi256ELi8ELb0ELb1ELb0ELi1EEEvPT0_PT_PfS4_S4_S4_diiiiiiib
		.amdhsa_group_segment_fixed_size 64
		.amdhsa_private_segment_fixed_size 0
		.amdhsa_kernarg_size 88
		.amdhsa_user_sgpr_count 15
		.amdhsa_user_sgpr_dispatch_ptr 0
		.amdhsa_user_sgpr_queue_ptr 0
		.amdhsa_user_sgpr_kernarg_segment_ptr 1
		.amdhsa_user_sgpr_dispatch_id 0
		.amdhsa_user_sgpr_private_segment_size 0
		.amdhsa_wavefront_size32 1
		.amdhsa_uses_dynamic_stack 0
		.amdhsa_enable_private_segment 0
		.amdhsa_system_sgpr_workgroup_id_x 1
		.amdhsa_system_sgpr_workgroup_id_y 0
		.amdhsa_system_sgpr_workgroup_id_z 0
		.amdhsa_system_sgpr_workgroup_info 0
		.amdhsa_system_vgpr_workitem_id 0
		.amdhsa_next_free_vgpr 23
		.amdhsa_next_free_sgpr 29
		.amdhsa_reserve_vcc 1
		.amdhsa_float_round_mode_32 0
		.amdhsa_float_round_mode_16_64 0
		.amdhsa_float_denorm_mode_32 3
		.amdhsa_float_denorm_mode_16_64 3
		.amdhsa_dx10_clamp 1
		.amdhsa_ieee_mode 1
		.amdhsa_fp16_overflow 0
		.amdhsa_workgroup_processor_mode 1
		.amdhsa_memory_ordered 1
		.amdhsa_forward_progress 0
		.amdhsa_shared_vgpr_count 0
		.amdhsa_exception_fp_ieee_invalid_op 0
		.amdhsa_exception_fp_denorm_src 0
		.amdhsa_exception_fp_ieee_div_zero 0
		.amdhsa_exception_fp_ieee_overflow 0
		.amdhsa_exception_fp_ieee_underflow 0
		.amdhsa_exception_fp_ieee_inexact 0
		.amdhsa_exception_int_div_zero 0
	.end_amdhsa_kernel
	.section	.text._ZN5aiter24add_rmsnorm_quant_kernelIDF16_aLi256ELi8ELb0ELb1ELb0ELi1EEEvPT0_PT_PfS4_S4_S4_diiiiiiib,"axG",@progbits,_ZN5aiter24add_rmsnorm_quant_kernelIDF16_aLi256ELi8ELb0ELb1ELb0ELi1EEEvPT0_PT_PfS4_S4_S4_diiiiiiib,comdat
.Lfunc_end99:
	.size	_ZN5aiter24add_rmsnorm_quant_kernelIDF16_aLi256ELi8ELb0ELb1ELb0ELi1EEEvPT0_PT_PfS4_S4_S4_diiiiiiib, .Lfunc_end99-_ZN5aiter24add_rmsnorm_quant_kernelIDF16_aLi256ELi8ELb0ELb1ELb0ELi1EEEvPT0_PT_PfS4_S4_S4_diiiiiiib
                                        ; -- End function
	.section	.AMDGPU.csdata,"",@progbits
; Kernel info:
; codeLenInByte = 3248
; NumSgprs: 31
; NumVgprs: 23
; ScratchSize: 0
; MemoryBound: 0
; FloatMode: 240
; IeeeMode: 1
; LDSByteSize: 64 bytes/workgroup (compile time only)
; SGPRBlocks: 3
; VGPRBlocks: 2
; NumSGPRsForWavesPerEU: 31
; NumVGPRsForWavesPerEU: 23
; Occupancy: 16
; WaveLimiterHint : 0
; COMPUTE_PGM_RSRC2:SCRATCH_EN: 0
; COMPUTE_PGM_RSRC2:USER_SGPR: 15
; COMPUTE_PGM_RSRC2:TRAP_HANDLER: 0
; COMPUTE_PGM_RSRC2:TGID_X_EN: 1
; COMPUTE_PGM_RSRC2:TGID_Y_EN: 0
; COMPUTE_PGM_RSRC2:TGID_Z_EN: 0
; COMPUTE_PGM_RSRC2:TIDIG_COMP_CNT: 0
	.section	.text._ZN5aiter24add_rmsnorm_quant_kernelItaLi256ELi8ELb0ELb1ELb0ELi1EEEvPT0_PT_PfS4_S4_S4_diiiiiiib,"axG",@progbits,_ZN5aiter24add_rmsnorm_quant_kernelItaLi256ELi8ELb0ELb1ELb0ELi1EEEvPT0_PT_PfS4_S4_S4_diiiiiiib,comdat
	.protected	_ZN5aiter24add_rmsnorm_quant_kernelItaLi256ELi8ELb0ELb1ELb0ELi1EEEvPT0_PT_PfS4_S4_S4_diiiiiiib ; -- Begin function _ZN5aiter24add_rmsnorm_quant_kernelItaLi256ELi8ELb0ELb1ELb0ELi1EEEvPT0_PT_PfS4_S4_S4_diiiiiiib
	.globl	_ZN5aiter24add_rmsnorm_quant_kernelItaLi256ELi8ELb0ELb1ELb0ELi1EEEvPT0_PT_PfS4_S4_S4_diiiiiiib
	.p2align	8
	.type	_ZN5aiter24add_rmsnorm_quant_kernelItaLi256ELi8ELb0ELb1ELb0ELi1EEEvPT0_PT_PfS4_S4_S4_diiiiiiib,@function
_ZN5aiter24add_rmsnorm_quant_kernelItaLi256ELi8ELb0ELb1ELb0ELi1EEEvPT0_PT_PfS4_S4_S4_diiiiiiib: ; @_ZN5aiter24add_rmsnorm_quant_kernelItaLi256ELi8ELb0ELb1ELb0ELi1EEEvPT0_PT_PfS4_S4_S4_diiiiiiib
; %bb.0:
	s_load_b128 s[4:7], s[0:1], 0x38
	s_mov_b32 s20, s15
	s_mov_b32 s21, 0
	s_waitcnt lgkmcnt(0)
	s_ashr_i32 s3, s4, 31
	s_mov_b32 s2, s4
	s_delay_alu instid0(SALU_CYCLE_1) | instskip(NEXT) | instid1(VALU_DEP_1)
	v_cmp_ge_i64_e64 s2, s[20:21], s[2:3]
	s_and_b32 vcc_lo, exec_lo, s2
	s_cbranch_vccnz .LBB100_44
; %bb.1:
	s_clause 0x1
	s_load_b128 s[8:11], s[0:1], 0x10
	s_load_b128 s[16:19], s[0:1], 0x28
	s_ashr_i32 s2, s6, 31
	s_mul_hi_u32 s3, s6, s20
	s_mul_i32 s7, s2, s20
	s_mul_i32 s2, s6, s20
	s_add_i32 s3, s3, s7
	v_lshlrev_b32_e32 v1, 4, v0
	s_lshl_b64 s[2:3], s[2:3], 1
	s_mov_b32 s15, -1
	v_and_b32_e32 v15, 31, v0
	s_mov_b32 s27, s15
	s_waitcnt lgkmcnt(0)
	s_add_u32 s12, s10, s2
	s_addc_u32 s2, s11, s3
	s_add_i32 s3, s5, 1
	s_and_b32 s13, s2, 0xffff
	s_lshr_b32 s6, s3, 31
	s_mov_b32 s24, s16
	s_add_i32 s3, s3, s6
	s_and_b32 s25, s17, 0xffff
	s_lshl_b32 s3, s3, 1
	v_cmp_eq_u32_e64 s2, 31, v15
	s_and_b32 s14, s3, -4
	buffer_load_b128 v[10:13], v1, s[12:15], 0 offen glc slc
	s_mov_b32 s26, s14
	s_waitcnt vmcnt(0)
	v_lshrrev_b32_e32 v5, 16, v10
	v_and_b32_e32 v6, 0xffff, v10
	v_lshrrev_b32_e32 v10, 16, v11
	v_lshrrev_b32_e32 v14, 16, v13
	s_delay_alu instid0(VALU_DEP_4) | instskip(NEXT) | instid1(VALU_DEP_4)
	v_cvt_f32_u32_e32 v7, v5
	v_cvt_f32_u32_e32 v8, v6
	s_delay_alu instid0(VALU_DEP_4) | instskip(NEXT) | instid1(VALU_DEP_4)
	v_cvt_f32_u32_e32 v10, v10
	v_cvt_f32_u32_e32 v14, v14
	s_delay_alu instid0(VALU_DEP_4) | instskip(SKIP_2) | instid1(VALU_DEP_1)
	v_mul_f32_e32 v6, v7, v7
	buffer_load_b128 v[1:4], v1, s[24:27], 0 offen
	v_dual_fmac_f32 v6, v8, v8 :: v_dual_and_b32 v5, 0xffff, v11
	v_cvt_f32_u32_e32 v9, v5
	v_and_b32_e32 v5, 0xffff, v12
	v_lshrrev_b32_e32 v12, 16, v12
	s_delay_alu instid0(VALU_DEP_3) | instskip(NEXT) | instid1(VALU_DEP_3)
	v_fmac_f32_e32 v6, v9, v9
	v_cvt_f32_u32_e32 v11, v5
	v_and_b32_e32 v5, 0xffff, v13
	s_delay_alu instid0(VALU_DEP_4) | instskip(NEXT) | instid1(VALU_DEP_4)
	v_cvt_f32_u32_e32 v12, v12
	v_fmac_f32_e32 v6, v10, v10
	s_delay_alu instid0(VALU_DEP_3) | instskip(NEXT) | instid1(VALU_DEP_2)
	v_cvt_f32_u32_e32 v13, v5
	v_fmac_f32_e32 v6, v11, v11
	s_delay_alu instid0(VALU_DEP_1) | instskip(NEXT) | instid1(VALU_DEP_1)
	v_fmac_f32_e32 v6, v12, v12
	v_fmac_f32_e32 v6, v13, v13
	s_delay_alu instid0(VALU_DEP_1) | instskip(NEXT) | instid1(VALU_DEP_1)
	v_fmac_f32_e32 v6, v14, v14
	v_mov_b32_dpp v5, v6 quad_perm:[1,0,3,2] row_mask:0xf bank_mask:0xf
	s_delay_alu instid0(VALU_DEP_1) | instskip(NEXT) | instid1(VALU_DEP_1)
	v_add_f32_e32 v5, v6, v5
	v_mov_b32_dpp v6, v5 quad_perm:[2,3,0,1] row_mask:0xf bank_mask:0xf
	s_delay_alu instid0(VALU_DEP_1) | instskip(NEXT) | instid1(VALU_DEP_1)
	v_add_f32_e32 v5, v5, v6
	v_mov_b32_dpp v6, v5 row_xmask:7 row_mask:0xf bank_mask:0xf
	s_delay_alu instid0(VALU_DEP_1) | instskip(NEXT) | instid1(VALU_DEP_1)
	v_add_f32_e32 v5, v5, v6
	v_mov_b32_dpp v6, v5 row_xmask:15 row_mask:0xf bank_mask:0xf
	s_and_saveexec_b32 s3, s2
	s_cbranch_execz .LBB100_3
; %bb.2:
	s_delay_alu instid0(VALU_DEP_1) | instskip(SKIP_2) | instid1(VALU_DEP_2)
	v_add_f32_e32 v5, v5, v6
	s_mov_b32 s6, 0x76543210
	v_lshrrev_b32_e32 v6, 3, v0
	v_permlanex16_b32 v15, v5, s6, 0xfedcba98 op_sel:[1,1]
	s_delay_alu instid0(VALU_DEP_1)
	v_dual_add_f32 v5, v5, v15 :: v_dual_and_b32 v6, 0x7c, v6
	ds_store_b32 v6, v5 offset:32
.LBB100_3:
	s_or_b32 exec_lo, exec_lo, s3
	v_and_b32_e32 v5, 7, v0
	s_waitcnt vmcnt(0) lgkmcnt(0)
	s_barrier
	buffer_gl0_inv
	v_cvt_f32_i32_e32 v16, s5
	v_lshlrev_b32_e32 v6, 2, v5
	ds_load_b32 v5, v6 offset:32
	s_clause 0x1
	s_load_b64 s[6:7], s[0:1], 0x4c
	s_load_b32 s10, s[0:1], 0x54
	s_waitcnt lgkmcnt(0)
	s_cmp_lg_u32 s7, 0
	v_mov_b32_dpp v15, v5 quad_perm:[1,0,3,2] row_mask:0xf bank_mask:0xf
	s_delay_alu instid0(VALU_DEP_1) | instskip(NEXT) | instid1(VALU_DEP_1)
	v_add_f32_e32 v5, v5, v15
	v_mov_b32_dpp v15, v5 quad_perm:[2,3,0,1] row_mask:0xf bank_mask:0xf
	s_delay_alu instid0(VALU_DEP_1) | instskip(NEXT) | instid1(VALU_DEP_1)
	v_add_f32_e32 v5, v5, v15
	v_mov_b32_dpp v15, v5 row_xmask:7 row_mask:0xf bank_mask:0xf
	s_delay_alu instid0(VALU_DEP_1) | instskip(NEXT) | instid1(VALU_DEP_1)
	v_add_f32_e32 v5, v5, v15
	v_div_scale_f32 v15, null, v16, v16, v5
	v_div_scale_f32 v19, vcc_lo, v5, v16, v5
	s_delay_alu instid0(VALU_DEP_2) | instskip(SKIP_2) | instid1(VALU_DEP_1)
	v_rcp_f32_e32 v17, v15
	s_waitcnt_depctr 0xfff
	v_fma_f32 v18, -v15, v17, 1.0
	v_fmac_f32_e32 v17, v18, v17
	s_delay_alu instid0(VALU_DEP_1) | instskip(NEXT) | instid1(VALU_DEP_1)
	v_mul_f32_e32 v18, v19, v17
	v_fma_f32 v20, -v15, v18, v19
	s_delay_alu instid0(VALU_DEP_1) | instskip(SKIP_1) | instid1(VALU_DEP_2)
	v_fmac_f32_e32 v18, v20, v17
	v_mov_b32_e32 v20, 0x2edbe6ff
	v_fma_f32 v15, -v15, v18, v19
	s_delay_alu instid0(VALU_DEP_1) | instskip(SKIP_2) | instid1(VALU_DEP_3)
	v_div_fmas_f32 v15, v15, v17, v18
	v_and_b32_e32 v18, 0xffff, v3
	v_lshrrev_b32_e32 v3, 16, v3
	v_div_fixup_f32 v5, v15, v16, v5
	s_delay_alu instid0(VALU_DEP_3) | instskip(NEXT) | instid1(VALU_DEP_3)
	v_cvt_f32_u32_e32 v18, v18
	v_cvt_f32_u32_e32 v3, v3
	s_delay_alu instid0(VALU_DEP_3) | instskip(NEXT) | instid1(VALU_DEP_1)
	v_cvt_f64_f32_e32 v[15:16], v5
	v_add_f64 v[15:16], v[15:16], s[18:19]
	s_delay_alu instid0(VALU_DEP_1) | instskip(SKIP_2) | instid1(VALU_DEP_2)
	v_cvt_f32_f64_e32 v5, v[15:16]
	v_and_b32_e32 v16, 0xffff, v1
	v_lshrrev_b32_e32 v1, 16, v1
	v_cvt_f32_u32_e32 v16, v16
	s_delay_alu instid0(VALU_DEP_2) | instskip(SKIP_2) | instid1(VALU_DEP_2)
	v_cvt_f32_u32_e32 v1, v1
	v_mul_f32_e32 v15, 0x4b800000, v5
	v_cmp_gt_f32_e32 vcc_lo, 0x800000, v5
	v_cndmask_b32_e32 v15, v5, v15, vcc_lo
	s_delay_alu instid0(VALU_DEP_1) | instskip(SKIP_2) | instid1(VALU_DEP_1)
	v_rsq_f32_e32 v15, v15
	s_waitcnt_depctr 0xfff
	v_mul_f32_e32 v21, 0x45800000, v15
	v_cndmask_b32_e32 v15, v15, v21, vcc_lo
	v_and_b32_e32 v17, 0xffff, v2
	v_lshrrev_b32_e32 v2, 16, v2
	s_delay_alu instid0(VALU_DEP_3) | instskip(NEXT) | instid1(VALU_DEP_2)
	v_dual_mul_f32 v10, v15, v10 :: v_dual_lshlrev_b32 v5, 3, v0
	v_cvt_f32_u32_e32 v2, v2
	s_delay_alu instid0(VALU_DEP_1)
	v_dual_mul_f32 v10, v10, v2 :: v_dual_and_b32 v19, 0xffff, v4
	v_mul_f32_e32 v14, v15, v14
	v_lshrrev_b32_e32 v4, 16, v4
	v_mul_f32_e32 v8, v15, v8
	v_mul_f32_e32 v22, v15, v12
	;; [unrolled: 1-line block ×3, first 2 shown]
	v_cvt_f32_u32_e32 v17, v17
	v_cvt_f32_u32_e32 v4, v4
	v_dual_mul_f32 v7, v15, v7 :: v_dual_mul_f32 v12, v8, v16
	v_mul_f32_e32 v8, v22, v3
	v_cvt_f32_u32_e32 v19, v19
	s_delay_alu instid0(VALU_DEP_4) | instskip(NEXT) | instid1(VALU_DEP_4)
	v_dual_mul_f32 v4, v14, v4 :: v_dual_mul_f32 v21, v15, v11
	v_dual_mul_f32 v11, v7, v1 :: v_dual_and_b32 v14, 0x7fffffff, v10
	s_delay_alu instid0(VALU_DEP_4) | instskip(SKIP_1) | instid1(VALU_DEP_4)
	v_dual_mul_f32 v13, v15, v13 :: v_dual_and_b32 v16, 0x7fffffff, v8
	v_mul_f32_e32 v9, v9, v17
	v_dual_mul_f32 v7, v21, v18 :: v_dual_and_b32 v18, 0x7fffffff, v4
	s_delay_alu instid0(VALU_DEP_4) | instskip(NEXT) | instid1(VALU_DEP_4)
	v_and_b32_e32 v2, 0x7fffffff, v11
	v_mul_f32_e32 v3, v13, v19
	v_and_b32_e32 v1, 0x7fffffff, v12
	;;#ASMSTART
	v_max3_f32 v1, v20, v1, v2

	;;#ASMEND
	v_and_b32_e32 v13, 0x7fffffff, v9
	;;#ASMSTART
	v_max3_f32 v1, v1, v13, v14

	;;#ASMEND
	v_and_b32_e32 v15, 0x7fffffff, v7
	v_and_b32_e32 v17, 0x7fffffff, v3
	;;#ASMSTART
	v_max3_f32 v1, v1, v15, v16

	;;#ASMEND
	;;#ASMSTART
	v_max3_f32 v13, v1, v17, v18

	;;#ASMEND
	s_cbranch_scc0 .LBB100_10
; %bb.4:
	s_ashr_i32 s11, s7, 31
	s_delay_alu instid0(SALU_CYCLE_1) | instskip(NEXT) | instid1(SALU_CYCLE_1)
	s_lshr_b32 s3, s11, 29
	s_add_i32 s3, s7, s3
	s_delay_alu instid0(SALU_CYCLE_1) | instskip(NEXT) | instid1(SALU_CYCLE_1)
	s_ashr_i32 s3, s3, 3
	s_cmp_lt_i32 s3, 8
	s_cbranch_scc1 .LBB100_11
; %bb.5:
	s_cmp_lt_i32 s3, 16
	s_cbranch_scc1 .LBB100_12
; %bb.6:
	;; [unrolled: 3-line block ×3, first 2 shown]
	v_mov_b32_e32 v1, v13
	s_cmp_eq_u32 s3, 32
	s_cbranch_scc0 .LBB100_9
; %bb.8:
	s_delay_alu instid0(VALU_DEP_1) | instskip(SKIP_1) | instid1(VALU_DEP_1)
	v_mov_b32_dpp v1, v13 quad_perm:[1,0,3,2] row_mask:0xf bank_mask:0xf
	s_mov_b32 s12, 0x76543210
	v_cmp_gt_f32_e32 vcc_lo, v13, v1
	v_cndmask_b32_e32 v1, v1, v13, vcc_lo
	s_delay_alu instid0(VALU_DEP_1) | instskip(NEXT) | instid1(VALU_DEP_1)
	v_mov_b32_dpp v2, v1 quad_perm:[2,3,0,1] row_mask:0xf bank_mask:0xf
	v_cmp_gt_f32_e32 vcc_lo, v1, v2
	v_cndmask_b32_e32 v1, v2, v1, vcc_lo
	s_delay_alu instid0(VALU_DEP_1) | instskip(NEXT) | instid1(VALU_DEP_1)
	v_mov_b32_dpp v2, v1 row_xmask:7 row_mask:0xf bank_mask:0xf
	v_cmp_gt_f32_e32 vcc_lo, v1, v2
	v_cndmask_b32_e32 v1, v2, v1, vcc_lo
	s_delay_alu instid0(VALU_DEP_1) | instskip(NEXT) | instid1(VALU_DEP_1)
	v_mov_b32_dpp v2, v1 row_xmask:15 row_mask:0xf bank_mask:0xf
	v_cmp_gt_f32_e32 vcc_lo, v1, v2
	v_cndmask_b32_e32 v1, v2, v1, vcc_lo
	s_delay_alu instid0(VALU_DEP_1) | instskip(NEXT) | instid1(VALU_DEP_1)
	v_permlanex16_b32 v2, v1, s12, 0xfedcba98 op_sel:[1,1]
	v_cmp_gt_f32_e32 vcc_lo, v1, v2
	v_cndmask_b32_e32 v1, v2, v1, vcc_lo
.LBB100_9:
	s_mov_b32 s12, 0
	s_branch .LBB100_14
.LBB100_10:
	s_mov_b32 s3, 0
                                        ; implicit-def: $vgpr14
                                        ; implicit-def: $vgpr1_vgpr2
	s_and_b32 vcc_lo, exec_lo, s15
	s_cbranch_vccnz .LBB100_38
	s_branch .LBB100_41
.LBB100_11:
                                        ; implicit-def: $vgpr1
	s_branch .LBB100_21
.LBB100_12:
                                        ; implicit-def: $vgpr1
	s_branch .LBB100_18
.LBB100_13:
	s_mov_b32 s12, -1
                                        ; implicit-def: $vgpr1
.LBB100_14:
	s_delay_alu instid0(SALU_CYCLE_1)
	s_and_not1_b32 vcc_lo, exec_lo, s12
	s_cbranch_vccnz .LBB100_17
; %bb.15:
	v_mov_b32_e32 v1, v13
	s_cmp_eq_u32 s3, 16
	s_cbranch_scc0 .LBB100_17
; %bb.16:
	s_delay_alu instid0(VALU_DEP_1) | instskip(NEXT) | instid1(VALU_DEP_1)
	v_mov_b32_dpp v1, v13 quad_perm:[1,0,3,2] row_mask:0xf bank_mask:0xf
	v_cmp_gt_f32_e32 vcc_lo, v13, v1
	v_cndmask_b32_e32 v1, v1, v13, vcc_lo
	s_delay_alu instid0(VALU_DEP_1) | instskip(NEXT) | instid1(VALU_DEP_1)
	v_mov_b32_dpp v2, v1 quad_perm:[2,3,0,1] row_mask:0xf bank_mask:0xf
	v_cmp_gt_f32_e32 vcc_lo, v1, v2
	v_cndmask_b32_e32 v1, v2, v1, vcc_lo
	s_delay_alu instid0(VALU_DEP_1) | instskip(NEXT) | instid1(VALU_DEP_1)
	v_mov_b32_dpp v2, v1 row_half_mirror row_mask:0xf bank_mask:0xf
	v_cmp_gt_f32_e32 vcc_lo, v1, v2
	v_cndmask_b32_e32 v1, v2, v1, vcc_lo
	s_delay_alu instid0(VALU_DEP_1) | instskip(NEXT) | instid1(VALU_DEP_1)
	v_mov_b32_dpp v2, v1 row_mirror row_mask:0xf bank_mask:0xf
	v_cmp_gt_f32_e32 vcc_lo, v1, v2
	v_cndmask_b32_e32 v1, v2, v1, vcc_lo
.LBB100_17:
	s_cbranch_execnz .LBB100_20
.LBB100_18:
	v_mov_b32_e32 v1, v13
	s_cmp_eq_u32 s3, 8
	s_cbranch_scc0 .LBB100_20
; %bb.19:
	s_delay_alu instid0(VALU_DEP_1) | instskip(NEXT) | instid1(VALU_DEP_1)
	v_mov_b32_dpp v1, v13 quad_perm:[1,0,3,2] row_mask:0xf bank_mask:0xf
	v_cmp_gt_f32_e32 vcc_lo, v13, v1
	v_cndmask_b32_e32 v1, v1, v13, vcc_lo
	s_delay_alu instid0(VALU_DEP_1) | instskip(NEXT) | instid1(VALU_DEP_1)
	v_mov_b32_dpp v2, v1 quad_perm:[2,3,0,1] row_mask:0xf bank_mask:0xf
	v_cmp_gt_f32_e32 vcc_lo, v1, v2
	v_cndmask_b32_e32 v1, v2, v1, vcc_lo
	s_delay_alu instid0(VALU_DEP_1) | instskip(NEXT) | instid1(VALU_DEP_1)
	v_mov_b32_dpp v2, v1 row_half_mirror row_mask:0xf bank_mask:0xf
	v_cmp_gt_f32_e32 vcc_lo, v1, v2
	v_cndmask_b32_e32 v1, v2, v1, vcc_lo
.LBB100_20:
	s_cbranch_execnz .LBB100_28
.LBB100_21:
	s_cmp_lt_i32 s3, 4
	s_cbranch_scc1 .LBB100_24
; %bb.22:
	v_mov_b32_e32 v1, v13
	s_cmp_eq_u32 s3, 4
	s_cbranch_scc0 .LBB100_25
; %bb.23:
	s_delay_alu instid0(VALU_DEP_1) | instskip(NEXT) | instid1(VALU_DEP_1)
	v_mov_b32_dpp v1, v13 quad_perm:[1,0,3,2] row_mask:0xf bank_mask:0xf
	v_cmp_gt_f32_e32 vcc_lo, v13, v1
	v_cndmask_b32_e32 v1, v1, v13, vcc_lo
	s_delay_alu instid0(VALU_DEP_1) | instskip(NEXT) | instid1(VALU_DEP_1)
	v_mov_b32_dpp v2, v1 quad_perm:[2,3,0,1] row_mask:0xf bank_mask:0xf
	v_cmp_gt_f32_e32 vcc_lo, v1, v2
	v_cndmask_b32_e32 v1, v2, v1, vcc_lo
	s_cbranch_execz .LBB100_26
	s_branch .LBB100_28
.LBB100_24:
                                        ; implicit-def: $vgpr1
	s_branch .LBB100_26
.LBB100_25:
	s_cbranch_execnz .LBB100_28
.LBB100_26:
	v_mov_b32_e32 v1, v13
	s_cmp_lg_u32 s3, 2
	s_cbranch_scc1 .LBB100_28
; %bb.27:
	s_delay_alu instid0(VALU_DEP_1) | instskip(NEXT) | instid1(VALU_DEP_1)
	v_mov_b32_dpp v1, v13 quad_perm:[1,0,3,2] row_mask:0xf bank_mask:0xf
	v_cmp_gt_f32_e32 vcc_lo, v13, v1
	v_cndmask_b32_e32 v1, v1, v13, vcc_lo
.LBB100_28:
	v_cvt_f32_u32_e32 v2, s3
	s_sub_i32 s12, 0, s3
	s_mov_b32 s15, 0
	s_delay_alu instid0(VALU_DEP_1) | instskip(SKIP_2) | instid1(VALU_DEP_1)
	v_rcp_iflag_f32_e32 v2, v2
	s_waitcnt_depctr 0xfff
	v_mul_f32_e32 v2, 0x4f7ffffe, v2
	v_cvt_u32_f32_e32 v2, v2
	s_delay_alu instid0(VALU_DEP_1) | instskip(NEXT) | instid1(VALU_DEP_1)
	v_mul_lo_u32 v14, s12, v2
	v_mul_hi_u32 v14, v2, v14
	s_delay_alu instid0(VALU_DEP_1) | instskip(NEXT) | instid1(VALU_DEP_1)
	v_add_nc_u32_e32 v2, v2, v14
	v_mul_hi_u32 v2, v0, v2
	s_delay_alu instid0(VALU_DEP_1) | instskip(NEXT) | instid1(VALU_DEP_1)
	v_mul_lo_u32 v14, v2, s3
	v_sub_nc_u32_e32 v14, v0, v14
	s_delay_alu instid0(VALU_DEP_1) | instskip(SKIP_1) | instid1(VALU_DEP_2)
	v_subrev_nc_u32_e32 v16, s3, v14
	v_cmp_le_u32_e32 vcc_lo, s3, v14
	v_dual_cndmask_b32 v14, v14, v16 :: v_dual_add_nc_u32 v15, 1, v2
	s_delay_alu instid0(VALU_DEP_1) | instskip(NEXT) | instid1(VALU_DEP_2)
	v_cndmask_b32_e32 v2, v2, v15, vcc_lo
	v_cmp_le_u32_e32 vcc_lo, s3, v14
	s_delay_alu instid0(VALU_DEP_2) | instskip(NEXT) | instid1(VALU_DEP_1)
	v_dual_mul_f32 v14, 0x3c010204, v1 :: v_dual_add_nc_u32 v15, 1, v2
	v_cndmask_b32_e32 v15, v2, v15, vcc_lo
	v_cmp_gt_u32_e32 vcc_lo, s5, v5
	s_delay_alu instid0(VALU_DEP_2) | instskip(NEXT) | instid1(VALU_DEP_1)
	v_mul_lo_u32 v2, v15, s3
	v_sub_nc_u32_e32 v2, v0, v2
	s_delay_alu instid0(VALU_DEP_1) | instskip(NEXT) | instid1(VALU_DEP_1)
	v_cmp_eq_u32_e64 s3, 0, v2
                                        ; implicit-def: $vgpr1_vgpr2
	s_and_b32 s12, s3, vcc_lo
	s_mov_b32 s3, 0
	s_and_saveexec_b32 s13, s12
	s_delay_alu instid0(SALU_CYCLE_1)
	s_xor_b32 s14, exec_lo, s13
	s_cbranch_execz .LBB100_37
; %bb.29:
	s_bitcmp0_b32 s10, 0
	s_mov_b32 s16, 0
	s_cbranch_scc0 .LBB100_34
; %bb.30:
	s_ashr_i32 s3, s5, 31
	s_mul_hi_u32 s10, s5, s20
	s_mul_i32 s3, s3, s20
	s_mul_i32 s12, s5, s20
	s_add_i32 s13, s10, s3
	s_mov_b32 s10, s7
	s_delay_alu instid0(SALU_CYCLE_1) | instskip(NEXT) | instid1(SALU_CYCLE_1)
	s_or_b64 s[18:19], s[12:13], s[10:11]
	s_mov_b32 s17, s19
	s_delay_alu instid0(SALU_CYCLE_1)
	s_cmp_lg_u64 s[16:17], 0
	s_cbranch_scc0 .LBB100_45
; %bb.31:
	s_add_u32 s18, s10, s11
	s_mov_b32 s16, s11
	s_mov_b32 s17, s11
	s_addc_u32 s19, s11, s11
	s_delay_alu instid0(SALU_CYCLE_1) | instskip(NEXT) | instid1(SALU_CYCLE_1)
	s_xor_b64 s[18:19], s[18:19], s[16:17]
	v_cvt_f32_u32_e32 v1, s18
	v_cvt_f32_u32_e32 v2, s19
	s_sub_u32 s11, 0, s18
	s_subb_u32 s22, 0, s19
	s_delay_alu instid0(VALU_DEP_1) | instskip(NEXT) | instid1(VALU_DEP_1)
	v_fmamk_f32 v1, v2, 0x4f800000, v1
	v_rcp_f32_e32 v1, v1
	s_waitcnt_depctr 0xfff
	v_mul_f32_e32 v1, 0x5f7ffffc, v1
	s_delay_alu instid0(VALU_DEP_1) | instskip(NEXT) | instid1(VALU_DEP_1)
	v_mul_f32_e32 v2, 0x2f800000, v1
	v_trunc_f32_e32 v2, v2
	s_delay_alu instid0(VALU_DEP_1) | instskip(SKIP_1) | instid1(VALU_DEP_2)
	v_fmamk_f32 v1, v2, 0xcf800000, v1
	v_cvt_u32_f32_e32 v2, v2
	v_cvt_u32_f32_e32 v1, v1
	s_delay_alu instid0(VALU_DEP_2) | instskip(NEXT) | instid1(VALU_DEP_2)
	v_readfirstlane_b32 s3, v2
	v_readfirstlane_b32 s7, v1
	s_delay_alu instid0(VALU_DEP_2) | instskip(NEXT) | instid1(VALU_DEP_1)
	s_mul_i32 s23, s11, s3
	s_mul_hi_u32 s25, s11, s7
	s_mul_i32 s24, s22, s7
	s_add_i32 s23, s25, s23
	s_mul_i32 s26, s11, s7
	s_add_i32 s23, s23, s24
	s_mul_hi_u32 s25, s7, s26
	s_mul_hi_u32 s27, s3, s26
	s_mul_i32 s24, s3, s26
	s_mul_hi_u32 s26, s7, s23
	s_mul_i32 s7, s7, s23
	s_mul_hi_u32 s28, s3, s23
	s_add_u32 s7, s25, s7
	s_addc_u32 s25, 0, s26
	s_add_u32 s7, s7, s24
	s_mul_i32 s23, s3, s23
	s_addc_u32 s7, s25, s27
	s_addc_u32 s24, s28, 0
	s_add_u32 s7, s7, s23
	s_addc_u32 s23, 0, s24
	v_add_co_u32 v1, s7, v1, s7
	s_delay_alu instid0(VALU_DEP_1) | instskip(SKIP_1) | instid1(VALU_DEP_1)
	s_cmp_lg_u32 s7, 0
	s_addc_u32 s3, s3, s23
	v_readfirstlane_b32 s7, v1
	s_mul_i32 s23, s11, s3
	s_delay_alu instid0(VALU_DEP_1)
	s_mul_hi_u32 s24, s11, s7
	s_mul_i32 s22, s22, s7
	s_add_i32 s23, s24, s23
	s_mul_i32 s11, s11, s7
	s_add_i32 s23, s23, s22
	s_mul_hi_u32 s24, s3, s11
	s_mul_i32 s25, s3, s11
	s_mul_hi_u32 s11, s7, s11
	s_mul_hi_u32 s26, s7, s23
	s_mul_i32 s7, s7, s23
	s_mul_hi_u32 s22, s3, s23
	s_add_u32 s7, s11, s7
	s_addc_u32 s11, 0, s26
	s_add_u32 s7, s7, s25
	s_mul_i32 s23, s3, s23
	s_addc_u32 s7, s11, s24
	s_addc_u32 s11, s22, 0
	s_add_u32 s7, s7, s23
	s_addc_u32 s11, 0, s11
	v_add_co_u32 v1, s7, v1, s7
	s_delay_alu instid0(VALU_DEP_1) | instskip(SKIP_2) | instid1(VALU_DEP_1)
	s_cmp_lg_u32 s7, 0
	s_addc_u32 s3, s3, s11
	s_ashr_i32 s22, s13, 31
	v_readfirstlane_b32 s7, v1
	s_add_u32 s24, s12, s22
	s_mov_b32 s23, s22
	s_addc_u32 s25, s13, s22
	s_delay_alu instid0(SALU_CYCLE_1) | instskip(NEXT) | instid1(SALU_CYCLE_1)
	s_xor_b64 s[24:25], s[24:25], s[22:23]
	s_mul_i32 s13, s24, s3
	s_mul_hi_u32 s26, s24, s7
	s_mul_hi_u32 s11, s24, s3
	;; [unrolled: 1-line block ×3, first 2 shown]
	s_mul_i32 s7, s25, s7
	s_add_u32 s13, s26, s13
	s_addc_u32 s11, 0, s11
	s_mul_hi_u32 s27, s25, s3
	s_add_u32 s7, s13, s7
	s_mul_i32 s3, s25, s3
	s_addc_u32 s7, s11, s28
	s_addc_u32 s11, s27, 0
	s_add_u32 s7, s7, s3
	s_addc_u32 s11, 0, s11
	s_mul_i32 s27, s18, s7
	s_mul_hi_u32 s3, s18, s7
	s_mul_i32 s26, s18, s11
	v_sub_co_u32 v1, s24, s24, s27
	s_mul_i32 s13, s19, s7
	s_add_i32 s3, s3, s26
	s_delay_alu instid0(SALU_CYCLE_1) | instskip(NEXT) | instid1(VALU_DEP_1)
	s_add_i32 s3, s3, s13
	v_sub_co_u32 v2, s26, v1, s18
	s_sub_i32 s13, s25, s3
	s_cmp_lg_u32 s24, 0
	s_subb_u32 s13, s13, s19
	s_cmp_lg_u32 s26, 0
	v_cmp_le_u32_e32 vcc_lo, s18, v2
	s_subb_u32 s13, s13, 0
	s_delay_alu instid0(SALU_CYCLE_1)
	s_cmp_ge_u32 s13, s19
	v_cndmask_b32_e64 v2, 0, -1, vcc_lo
	s_cselect_b32 s26, -1, 0
	s_cmp_eq_u32 s13, s19
	s_cselect_b32 vcc_lo, -1, 0
	s_add_u32 s13, s7, 1
	v_cndmask_b32_e32 v2, s26, v2, vcc_lo
	s_addc_u32 s26, s11, 0
	s_add_u32 s27, s7, 2
	s_addc_u32 s28, s11, 0
	s_cmp_lg_u32 s24, 0
	v_cmp_le_u32_e32 vcc_lo, s18, v1
	s_subb_u32 s3, s25, s3
	v_mov_b32_e32 v16, s27
	s_cmp_ge_u32 s3, s19
	v_cndmask_b32_e64 v1, 0, -1, vcc_lo
	s_cselect_b32 s18, -1, 0
	s_cmp_eq_u32 s3, s19
	v_cmp_ne_u32_e32 vcc_lo, 0, v2
	v_mov_b32_e32 v2, s28
	s_cselect_b32 s3, -1, 0
	s_xor_b64 s[16:17], s[22:23], s[16:17]
	v_cndmask_b32_e64 v1, s18, v1, s3
	v_cndmask_b32_e32 v16, s13, v16, vcc_lo
	v_cndmask_b32_e32 v2, s26, v2, vcc_lo
	s_delay_alu instid0(VALU_DEP_3) | instskip(NEXT) | instid1(VALU_DEP_2)
	v_cmp_ne_u32_e32 vcc_lo, 0, v1
	v_cndmask_b32_e32 v1, s11, v2, vcc_lo
	s_delay_alu instid0(VALU_DEP_4) | instskip(NEXT) | instid1(VALU_DEP_2)
	v_cndmask_b32_e32 v2, s7, v16, vcc_lo
	v_xor_b32_e32 v16, s17, v1
	s_delay_alu instid0(VALU_DEP_2) | instskip(NEXT) | instid1(VALU_DEP_1)
	v_xor_b32_e32 v2, s16, v2
	v_sub_co_u32 v1, vcc_lo, v2, s16
	s_delay_alu instid0(VALU_DEP_3)
	v_subrev_co_ci_u32_e32 v2, vcc_lo, s17, v16, vcc_lo
	s_cbranch_execnz .LBB100_33
.LBB100_32:
	v_cvt_f32_u32_e32 v1, s10
	s_sub_i32 s7, 0, s10
	s_delay_alu instid0(VALU_DEP_1) | instskip(SKIP_2) | instid1(VALU_DEP_1)
	v_rcp_iflag_f32_e32 v1, v1
	s_waitcnt_depctr 0xfff
	v_mul_f32_e32 v1, 0x4f7ffffe, v1
	v_cvt_u32_f32_e32 v1, v1
	s_delay_alu instid0(VALU_DEP_1) | instskip(NEXT) | instid1(VALU_DEP_1)
	v_readfirstlane_b32 s3, v1
	s_mul_i32 s7, s7, s3
	s_delay_alu instid0(SALU_CYCLE_1) | instskip(NEXT) | instid1(SALU_CYCLE_1)
	s_mul_hi_u32 s7, s3, s7
	s_add_i32 s3, s3, s7
	s_delay_alu instid0(SALU_CYCLE_1) | instskip(NEXT) | instid1(SALU_CYCLE_1)
	s_mul_hi_u32 s3, s12, s3
	s_mul_i32 s7, s3, s10
	s_add_i32 s11, s3, 1
	s_sub_i32 s7, s12, s7
	s_delay_alu instid0(SALU_CYCLE_1)
	s_sub_i32 s12, s7, s10
	s_cmp_ge_u32 s7, s10
	s_cselect_b32 s3, s11, s3
	s_cselect_b32 s7, s12, s7
	s_add_i32 s12, s3, 1
	s_cmp_ge_u32 s7, s10
	s_mov_b32 s11, 0
	s_cselect_b32 s10, s12, s3
	s_delay_alu instid0(SALU_CYCLE_1)
	v_dual_mov_b32 v1, s10 :: v_dual_mov_b32 v2, s11
.LBB100_33:
	s_delay_alu instid0(VALU_DEP_1) | instskip(NEXT) | instid1(VALU_DEP_2)
	v_add_co_u32 v1, vcc_lo, v1, v15
	v_add_co_ci_u32_e32 v2, vcc_lo, 0, v2, vcc_lo
	s_branch .LBB100_36
.LBB100_34:
                                        ; implicit-def: $vgpr1_vgpr2
	s_cbranch_execz .LBB100_36
; %bb.35:
	v_mul_lo_u32 v1, v15, s4
	s_delay_alu instid0(VALU_DEP_1) | instskip(SKIP_1) | instid1(VALU_DEP_2)
	v_ashrrev_i32_e32 v2, 31, v1
	v_add_co_u32 v1, vcc_lo, v1, s20
	v_add_co_ci_u32_e32 v2, vcc_lo, 0, v2, vcc_lo
.LBB100_36:
	s_mov_b32 s3, exec_lo
.LBB100_37:
	s_or_b32 exec_lo, exec_lo, s14
	s_delay_alu instid0(SALU_CYCLE_1)
	s_and_b32 vcc_lo, exec_lo, s15
	s_cbranch_vccz .LBB100_41
.LBB100_38:
	v_mov_b32_dpp v1, v13 quad_perm:[1,0,3,2] row_mask:0xf bank_mask:0xf
	s_delay_alu instid0(VALU_DEP_1) | instskip(SKIP_1) | instid1(VALU_DEP_1)
	v_cmp_gt_f32_e32 vcc_lo, v13, v1
	v_cndmask_b32_e32 v1, v1, v13, vcc_lo
	v_mov_b32_dpp v2, v1 quad_perm:[2,3,0,1] row_mask:0xf bank_mask:0xf
	s_delay_alu instid0(VALU_DEP_1) | instskip(SKIP_1) | instid1(VALU_DEP_1)
	v_cmp_gt_f32_e32 vcc_lo, v1, v2
	v_cndmask_b32_e32 v1, v2, v1, vcc_lo
	v_mov_b32_dpp v2, v1 row_xmask:7 row_mask:0xf bank_mask:0xf
	s_delay_alu instid0(VALU_DEP_1) | instskip(SKIP_1) | instid1(VALU_DEP_1)
	v_cmp_gt_f32_e32 vcc_lo, v1, v2
	v_cndmask_b32_e32 v1, v2, v1, vcc_lo
	v_mov_b32_dpp v2, v1 row_xmask:15 row_mask:0xf bank_mask:0xf
	s_delay_alu instid0(VALU_DEP_1)
	v_cmp_gt_f32_e32 vcc_lo, v1, v2
	s_and_saveexec_b32 s3, s2
	s_cbranch_execz .LBB100_40
; %bb.39:
	v_cndmask_b32_e32 v1, v2, v1, vcc_lo
	v_lshrrev_b32_e32 v2, 3, v0
	s_mov_b32 s2, 0x76543210
	s_delay_alu instid0(VALU_DEP_1) | instskip(NEXT) | instid1(VALU_DEP_3)
	v_and_b32_e32 v2, 0x7c, v2
	v_permlanex16_b32 v13, v1, s2, 0xfedcba98 op_sel:[1,1]
	s_delay_alu instid0(VALU_DEP_1)
	v_cmp_gt_f32_e32 vcc_lo, v1, v13
	v_cndmask_b32_e32 v1, v13, v1, vcc_lo
	ds_store_b32 v2, v1
.LBB100_40:
	s_or_b32 exec_lo, exec_lo, s3
	s_waitcnt lgkmcnt(0)
	s_barrier
	buffer_gl0_inv
	ds_load_b32 v1, v6
	v_cmp_eq_u32_e64 s3, 0, v0
	s_waitcnt lgkmcnt(0)
	v_mov_b32_dpp v2, v1 quad_perm:[1,0,3,2] row_mask:0xf bank_mask:0xf
	s_delay_alu instid0(VALU_DEP_1) | instskip(SKIP_1) | instid1(VALU_DEP_1)
	v_cmp_gt_f32_e32 vcc_lo, v1, v2
	v_cndmask_b32_e32 v1, v2, v1, vcc_lo
	v_mov_b32_dpp v2, v1 quad_perm:[2,3,0,1] row_mask:0xf bank_mask:0xf
	s_delay_alu instid0(VALU_DEP_1) | instskip(SKIP_1) | instid1(VALU_DEP_1)
	v_cmp_gt_f32_e32 vcc_lo, v1, v2
	v_cndmask_b32_e32 v1, v2, v1, vcc_lo
	v_mov_b32_dpp v2, v1 row_xmask:7 row_mask:0xf bank_mask:0xf
	s_delay_alu instid0(VALU_DEP_1) | instskip(SKIP_1) | instid1(VALU_DEP_1)
	v_cmp_gt_f32_e32 vcc_lo, v1, v2
	v_cndmask_b32_e32 v1, v2, v1, vcc_lo
	v_dual_mul_f32 v14, 0x3c010204, v1 :: v_dual_mov_b32 v1, s20
	v_mov_b32_e32 v2, s21
.LBB100_41:
	s_and_saveexec_b32 s2, s3
	s_cbranch_execz .LBB100_43
; %bb.42:
	s_delay_alu instid0(VALU_DEP_1) | instskip(NEXT) | instid1(VALU_DEP_1)
	v_lshlrev_b64 v[0:1], 2, v[1:2]
	v_add_co_u32 v0, vcc_lo, s8, v0
	s_delay_alu instid0(VALU_DEP_2)
	v_add_co_ci_u32_e32 v1, vcc_lo, s9, v1, vcc_lo
	global_store_b32 v[0:1], v14, off
.LBB100_43:
	s_or_b32 exec_lo, exec_lo, s2
	;;#ASMSTART
	v_rcp_f32 v0, v14
	;;#ASMEND
	v_mul_f32_e32 v7, v7, v0
	v_mul_f32_e32 v1, v12, v0
	;; [unrolled: 1-line block ×4, first 2 shown]
	s_load_b64 s[0:1], s[0:1], 0x0
	v_cvt_i32_f32_e32 v7, v7
	v_mul_f32_e32 v2, v11, v0
	v_cvt_i32_f32_e32 v1, v1
	v_mul_f32_e32 v6, v9, v0
	v_cvt_i32_f32_e32 v4, v4
	v_and_b32_e32 v7, 0xff, v7
	v_cvt_i32_f32_e32 v2, v2
	v_and_b32_e32 v1, 0xff, v1
	s_add_i32 s2, s5, 3
	v_lshlrev_b16 v4, 8, v4
	s_ashr_i32 s3, s2, 31
	v_lshlrev_b16 v2, 8, v2
	s_lshr_b32 s3, s3, 30
	s_mul_hi_u32 s4, s6, s20
	s_add_i32 s2, s2, s3
	s_ashr_i32 s3, s6, 31
	v_or_b32_e32 v1, v1, v2
	v_mul_f32_e32 v9, v10, v0
	v_mul_f32_e32 v0, v3, v0
	v_cvt_i32_f32_e32 v3, v6
	s_mul_i32 s3, s3, s20
	s_mul_i32 s5, s6, s20
	s_and_b32 s2, s2, -4
	v_cvt_i32_f32_e32 v0, v0
	v_and_b32_e32 v3, 0xff, v3
	v_cvt_i32_f32_e32 v6, v8
	s_add_i32 s4, s4, s3
	s_waitcnt lgkmcnt(0)
	s_add_u32 s0, s0, s5
	v_and_b32_e32 v0, 0xff, v0
	s_addc_u32 s1, s1, s4
	v_lshlrev_b16 v6, 8, v6
	s_and_b32 s1, s1, 0xffff
	s_mov_b32 s3, -1
	v_or_b32_e32 v0, v0, v4
	v_and_b32_e32 v4, 0xffff, v1
	v_cvt_i32_f32_e32 v8, v9
	v_or_b32_e32 v6, v7, v6
	s_delay_alu instid0(VALU_DEP_4) | instskip(NEXT) | instid1(VALU_DEP_3)
	v_lshlrev_b32_e32 v0, 16, v0
	v_lshlrev_b16 v8, 8, v8
	s_delay_alu instid0(VALU_DEP_1) | instskip(NEXT) | instid1(VALU_DEP_4)
	v_or_b32_e32 v2, v3, v8
	v_and_b32_e32 v3, 0xffff, v6
	s_delay_alu instid0(VALU_DEP_2) | instskip(NEXT) | instid1(VALU_DEP_2)
	v_lshlrev_b32_e32 v2, 16, v2
	v_or_b32_e32 v1, v3, v0
	s_delay_alu instid0(VALU_DEP_2)
	v_or_b32_e32 v0, v4, v2
	buffer_store_b64 v[0:1], v5, s[0:3], 0 offen
	;;#ASMSTART
	s_nop 0
	;;#ASMEND
.LBB100_44:
	s_nop 0
	s_sendmsg sendmsg(MSG_DEALLOC_VGPRS)
	s_endpgm
.LBB100_45:
                                        ; implicit-def: $vgpr1_vgpr2
	s_branch .LBB100_32
	.section	.rodata,"a",@progbits
	.p2align	6, 0x0
	.amdhsa_kernel _ZN5aiter24add_rmsnorm_quant_kernelItaLi256ELi8ELb0ELb1ELb0ELi1EEEvPT0_PT_PfS4_S4_S4_diiiiiiib
		.amdhsa_group_segment_fixed_size 64
		.amdhsa_private_segment_fixed_size 0
		.amdhsa_kernarg_size 88
		.amdhsa_user_sgpr_count 15
		.amdhsa_user_sgpr_dispatch_ptr 0
		.amdhsa_user_sgpr_queue_ptr 0
		.amdhsa_user_sgpr_kernarg_segment_ptr 1
		.amdhsa_user_sgpr_dispatch_id 0
		.amdhsa_user_sgpr_private_segment_size 0
		.amdhsa_wavefront_size32 1
		.amdhsa_uses_dynamic_stack 0
		.amdhsa_enable_private_segment 0
		.amdhsa_system_sgpr_workgroup_id_x 1
		.amdhsa_system_sgpr_workgroup_id_y 0
		.amdhsa_system_sgpr_workgroup_id_z 0
		.amdhsa_system_sgpr_workgroup_info 0
		.amdhsa_system_vgpr_workitem_id 0
		.amdhsa_next_free_vgpr 23
		.amdhsa_next_free_sgpr 29
		.amdhsa_reserve_vcc 1
		.amdhsa_float_round_mode_32 0
		.amdhsa_float_round_mode_16_64 0
		.amdhsa_float_denorm_mode_32 3
		.amdhsa_float_denorm_mode_16_64 3
		.amdhsa_dx10_clamp 1
		.amdhsa_ieee_mode 1
		.amdhsa_fp16_overflow 0
		.amdhsa_workgroup_processor_mode 1
		.amdhsa_memory_ordered 1
		.amdhsa_forward_progress 0
		.amdhsa_shared_vgpr_count 0
		.amdhsa_exception_fp_ieee_invalid_op 0
		.amdhsa_exception_fp_denorm_src 0
		.amdhsa_exception_fp_ieee_div_zero 0
		.amdhsa_exception_fp_ieee_overflow 0
		.amdhsa_exception_fp_ieee_underflow 0
		.amdhsa_exception_fp_ieee_inexact 0
		.amdhsa_exception_int_div_zero 0
	.end_amdhsa_kernel
	.section	.text._ZN5aiter24add_rmsnorm_quant_kernelItaLi256ELi8ELb0ELb1ELb0ELi1EEEvPT0_PT_PfS4_S4_S4_diiiiiiib,"axG",@progbits,_ZN5aiter24add_rmsnorm_quant_kernelItaLi256ELi8ELb0ELb1ELb0ELi1EEEvPT0_PT_PfS4_S4_S4_diiiiiiib,comdat
.Lfunc_end100:
	.size	_ZN5aiter24add_rmsnorm_quant_kernelItaLi256ELi8ELb0ELb1ELb0ELi1EEEvPT0_PT_PfS4_S4_S4_diiiiiiib, .Lfunc_end100-_ZN5aiter24add_rmsnorm_quant_kernelItaLi256ELi8ELb0ELb1ELb0ELi1EEEvPT0_PT_PfS4_S4_S4_diiiiiiib
                                        ; -- End function
	.section	.AMDGPU.csdata,"",@progbits
; Kernel info:
; codeLenInByte = 3300
; NumSgprs: 31
; NumVgprs: 23
; ScratchSize: 0
; MemoryBound: 0
; FloatMode: 240
; IeeeMode: 1
; LDSByteSize: 64 bytes/workgroup (compile time only)
; SGPRBlocks: 3
; VGPRBlocks: 2
; NumSGPRsForWavesPerEU: 31
; NumVGPRsForWavesPerEU: 23
; Occupancy: 16
; WaveLimiterHint : 0
; COMPUTE_PGM_RSRC2:SCRATCH_EN: 0
; COMPUTE_PGM_RSRC2:USER_SGPR: 15
; COMPUTE_PGM_RSRC2:TRAP_HANDLER: 0
; COMPUTE_PGM_RSRC2:TGID_X_EN: 1
; COMPUTE_PGM_RSRC2:TGID_Y_EN: 0
; COMPUTE_PGM_RSRC2:TGID_Z_EN: 0
; COMPUTE_PGM_RSRC2:TIDIG_COMP_CNT: 0
	.section	.text._ZN5aiter24add_rmsnorm_quant_kernelIDF16_aLi256ELi16ELb0ELb1ELb1ELi1EEEvPT0_PT_PfS4_S4_S4_diiiiiiib,"axG",@progbits,_ZN5aiter24add_rmsnorm_quant_kernelIDF16_aLi256ELi16ELb0ELb1ELb1ELi1EEEvPT0_PT_PfS4_S4_S4_diiiiiiib,comdat
	.protected	_ZN5aiter24add_rmsnorm_quant_kernelIDF16_aLi256ELi16ELb0ELb1ELb1ELi1EEEvPT0_PT_PfS4_S4_S4_diiiiiiib ; -- Begin function _ZN5aiter24add_rmsnorm_quant_kernelIDF16_aLi256ELi16ELb0ELb1ELb1ELi1EEEvPT0_PT_PfS4_S4_S4_diiiiiiib
	.globl	_ZN5aiter24add_rmsnorm_quant_kernelIDF16_aLi256ELi16ELb0ELb1ELb1ELi1EEEvPT0_PT_PfS4_S4_S4_diiiiiiib
	.p2align	8
	.type	_ZN5aiter24add_rmsnorm_quant_kernelIDF16_aLi256ELi16ELb0ELb1ELb1ELi1EEEvPT0_PT_PfS4_S4_S4_diiiiiiib,@function
_ZN5aiter24add_rmsnorm_quant_kernelIDF16_aLi256ELi16ELb0ELb1ELb1ELi1EEEvPT0_PT_PfS4_S4_S4_diiiiiiib: ; @_ZN5aiter24add_rmsnorm_quant_kernelIDF16_aLi256ELi16ELb0ELb1ELb1ELi1EEEvPT0_PT_PfS4_S4_S4_diiiiiiib
; %bb.0:
	s_load_b128 s[4:7], s[0:1], 0x38
	s_mov_b32 s20, s15
	s_mov_b32 s21, 0
	s_waitcnt lgkmcnt(0)
	s_ashr_i32 s3, s4, 31
	s_mov_b32 s2, s4
	s_delay_alu instid0(SALU_CYCLE_1) | instskip(NEXT) | instid1(VALU_DEP_1)
	v_cmp_ge_i64_e64 s2, s[20:21], s[2:3]
	s_and_b32 vcc_lo, exec_lo, s2
	s_cbranch_vccnz .LBB101_44
; %bb.1:
	s_clause 0x1
	s_load_b128 s[8:11], s[0:1], 0x10
	s_load_b128 s[16:19], s[0:1], 0x28
	v_lshlrev_b32_e32 v22, 4, v0
	s_ashr_i32 s2, s6, 31
	s_mul_hi_u32 s3, s6, s20
	s_mul_i32 s7, s2, s20
	v_lshlrev_b32_e32 v1, 3, v0
	v_and_b32_e32 v2, 0x3e00, v22
	s_mul_i32 s2, s6, s20
	s_add_i32 s3, s3, s7
	s_mov_b32 s15, -1
	s_lshl_b64 s[2:3], s[2:3], 1
	v_and_or_b32 v9, 0xf8, v1, v2
	s_mov_b32 s27, s15
	s_delay_alu instid0(VALU_DEP_1)
	v_lshlrev_b32_e32 v1, 1, v9
	s_waitcnt lgkmcnt(0)
	s_add_u32 s12, s10, s2
	s_addc_u32 s2, s11, s3
	s_add_i32 s3, s5, 1
	s_and_b32 s13, s2, 0xffff
	s_lshr_b32 s6, s3, 31
	s_movk_i32 s2, 0x200
	s_add_i32 s3, s3, s6
	s_mov_b32 s24, s16
	s_lshl_b32 s3, s3, 1
	s_and_b32 s25, s17, 0xffff
	s_and_b32 s14, s3, -4
	s_clause 0x1
	buffer_load_b128 v[13:16], v1, s[12:15], 0 offen glc slc
	buffer_load_b128 v[17:20], v1, s[12:15], s2 offen glc slc
	s_mov_b32 s26, s14
	s_waitcnt vmcnt(1)
	v_lshrrev_b32_e32 v10, 16, v13
	v_cvt_f32_f16_e32 v12, v14
	v_lshrrev_b32_e32 v23, 16, v15
	v_lshrrev_b32_e32 v25, 16, v16
	s_waitcnt vmcnt(0)
	v_lshrrev_b32_e32 v28, 16, v17
	v_cvt_f32_f16_e32 v11, v10
	v_lshrrev_b32_e32 v30, 16, v18
	v_lshrrev_b32_e32 v31, 16, v19
	v_cvt_f32_f16_e32 v26, v23
	s_delay_alu instid0(VALU_DEP_4) | instskip(NEXT) | instid1(VALU_DEP_4)
	v_mul_f32_e32 v10, v11, v11
	v_cvt_f32_f16_e32 v23, v30
	s_delay_alu instid0(VALU_DEP_2) | instskip(SKIP_1) | instid1(VALU_DEP_2)
	v_fma_mix_f32 v10, v13, v13, v10 op_sel_hi:[1,1,0]
	v_cvt_f32_f16_e32 v13, v13
	v_fma_mix_f32 v10, v14, v14, v10 op_sel_hi:[1,1,0]
	s_delay_alu instid0(VALU_DEP_1) | instskip(NEXT) | instid1(VALU_DEP_1)
	v_fma_mix_f32 v10, v14, v14, v10 op_sel:[1,1,0] op_sel_hi:[1,1,0]
	v_fma_mix_f32 v10, v15, v15, v10 op_sel_hi:[1,1,0]
	s_delay_alu instid0(VALU_DEP_1) | instskip(NEXT) | instid1(VALU_DEP_1)
	v_fma_mix_f32 v10, v15, v15, v10 op_sel:[1,1,0] op_sel_hi:[1,1,0]
	;; [unrolled: 3-line block ×7, first 2 shown]
	v_mov_b32_dpp v21, v10 quad_perm:[1,0,3,2] row_mask:0xf bank_mask:0xf
	s_delay_alu instid0(VALU_DEP_1)
	v_dual_add_f32 v10, v10, v21 :: v_dual_and_b32 v29, 31, v0
	v_lshrrev_b32_e32 v21, 16, v14
	v_cvt_f32_f16_e32 v14, v15
	v_cvt_f32_f16_e32 v15, v16
	;; [unrolled: 1-line block ×3, first 2 shown]
	v_mov_b32_dpp v24, v10 quad_perm:[2,3,0,1] row_mask:0xf bank_mask:0xf
	v_cvt_f32_f16_e32 v17, v18
	v_cvt_f32_f16_e32 v18, v19
	;; [unrolled: 1-line block ×3, first 2 shown]
	v_lshrrev_b32_e32 v20, 16, v20
	v_add_f32_e32 v10, v10, v24
	s_clause 0x1
	buffer_load_b128 v[5:8], v1, s[24:27], 0 offen
	buffer_load_b128 v[1:4], v1, s[24:27], s2 offen
	v_cvt_f32_f16_e32 v27, v21
	v_cvt_f32_f16_e32 v24, v25
	;; [unrolled: 1-line block ×3, first 2 shown]
	v_mov_b32_dpp v32, v10 row_xmask:7 row_mask:0xf bank_mask:0xf
	v_cvt_f32_f16_e32 v21, v31
	v_cvt_f32_f16_e32 v20, v20
	v_cmp_eq_u32_e64 s2, 31, v29
	s_delay_alu instid0(VALU_DEP_4) | instskip(NEXT) | instid1(VALU_DEP_1)
	v_add_f32_e32 v10, v10, v32
	v_mov_b32_dpp v28, v10 row_xmask:15 row_mask:0xf bank_mask:0xf
	s_delay_alu instid0(VALU_DEP_3)
	s_and_saveexec_b32 s3, s2
	s_cbranch_execz .LBB101_3
; %bb.2:
	s_delay_alu instid0(VALU_DEP_1) | instskip(SKIP_2) | instid1(VALU_DEP_2)
	v_add_f32_e32 v10, v10, v28
	s_mov_b32 s6, 0x76543210
	v_lshrrev_b32_e32 v28, 3, v0
	v_permlanex16_b32 v29, v10, s6, 0xfedcba98 op_sel:[1,1]
	s_delay_alu instid0(VALU_DEP_2) | instskip(NEXT) | instid1(VALU_DEP_2)
	v_and_b32_e32 v28, 0x7c, v28
	v_add_f32_e32 v10, v10, v29
	ds_store_b32 v28, v10 offset:32
.LBB101_3:
	s_or_b32 exec_lo, exec_lo, s3
	v_and_b32_e32 v10, 7, v0
	s_waitcnt vmcnt(0) lgkmcnt(0)
	s_barrier
	buffer_gl0_inv
	v_cvt_f32_i32_e32 v30, s5
	v_dual_mov_b32 v37, 0x2edbe6ff :: v_dual_lshlrev_b32 v10, 2, v10
	v_cvt_f32_f16_e32 v35, v3
	v_lshrrev_b32_e32 v3, 16, v3
	v_cvt_f32_f16_e32 v36, v4
	ds_load_b32 v28, v10 offset:32
	s_clause 0x1
	s_load_b64 s[6:7], s[0:1], 0x4c
	s_load_b32 s10, s[0:1], 0x54
	v_lshrrev_b32_e32 v4, 16, v4
	v_cvt_f32_f16_e32 v3, v3
	s_delay_alu instid0(VALU_DEP_2) | instskip(SKIP_3) | instid1(VALU_DEP_1)
	v_cvt_f32_f16_e32 v4, v4
	s_waitcnt lgkmcnt(0)
	s_cmp_lg_u32 s7, 0
	v_mov_b32_dpp v29, v28 quad_perm:[1,0,3,2] row_mask:0xf bank_mask:0xf
	v_add_f32_e32 v28, v28, v29
	s_delay_alu instid0(VALU_DEP_1) | instskip(NEXT) | instid1(VALU_DEP_1)
	v_mov_b32_dpp v29, v28 quad_perm:[2,3,0,1] row_mask:0xf bank_mask:0xf
	v_add_f32_e32 v28, v28, v29
	s_delay_alu instid0(VALU_DEP_1) | instskip(NEXT) | instid1(VALU_DEP_1)
	v_mov_b32_dpp v29, v28 row_xmask:7 row_mask:0xf bank_mask:0xf
	v_add_f32_e32 v28, v28, v29
	s_delay_alu instid0(VALU_DEP_1) | instskip(SKIP_1) | instid1(VALU_DEP_2)
	v_div_scale_f32 v29, null, v30, v30, v28
	v_div_scale_f32 v33, vcc_lo, v28, v30, v28
	v_rcp_f32_e32 v31, v29
	s_waitcnt_depctr 0xfff
	v_fma_f32 v32, -v29, v31, 1.0
	s_delay_alu instid0(VALU_DEP_1) | instskip(NEXT) | instid1(VALU_DEP_1)
	v_fmac_f32_e32 v31, v32, v31
	v_mul_f32_e32 v32, v33, v31
	s_delay_alu instid0(VALU_DEP_1) | instskip(NEXT) | instid1(VALU_DEP_1)
	v_fma_f32 v34, -v29, v32, v33
	v_fmac_f32_e32 v32, v34, v31
	v_cvt_f32_f16_e32 v34, v2
	v_lshrrev_b32_e32 v2, 16, v2
	s_delay_alu instid0(VALU_DEP_3) | instskip(SKIP_2) | instid1(VALU_DEP_4)
	v_fma_f32 v29, -v29, v32, v33
	v_cvt_f32_f16_e32 v33, v1
	v_lshrrev_b32_e32 v1, 16, v1
	v_cvt_f32_f16_e32 v2, v2
	s_delay_alu instid0(VALU_DEP_4)
	v_div_fmas_f32 v29, v29, v31, v32
	v_cvt_f32_f16_e32 v31, v6
	v_lshrrev_b32_e32 v6, 16, v6
	v_cvt_f32_f16_e32 v1, v1
	v_cvt_f32_f16_e32 v32, v8
	v_div_fixup_f32 v28, v29, v30, v28
	v_lshrrev_b32_e32 v8, 16, v8
	v_cvt_f32_f16_e32 v6, v6
	s_delay_alu instid0(VALU_DEP_3) | instskip(NEXT) | instid1(VALU_DEP_3)
	v_cvt_f64_f32_e32 v[28:29], v28
	v_cvt_f32_f16_e32 v8, v8
	s_delay_alu instid0(VALU_DEP_2) | instskip(NEXT) | instid1(VALU_DEP_1)
	v_add_f64 v[28:29], v[28:29], s[18:19]
	v_cvt_f32_f64_e32 v28, v[28:29]
	v_cvt_f32_f16_e32 v29, v5
	v_lshrrev_b32_e32 v5, 16, v5
	s_delay_alu instid0(VALU_DEP_1) | instskip(NEXT) | instid1(VALU_DEP_4)
	v_cvt_f32_f16_e32 v5, v5
	v_mul_f32_e32 v30, 0x4b800000, v28
	v_cmp_gt_f32_e32 vcc_lo, 0x800000, v28
	s_delay_alu instid0(VALU_DEP_2) | instskip(SKIP_2) | instid1(VALU_DEP_3)
	v_cndmask_b32_e32 v28, v28, v30, vcc_lo
	v_cvt_f32_f16_e32 v30, v7
	v_lshrrev_b32_e32 v7, 16, v7
	v_rsq_f32_e32 v28, v28
	s_delay_alu instid0(VALU_DEP_1) | instskip(SKIP_2) | instid1(VALU_DEP_1)
	v_cvt_f32_f16_e32 v7, v7
	s_waitcnt_depctr 0xfff
	v_mul_f32_e32 v38, 0x45800000, v28
	v_cndmask_b32_e32 v28, v28, v38, vcc_lo
	s_delay_alu instid0(VALU_DEP_1) | instskip(SKIP_3) | instid1(VALU_DEP_4)
	v_mul_f32_e32 v13, v28, v13
	v_mul_f32_e32 v27, v28, v27
	;; [unrolled: 1-line block ×4, first 2 shown]
	v_dual_mul_f32 v38, v28, v14 :: v_dual_mul_f32 v19, v13, v29
	v_mul_f32_e32 v26, v28, v26
	v_mul_f32_e32 v25, v28, v25
	;; [unrolled: 1-line block ×13, first 2 shown]
	v_dual_mul_f32 v20, v11, v5 :: v_dual_mul_f32 v5, v41, v35
	v_mul_f32_e32 v14, v12, v31
	v_dual_mul_f32 v12, v25, v1 :: v_dual_and_b32 v1, 0x7fffffff, v19
	v_dual_mul_f32 v18, v26, v7 :: v_dual_mul_f32 v15, v15, v32
	s_delay_alu instid0(VALU_DEP_3) | instskip(SKIP_3) | instid1(VALU_DEP_4)
	v_dual_mul_f32 v16, v24, v8 :: v_dual_and_b32 v21, 0x7fffffff, v14
	v_dual_mul_f32 v8, v23, v2 :: v_dual_and_b32 v23, 0x7fffffff, v13
	v_mul_f32_e32 v3, v42, v36
	v_mul_f32_e32 v17, v38, v30
	v_and_b32_e32 v27, 0x7fffffff, v16
	v_dual_mul_f32 v11, v39, v33 :: v_dual_and_b32 v2, 0x7fffffff, v20
	v_and_b32_e32 v25, 0x7fffffff, v18
	v_mul_f32_e32 v7, v40, v34
	;;#ASMSTART
	v_max3_f32 v1, v37, v1, v2

	;;#ASMEND
	v_dual_mul_f32 v4, v28, v4 :: v_dual_and_b32 v33, 0x7fffffff, v6
	;;#ASMSTART
	v_max3_f32 v1, v1, v21, v23

	;;#ASMEND
	v_and_b32_e32 v24, 0x7fffffff, v17
	;;#ASMSTART
	v_max3_f32 v1, v1, v24, v25

	;;#ASMEND
	v_and_b32_e32 v26, 0x7fffffff, v15
	;;#ASMSTART
	v_max3_f32 v1, v1, v26, v27

	;;#ASMEND
	v_and_b32_e32 v28, 0x7fffffff, v11
	v_and_b32_e32 v29, 0x7fffffff, v12
	;;#ASMSTART
	v_max3_f32 v1, v1, v28, v29

	;;#ASMEND
	v_and_b32_e32 v30, 0x7fffffff, v7
	v_and_b32_e32 v31, 0x7fffffff, v8
	;;#ASMSTART
	v_max3_f32 v1, v1, v30, v31

	;;#ASMEND
	v_and_b32_e32 v32, 0x7fffffff, v5
	v_and_b32_e32 v34, 0x7fffffff, v3
	;; [unrolled: 1-line block ×3, first 2 shown]
	;;#ASMSTART
	v_max3_f32 v1, v1, v32, v33

	;;#ASMEND
	;;#ASMSTART
	v_max3_f32 v21, v1, v34, v35

	;;#ASMEND
	s_cbranch_scc0 .LBB101_10
; %bb.4:
	s_ashr_i32 s11, s7, 31
	s_delay_alu instid0(SALU_CYCLE_1) | instskip(NEXT) | instid1(SALU_CYCLE_1)
	s_lshr_b32 s3, s11, 28
	s_add_i32 s3, s7, s3
	s_delay_alu instid0(SALU_CYCLE_1) | instskip(NEXT) | instid1(SALU_CYCLE_1)
	s_ashr_i32 s3, s3, 4
	s_cmp_lt_i32 s3, 8
	s_cbranch_scc1 .LBB101_11
; %bb.5:
	s_cmp_lt_i32 s3, 16
	s_cbranch_scc1 .LBB101_12
; %bb.6:
	;; [unrolled: 3-line block ×3, first 2 shown]
	v_mov_b32_e32 v1, v21
	s_cmp_eq_u32 s3, 32
	s_cbranch_scc0 .LBB101_9
; %bb.8:
	s_delay_alu instid0(VALU_DEP_1) | instskip(SKIP_1) | instid1(VALU_DEP_1)
	v_mov_b32_dpp v1, v21 quad_perm:[1,0,3,2] row_mask:0xf bank_mask:0xf
	s_mov_b32 s12, 0x76543210
	v_cmp_gt_f32_e32 vcc_lo, v21, v1
	v_cndmask_b32_e32 v1, v1, v21, vcc_lo
	s_delay_alu instid0(VALU_DEP_1) | instskip(NEXT) | instid1(VALU_DEP_1)
	v_mov_b32_dpp v2, v1 quad_perm:[2,3,0,1] row_mask:0xf bank_mask:0xf
	v_cmp_gt_f32_e32 vcc_lo, v1, v2
	v_cndmask_b32_e32 v1, v2, v1, vcc_lo
	s_delay_alu instid0(VALU_DEP_1) | instskip(NEXT) | instid1(VALU_DEP_1)
	v_mov_b32_dpp v2, v1 row_xmask:7 row_mask:0xf bank_mask:0xf
	v_cmp_gt_f32_e32 vcc_lo, v1, v2
	v_cndmask_b32_e32 v1, v2, v1, vcc_lo
	s_delay_alu instid0(VALU_DEP_1) | instskip(NEXT) | instid1(VALU_DEP_1)
	v_mov_b32_dpp v2, v1 row_xmask:15 row_mask:0xf bank_mask:0xf
	v_cmp_gt_f32_e32 vcc_lo, v1, v2
	v_cndmask_b32_e32 v1, v2, v1, vcc_lo
	s_delay_alu instid0(VALU_DEP_1) | instskip(NEXT) | instid1(VALU_DEP_1)
	v_permlanex16_b32 v2, v1, s12, 0xfedcba98 op_sel:[1,1]
	v_cmp_gt_f32_e32 vcc_lo, v1, v2
	v_cndmask_b32_e32 v1, v2, v1, vcc_lo
.LBB101_9:
	s_mov_b32 s12, 0
	s_branch .LBB101_14
.LBB101_10:
	s_mov_b32 s3, 0
                                        ; implicit-def: $vgpr22
                                        ; implicit-def: $vgpr1_vgpr2
	s_and_b32 vcc_lo, exec_lo, s15
	s_cbranch_vccnz .LBB101_38
	s_branch .LBB101_41
.LBB101_11:
                                        ; implicit-def: $vgpr1
	s_branch .LBB101_21
.LBB101_12:
                                        ; implicit-def: $vgpr1
	s_branch .LBB101_18
.LBB101_13:
	s_mov_b32 s12, -1
                                        ; implicit-def: $vgpr1
.LBB101_14:
	s_delay_alu instid0(SALU_CYCLE_1)
	s_and_not1_b32 vcc_lo, exec_lo, s12
	s_cbranch_vccnz .LBB101_17
; %bb.15:
	v_mov_b32_e32 v1, v21
	s_cmp_eq_u32 s3, 16
	s_cbranch_scc0 .LBB101_17
; %bb.16:
	s_delay_alu instid0(VALU_DEP_1) | instskip(NEXT) | instid1(VALU_DEP_1)
	v_mov_b32_dpp v1, v21 quad_perm:[1,0,3,2] row_mask:0xf bank_mask:0xf
	v_cmp_gt_f32_e32 vcc_lo, v21, v1
	v_cndmask_b32_e32 v1, v1, v21, vcc_lo
	s_delay_alu instid0(VALU_DEP_1) | instskip(NEXT) | instid1(VALU_DEP_1)
	v_mov_b32_dpp v2, v1 quad_perm:[2,3,0,1] row_mask:0xf bank_mask:0xf
	v_cmp_gt_f32_e32 vcc_lo, v1, v2
	v_cndmask_b32_e32 v1, v2, v1, vcc_lo
	s_delay_alu instid0(VALU_DEP_1) | instskip(NEXT) | instid1(VALU_DEP_1)
	v_mov_b32_dpp v2, v1 row_half_mirror row_mask:0xf bank_mask:0xf
	v_cmp_gt_f32_e32 vcc_lo, v1, v2
	v_cndmask_b32_e32 v1, v2, v1, vcc_lo
	s_delay_alu instid0(VALU_DEP_1) | instskip(NEXT) | instid1(VALU_DEP_1)
	v_mov_b32_dpp v2, v1 row_mirror row_mask:0xf bank_mask:0xf
	v_cmp_gt_f32_e32 vcc_lo, v1, v2
	v_cndmask_b32_e32 v1, v2, v1, vcc_lo
.LBB101_17:
	s_cbranch_execnz .LBB101_20
.LBB101_18:
	v_mov_b32_e32 v1, v21
	s_cmp_eq_u32 s3, 8
	s_cbranch_scc0 .LBB101_20
; %bb.19:
	s_delay_alu instid0(VALU_DEP_1) | instskip(NEXT) | instid1(VALU_DEP_1)
	v_mov_b32_dpp v1, v21 quad_perm:[1,0,3,2] row_mask:0xf bank_mask:0xf
	v_cmp_gt_f32_e32 vcc_lo, v21, v1
	v_cndmask_b32_e32 v1, v1, v21, vcc_lo
	s_delay_alu instid0(VALU_DEP_1) | instskip(NEXT) | instid1(VALU_DEP_1)
	v_mov_b32_dpp v2, v1 quad_perm:[2,3,0,1] row_mask:0xf bank_mask:0xf
	v_cmp_gt_f32_e32 vcc_lo, v1, v2
	v_cndmask_b32_e32 v1, v2, v1, vcc_lo
	s_delay_alu instid0(VALU_DEP_1) | instskip(NEXT) | instid1(VALU_DEP_1)
	v_mov_b32_dpp v2, v1 row_half_mirror row_mask:0xf bank_mask:0xf
	v_cmp_gt_f32_e32 vcc_lo, v1, v2
	v_cndmask_b32_e32 v1, v2, v1, vcc_lo
.LBB101_20:
	s_cbranch_execnz .LBB101_28
.LBB101_21:
	s_cmp_lt_i32 s3, 4
	s_cbranch_scc1 .LBB101_24
; %bb.22:
	v_mov_b32_e32 v1, v21
	s_cmp_eq_u32 s3, 4
	s_cbranch_scc0 .LBB101_25
; %bb.23:
	s_delay_alu instid0(VALU_DEP_1) | instskip(NEXT) | instid1(VALU_DEP_1)
	v_mov_b32_dpp v1, v21 quad_perm:[1,0,3,2] row_mask:0xf bank_mask:0xf
	v_cmp_gt_f32_e32 vcc_lo, v21, v1
	v_cndmask_b32_e32 v1, v1, v21, vcc_lo
	s_delay_alu instid0(VALU_DEP_1) | instskip(NEXT) | instid1(VALU_DEP_1)
	v_mov_b32_dpp v2, v1 quad_perm:[2,3,0,1] row_mask:0xf bank_mask:0xf
	v_cmp_gt_f32_e32 vcc_lo, v1, v2
	v_cndmask_b32_e32 v1, v2, v1, vcc_lo
	s_cbranch_execz .LBB101_26
	s_branch .LBB101_28
.LBB101_24:
                                        ; implicit-def: $vgpr1
	s_branch .LBB101_26
.LBB101_25:
	s_cbranch_execnz .LBB101_28
.LBB101_26:
	v_mov_b32_e32 v1, v21
	s_cmp_lg_u32 s3, 2
	s_cbranch_scc1 .LBB101_28
; %bb.27:
	s_delay_alu instid0(VALU_DEP_1) | instskip(NEXT) | instid1(VALU_DEP_1)
	v_mov_b32_dpp v1, v21 quad_perm:[1,0,3,2] row_mask:0xf bank_mask:0xf
	v_cmp_gt_f32_e32 vcc_lo, v21, v1
	v_cndmask_b32_e32 v1, v1, v21, vcc_lo
.LBB101_28:
	v_cvt_f32_u32_e32 v2, s3
	s_sub_i32 s12, 0, s3
	s_mov_b32 s15, 0
	s_delay_alu instid0(VALU_DEP_1) | instskip(SKIP_2) | instid1(VALU_DEP_1)
	v_rcp_iflag_f32_e32 v2, v2
	s_waitcnt_depctr 0xfff
	v_mul_f32_e32 v2, 0x4f7ffffe, v2
	v_cvt_u32_f32_e32 v2, v2
	s_delay_alu instid0(VALU_DEP_1) | instskip(NEXT) | instid1(VALU_DEP_1)
	v_mul_lo_u32 v23, s12, v2
	v_mul_hi_u32 v23, v2, v23
	s_delay_alu instid0(VALU_DEP_1) | instskip(NEXT) | instid1(VALU_DEP_1)
	v_add_nc_u32_e32 v2, v2, v23
	v_mul_hi_u32 v2, v0, v2
	s_delay_alu instid0(VALU_DEP_1) | instskip(SKIP_1) | instid1(VALU_DEP_2)
	v_mul_lo_u32 v23, v2, s3
	v_add_nc_u32_e32 v24, 1, v2
	v_sub_nc_u32_e32 v23, v0, v23
	s_delay_alu instid0(VALU_DEP_1) | instskip(SKIP_1) | instid1(VALU_DEP_2)
	v_subrev_nc_u32_e32 v25, s3, v23
	v_cmp_le_u32_e32 vcc_lo, s3, v23
	v_dual_cndmask_b32 v23, v23, v25 :: v_dual_cndmask_b32 v2, v2, v24
	s_delay_alu instid0(VALU_DEP_1) | instskip(NEXT) | instid1(VALU_DEP_2)
	v_cmp_le_u32_e32 vcc_lo, s3, v23
	v_add_nc_u32_e32 v24, 1, v2
	s_delay_alu instid0(VALU_DEP_1) | instskip(SKIP_2) | instid1(VALU_DEP_3)
	v_cndmask_b32_e32 v23, v2, v24, vcc_lo
	v_cmp_gt_u32_e32 vcc_lo, s5, v22
	v_mul_f32_e32 v22, 0x3c010204, v1
	v_mul_lo_u32 v2, v23, s3
	s_delay_alu instid0(VALU_DEP_1) | instskip(NEXT) | instid1(VALU_DEP_1)
	v_sub_nc_u32_e32 v2, v0, v2
	v_cmp_eq_u32_e64 s3, 0, v2
                                        ; implicit-def: $vgpr1_vgpr2
	s_delay_alu instid0(VALU_DEP_1) | instskip(SKIP_2) | instid1(SALU_CYCLE_1)
	s_and_b32 s12, s3, vcc_lo
	s_mov_b32 s3, 0
	s_and_saveexec_b32 s13, s12
	s_xor_b32 s14, exec_lo, s13
	s_cbranch_execz .LBB101_37
; %bb.29:
	s_bitcmp0_b32 s10, 0
	s_mov_b32 s16, 0
	s_cbranch_scc0 .LBB101_34
; %bb.30:
	s_ashr_i32 s3, s5, 31
	s_mul_hi_u32 s10, s5, s20
	s_mul_i32 s3, s3, s20
	s_mul_i32 s12, s5, s20
	s_add_i32 s13, s10, s3
	s_mov_b32 s10, s7
	s_delay_alu instid0(SALU_CYCLE_1) | instskip(NEXT) | instid1(SALU_CYCLE_1)
	s_or_b64 s[18:19], s[12:13], s[10:11]
	s_mov_b32 s17, s19
	s_delay_alu instid0(SALU_CYCLE_1)
	s_cmp_lg_u64 s[16:17], 0
	s_cbranch_scc0 .LBB101_45
; %bb.31:
	s_add_u32 s18, s10, s11
	s_mov_b32 s16, s11
	s_mov_b32 s17, s11
	s_addc_u32 s19, s11, s11
	s_delay_alu instid0(SALU_CYCLE_1) | instskip(NEXT) | instid1(SALU_CYCLE_1)
	s_xor_b64 s[18:19], s[18:19], s[16:17]
	v_cvt_f32_u32_e32 v1, s18
	v_cvt_f32_u32_e32 v2, s19
	s_sub_u32 s11, 0, s18
	s_subb_u32 s22, 0, s19
	s_delay_alu instid0(VALU_DEP_1) | instskip(NEXT) | instid1(VALU_DEP_1)
	v_fmamk_f32 v1, v2, 0x4f800000, v1
	v_rcp_f32_e32 v1, v1
	s_waitcnt_depctr 0xfff
	v_mul_f32_e32 v1, 0x5f7ffffc, v1
	s_delay_alu instid0(VALU_DEP_1) | instskip(NEXT) | instid1(VALU_DEP_1)
	v_mul_f32_e32 v2, 0x2f800000, v1
	v_trunc_f32_e32 v2, v2
	s_delay_alu instid0(VALU_DEP_1) | instskip(SKIP_1) | instid1(VALU_DEP_2)
	v_fmamk_f32 v1, v2, 0xcf800000, v1
	v_cvt_u32_f32_e32 v2, v2
	v_cvt_u32_f32_e32 v1, v1
	s_delay_alu instid0(VALU_DEP_2) | instskip(NEXT) | instid1(VALU_DEP_2)
	v_readfirstlane_b32 s3, v2
	v_readfirstlane_b32 s7, v1
	s_delay_alu instid0(VALU_DEP_2) | instskip(NEXT) | instid1(VALU_DEP_1)
	s_mul_i32 s23, s11, s3
	s_mul_hi_u32 s25, s11, s7
	s_mul_i32 s24, s22, s7
	s_add_i32 s23, s25, s23
	s_mul_i32 s26, s11, s7
	s_add_i32 s23, s23, s24
	s_mul_hi_u32 s25, s7, s26
	s_mul_hi_u32 s27, s3, s26
	s_mul_i32 s24, s3, s26
	s_mul_hi_u32 s26, s7, s23
	s_mul_i32 s7, s7, s23
	s_mul_hi_u32 s28, s3, s23
	s_add_u32 s7, s25, s7
	s_addc_u32 s25, 0, s26
	s_add_u32 s7, s7, s24
	s_mul_i32 s23, s3, s23
	s_addc_u32 s7, s25, s27
	s_addc_u32 s24, s28, 0
	s_add_u32 s7, s7, s23
	s_addc_u32 s23, 0, s24
	v_add_co_u32 v1, s7, v1, s7
	s_delay_alu instid0(VALU_DEP_1) | instskip(SKIP_1) | instid1(VALU_DEP_1)
	s_cmp_lg_u32 s7, 0
	s_addc_u32 s3, s3, s23
	v_readfirstlane_b32 s7, v1
	s_mul_i32 s23, s11, s3
	s_delay_alu instid0(VALU_DEP_1)
	s_mul_hi_u32 s24, s11, s7
	s_mul_i32 s22, s22, s7
	s_add_i32 s23, s24, s23
	s_mul_i32 s11, s11, s7
	s_add_i32 s23, s23, s22
	s_mul_hi_u32 s24, s3, s11
	s_mul_i32 s25, s3, s11
	s_mul_hi_u32 s11, s7, s11
	s_mul_hi_u32 s26, s7, s23
	s_mul_i32 s7, s7, s23
	s_mul_hi_u32 s22, s3, s23
	s_add_u32 s7, s11, s7
	s_addc_u32 s11, 0, s26
	s_add_u32 s7, s7, s25
	s_mul_i32 s23, s3, s23
	s_addc_u32 s7, s11, s24
	s_addc_u32 s11, s22, 0
	s_add_u32 s7, s7, s23
	s_addc_u32 s11, 0, s11
	v_add_co_u32 v1, s7, v1, s7
	s_delay_alu instid0(VALU_DEP_1) | instskip(SKIP_2) | instid1(VALU_DEP_1)
	s_cmp_lg_u32 s7, 0
	s_addc_u32 s3, s3, s11
	s_ashr_i32 s22, s13, 31
	v_readfirstlane_b32 s7, v1
	s_add_u32 s24, s12, s22
	s_mov_b32 s23, s22
	s_addc_u32 s25, s13, s22
	s_delay_alu instid0(SALU_CYCLE_1) | instskip(NEXT) | instid1(SALU_CYCLE_1)
	s_xor_b64 s[24:25], s[24:25], s[22:23]
	s_mul_i32 s13, s24, s3
	s_mul_hi_u32 s26, s24, s7
	s_mul_hi_u32 s11, s24, s3
	;; [unrolled: 1-line block ×3, first 2 shown]
	s_mul_i32 s7, s25, s7
	s_add_u32 s13, s26, s13
	s_addc_u32 s11, 0, s11
	s_mul_hi_u32 s27, s25, s3
	s_add_u32 s7, s13, s7
	s_mul_i32 s3, s25, s3
	s_addc_u32 s7, s11, s28
	s_addc_u32 s11, s27, 0
	s_add_u32 s7, s7, s3
	s_addc_u32 s11, 0, s11
	s_mul_i32 s27, s18, s7
	s_mul_hi_u32 s3, s18, s7
	s_mul_i32 s26, s18, s11
	v_sub_co_u32 v1, s24, s24, s27
	s_mul_i32 s13, s19, s7
	s_add_i32 s3, s3, s26
	s_delay_alu instid0(SALU_CYCLE_1) | instskip(NEXT) | instid1(VALU_DEP_1)
	s_add_i32 s3, s3, s13
	v_sub_co_u32 v2, s26, v1, s18
	s_sub_i32 s13, s25, s3
	s_cmp_lg_u32 s24, 0
	s_subb_u32 s13, s13, s19
	s_cmp_lg_u32 s26, 0
	v_cmp_le_u32_e32 vcc_lo, s18, v2
	s_subb_u32 s13, s13, 0
	s_delay_alu instid0(SALU_CYCLE_1)
	s_cmp_ge_u32 s13, s19
	v_cndmask_b32_e64 v2, 0, -1, vcc_lo
	s_cselect_b32 s26, -1, 0
	s_cmp_eq_u32 s13, s19
	s_cselect_b32 vcc_lo, -1, 0
	s_add_u32 s13, s7, 1
	v_cndmask_b32_e32 v2, s26, v2, vcc_lo
	s_addc_u32 s26, s11, 0
	s_add_u32 s27, s7, 2
	s_addc_u32 s28, s11, 0
	s_cmp_lg_u32 s24, 0
	v_cmp_le_u32_e32 vcc_lo, s18, v1
	s_subb_u32 s3, s25, s3
	v_mov_b32_e32 v24, s27
	s_cmp_ge_u32 s3, s19
	v_cndmask_b32_e64 v1, 0, -1, vcc_lo
	s_cselect_b32 s18, -1, 0
	s_cmp_eq_u32 s3, s19
	v_cmp_ne_u32_e32 vcc_lo, 0, v2
	v_mov_b32_e32 v2, s28
	s_cselect_b32 s3, -1, 0
	s_xor_b64 s[16:17], s[22:23], s[16:17]
	v_cndmask_b32_e64 v1, s18, v1, s3
	v_cndmask_b32_e32 v24, s13, v24, vcc_lo
	v_cndmask_b32_e32 v2, s26, v2, vcc_lo
	s_delay_alu instid0(VALU_DEP_3) | instskip(NEXT) | instid1(VALU_DEP_2)
	v_cmp_ne_u32_e32 vcc_lo, 0, v1
	v_cndmask_b32_e32 v1, s11, v2, vcc_lo
	s_delay_alu instid0(VALU_DEP_4) | instskip(NEXT) | instid1(VALU_DEP_2)
	v_cndmask_b32_e32 v2, s7, v24, vcc_lo
	v_xor_b32_e32 v24, s17, v1
	s_delay_alu instid0(VALU_DEP_2) | instskip(NEXT) | instid1(VALU_DEP_1)
	v_xor_b32_e32 v2, s16, v2
	v_sub_co_u32 v1, vcc_lo, v2, s16
	s_delay_alu instid0(VALU_DEP_3)
	v_subrev_co_ci_u32_e32 v2, vcc_lo, s17, v24, vcc_lo
	s_cbranch_execnz .LBB101_33
.LBB101_32:
	v_cvt_f32_u32_e32 v1, s10
	s_sub_i32 s7, 0, s10
	s_delay_alu instid0(VALU_DEP_1) | instskip(SKIP_2) | instid1(VALU_DEP_1)
	v_rcp_iflag_f32_e32 v1, v1
	s_waitcnt_depctr 0xfff
	v_mul_f32_e32 v1, 0x4f7ffffe, v1
	v_cvt_u32_f32_e32 v1, v1
	s_delay_alu instid0(VALU_DEP_1) | instskip(NEXT) | instid1(VALU_DEP_1)
	v_readfirstlane_b32 s3, v1
	s_mul_i32 s7, s7, s3
	s_delay_alu instid0(SALU_CYCLE_1) | instskip(NEXT) | instid1(SALU_CYCLE_1)
	s_mul_hi_u32 s7, s3, s7
	s_add_i32 s3, s3, s7
	s_delay_alu instid0(SALU_CYCLE_1) | instskip(NEXT) | instid1(SALU_CYCLE_1)
	s_mul_hi_u32 s3, s12, s3
	s_mul_i32 s7, s3, s10
	s_add_i32 s11, s3, 1
	s_sub_i32 s7, s12, s7
	s_delay_alu instid0(SALU_CYCLE_1)
	s_sub_i32 s12, s7, s10
	s_cmp_ge_u32 s7, s10
	s_cselect_b32 s3, s11, s3
	s_cselect_b32 s7, s12, s7
	s_add_i32 s12, s3, 1
	s_cmp_ge_u32 s7, s10
	s_mov_b32 s11, 0
	s_cselect_b32 s10, s12, s3
	s_delay_alu instid0(SALU_CYCLE_1)
	v_dual_mov_b32 v1, s10 :: v_dual_mov_b32 v2, s11
.LBB101_33:
	s_delay_alu instid0(VALU_DEP_1) | instskip(NEXT) | instid1(VALU_DEP_2)
	v_add_co_u32 v1, vcc_lo, v1, v23
	v_add_co_ci_u32_e32 v2, vcc_lo, 0, v2, vcc_lo
	s_branch .LBB101_36
.LBB101_34:
                                        ; implicit-def: $vgpr1_vgpr2
	s_cbranch_execz .LBB101_36
; %bb.35:
	v_mul_lo_u32 v1, v23, s4
	s_delay_alu instid0(VALU_DEP_1) | instskip(SKIP_1) | instid1(VALU_DEP_2)
	v_ashrrev_i32_e32 v2, 31, v1
	v_add_co_u32 v1, vcc_lo, v1, s20
	v_add_co_ci_u32_e32 v2, vcc_lo, 0, v2, vcc_lo
.LBB101_36:
	s_mov_b32 s3, exec_lo
.LBB101_37:
	s_or_b32 exec_lo, exec_lo, s14
	s_delay_alu instid0(SALU_CYCLE_1)
	s_and_b32 vcc_lo, exec_lo, s15
	s_cbranch_vccz .LBB101_41
.LBB101_38:
	v_mov_b32_dpp v1, v21 quad_perm:[1,0,3,2] row_mask:0xf bank_mask:0xf
	s_delay_alu instid0(VALU_DEP_1) | instskip(SKIP_1) | instid1(VALU_DEP_1)
	v_cmp_gt_f32_e32 vcc_lo, v21, v1
	v_cndmask_b32_e32 v1, v1, v21, vcc_lo
	v_mov_b32_dpp v2, v1 quad_perm:[2,3,0,1] row_mask:0xf bank_mask:0xf
	s_delay_alu instid0(VALU_DEP_1) | instskip(SKIP_1) | instid1(VALU_DEP_1)
	v_cmp_gt_f32_e32 vcc_lo, v1, v2
	v_cndmask_b32_e32 v1, v2, v1, vcc_lo
	v_mov_b32_dpp v2, v1 row_xmask:7 row_mask:0xf bank_mask:0xf
	s_delay_alu instid0(VALU_DEP_1) | instskip(SKIP_1) | instid1(VALU_DEP_1)
	v_cmp_gt_f32_e32 vcc_lo, v1, v2
	v_cndmask_b32_e32 v1, v2, v1, vcc_lo
	v_mov_b32_dpp v2, v1 row_xmask:15 row_mask:0xf bank_mask:0xf
	s_delay_alu instid0(VALU_DEP_1)
	v_cmp_gt_f32_e32 vcc_lo, v1, v2
	s_and_saveexec_b32 s3, s2
	s_cbranch_execz .LBB101_40
; %bb.39:
	v_cndmask_b32_e32 v1, v2, v1, vcc_lo
	v_lshrrev_b32_e32 v2, 3, v0
	s_mov_b32 s2, 0x76543210
	s_delay_alu instid0(VALU_DEP_1) | instskip(NEXT) | instid1(VALU_DEP_3)
	v_and_b32_e32 v2, 0x7c, v2
	v_permlanex16_b32 v21, v1, s2, 0xfedcba98 op_sel:[1,1]
	s_delay_alu instid0(VALU_DEP_1)
	v_cmp_gt_f32_e32 vcc_lo, v1, v21
	v_cndmask_b32_e32 v1, v21, v1, vcc_lo
	ds_store_b32 v2, v1
.LBB101_40:
	s_or_b32 exec_lo, exec_lo, s3
	s_waitcnt lgkmcnt(0)
	s_barrier
	buffer_gl0_inv
	ds_load_b32 v1, v10
	v_cmp_eq_u32_e64 s3, 0, v0
	s_waitcnt lgkmcnt(0)
	v_mov_b32_dpp v2, v1 quad_perm:[1,0,3,2] row_mask:0xf bank_mask:0xf
	s_delay_alu instid0(VALU_DEP_1) | instskip(SKIP_1) | instid1(VALU_DEP_1)
	v_cmp_gt_f32_e32 vcc_lo, v1, v2
	v_cndmask_b32_e32 v1, v2, v1, vcc_lo
	v_mov_b32_dpp v2, v1 quad_perm:[2,3,0,1] row_mask:0xf bank_mask:0xf
	s_delay_alu instid0(VALU_DEP_1) | instskip(SKIP_1) | instid1(VALU_DEP_1)
	v_cmp_gt_f32_e32 vcc_lo, v1, v2
	v_cndmask_b32_e32 v1, v2, v1, vcc_lo
	v_mov_b32_dpp v2, v1 row_xmask:7 row_mask:0xf bank_mask:0xf
	s_delay_alu instid0(VALU_DEP_1) | instskip(SKIP_1) | instid1(VALU_DEP_1)
	v_cmp_gt_f32_e32 vcc_lo, v1, v2
	v_cndmask_b32_e32 v1, v2, v1, vcc_lo
	v_dual_mul_f32 v22, 0x3c010204, v1 :: v_dual_mov_b32 v1, s20
	v_mov_b32_e32 v2, s21
.LBB101_41:
	s_and_saveexec_b32 s2, s3
	s_cbranch_execz .LBB101_43
; %bb.42:
	s_delay_alu instid0(VALU_DEP_1) | instskip(NEXT) | instid1(VALU_DEP_1)
	v_lshlrev_b64 v[0:1], 2, v[1:2]
	v_add_co_u32 v0, vcc_lo, s8, v0
	s_delay_alu instid0(VALU_DEP_2)
	v_add_co_ci_u32_e32 v1, vcc_lo, s9, v1, vcc_lo
	global_store_b32 v[0:1], v22, off
.LBB101_43:
	s_or_b32 exec_lo, exec_lo, s2
	;;#ASMSTART
	v_rcp_f32 v0, v22
	;;#ASMEND
	v_mul_f32_e32 v10, v17, v0
	v_mul_f32_e32 v15, v15, v0
	;; [unrolled: 1-line block ×5, first 2 shown]
	v_cvt_i32_f32_e32 v10, v10
	v_mul_f32_e32 v1, v19, v0
	v_cvt_i32_f32_e32 v15, v15
	v_mul_f32_e32 v2, v20, v0
	s_delay_alu instid0(VALU_DEP_4) | instskip(NEXT) | instid1(VALU_DEP_4)
	v_dual_mul_f32 v7, v7, v0 :: v_dual_and_b32 v10, 0xff, v10
	v_cvt_i32_f32_e32 v1, v1
	s_delay_alu instid0(VALU_DEP_4) | instskip(NEXT) | instid1(VALU_DEP_4)
	v_and_b32_e32 v15, 0xff, v15
	v_cvt_i32_f32_e32 v2, v2
	v_cvt_i32_f32_e32 v5, v5
	s_delay_alu instid0(VALU_DEP_4) | instskip(SKIP_1) | instid1(VALU_DEP_4)
	v_dual_mul_f32 v14, v14, v0 :: v_dual_and_b32 v1, 0xff, v1
	v_cvt_i32_f32_e32 v17, v17
	v_lshlrev_b16 v2, 8, v2
	s_delay_alu instid0(VALU_DEP_4) | instskip(NEXT) | instid1(VALU_DEP_4)
	v_and_b32_e32 v5, 0xff, v5
	v_cvt_i32_f32_e32 v14, v14
	v_mul_f32_e32 v12, v12, v0
	v_cvt_i32_f32_e32 v11, v11
	v_or_b32_e32 v1, v1, v2
	v_mul_f32_e32 v16, v16, v0
	v_mul_f32_e32 v8, v8, v0
	;; [unrolled: 1-line block ×4, first 2 shown]
	v_lshlrev_b16 v17, 8, v17
	v_cvt_i32_f32_e32 v16, v16
	s_load_b64 s[0:1], s[0:1], 0x0
	v_and_b32_e32 v11, 0xff, v11
	s_add_i32 s2, s5, 3
	v_or_b32_e32 v10, v10, v17
	v_lshlrev_b16 v16, 8, v16
	s_ashr_i32 s3, s6, 31
	s_mul_hi_u32 s4, s6, s20
	s_mul_i32 s5, s6, s20
	v_and_b32_e32 v2, 0xffff, v10
	v_or_b32_e32 v15, v15, v16
	v_mul_f32_e32 v13, v13, v0
	v_mul_f32_e32 v0, v3, v0
	v_cvt_i32_f32_e32 v3, v7
	v_cvt_i32_f32_e32 v7, v8
	v_lshlrev_b32_e32 v10, 16, v15
	v_cvt_i32_f32_e32 v13, v13
	v_and_b32_e32 v15, 0xffff, v1
	v_and_b32_e32 v3, 0xff, v3
	v_cvt_i32_f32_e32 v6, v6
	v_cvt_i32_f32_e32 v0, v0
	v_lshlrev_b16 v1, 8, v13
	v_and_b32_e32 v13, 0xff, v14
	v_cvt_i32_f32_e32 v12, v12
	v_lshlrev_b16 v6, 8, v6
	v_and_b32_e32 v0, 0xff, v0
	v_lshlrev_b16 v7, 8, v7
	v_or_b32_e32 v1, v13, v1
	v_lshlrev_b16 v8, 8, v12
	v_or_b32_e32 v5, v5, v6
	s_ashr_i32 s6, s2, 31
	v_or_b32_e32 v3, v3, v7
	s_lshr_b32 s6, s6, 30
	v_lshlrev_b32_e32 v6, 16, v1
	v_and_b32_e32 v5, 0xffff, v5
	v_cvt_i32_f32_e32 v4, v4
	s_mul_i32 s3, s3, s20
	s_add_i32 s2, s2, s6
	s_add_i32 s4, s4, s3
	s_and_b32 s2, s2, -4
	v_lshlrev_b16 v4, 8, v4
	s_waitcnt lgkmcnt(0)
	s_add_u32 s0, s0, s5
	v_or_b32_e32 v1, v2, v10
	s_addc_u32 s1, s1, s4
	s_mov_b32 s3, -1
	v_or_b32_e32 v0, v0, v4
	v_or_b32_e32 v4, v11, v8
	v_lshlrev_b32_e32 v8, 16, v3
	s_and_b32 s1, s1, 0xffff
	s_movk_i32 s4, 0x100
	v_lshlrev_b32_e32 v7, 16, v0
	v_and_b32_e32 v4, 0xffff, v4
	v_or_b32_e32 v0, v15, v6
	s_delay_alu instid0(VALU_DEP_3) | instskip(NEXT) | instid1(VALU_DEP_3)
	v_or_b32_e32 v3, v5, v7
	v_or_b32_e32 v2, v4, v8
	buffer_store_b64 v[0:1], v9, s[0:3], 0 offen
	;;#ASMSTART
	s_nop 0
	;;#ASMEND
	buffer_store_b64 v[2:3], v9, s[0:3], s4 offen
	;;#ASMSTART
	s_nop 0
	;;#ASMEND
.LBB101_44:
	s_nop 0
	s_sendmsg sendmsg(MSG_DEALLOC_VGPRS)
	s_endpgm
.LBB101_45:
                                        ; implicit-def: $vgpr1_vgpr2
	s_branch .LBB101_32
	.section	.rodata,"a",@progbits
	.p2align	6, 0x0
	.amdhsa_kernel _ZN5aiter24add_rmsnorm_quant_kernelIDF16_aLi256ELi16ELb0ELb1ELb1ELi1EEEvPT0_PT_PfS4_S4_S4_diiiiiiib
		.amdhsa_group_segment_fixed_size 64
		.amdhsa_private_segment_fixed_size 0
		.amdhsa_kernarg_size 88
		.amdhsa_user_sgpr_count 15
		.amdhsa_user_sgpr_dispatch_ptr 0
		.amdhsa_user_sgpr_queue_ptr 0
		.amdhsa_user_sgpr_kernarg_segment_ptr 1
		.amdhsa_user_sgpr_dispatch_id 0
		.amdhsa_user_sgpr_private_segment_size 0
		.amdhsa_wavefront_size32 1
		.amdhsa_uses_dynamic_stack 0
		.amdhsa_enable_private_segment 0
		.amdhsa_system_sgpr_workgroup_id_x 1
		.amdhsa_system_sgpr_workgroup_id_y 0
		.amdhsa_system_sgpr_workgroup_id_z 0
		.amdhsa_system_sgpr_workgroup_info 0
		.amdhsa_system_vgpr_workitem_id 0
		.amdhsa_next_free_vgpr 43
		.amdhsa_next_free_sgpr 29
		.amdhsa_reserve_vcc 1
		.amdhsa_float_round_mode_32 0
		.amdhsa_float_round_mode_16_64 0
		.amdhsa_float_denorm_mode_32 3
		.amdhsa_float_denorm_mode_16_64 3
		.amdhsa_dx10_clamp 1
		.amdhsa_ieee_mode 1
		.amdhsa_fp16_overflow 0
		.amdhsa_workgroup_processor_mode 1
		.amdhsa_memory_ordered 1
		.amdhsa_forward_progress 0
		.amdhsa_shared_vgpr_count 0
		.amdhsa_exception_fp_ieee_invalid_op 0
		.amdhsa_exception_fp_denorm_src 0
		.amdhsa_exception_fp_ieee_div_zero 0
		.amdhsa_exception_fp_ieee_overflow 0
		.amdhsa_exception_fp_ieee_underflow 0
		.amdhsa_exception_fp_ieee_inexact 0
		.amdhsa_exception_int_div_zero 0
	.end_amdhsa_kernel
	.section	.text._ZN5aiter24add_rmsnorm_quant_kernelIDF16_aLi256ELi16ELb0ELb1ELb1ELi1EEEvPT0_PT_PfS4_S4_S4_diiiiiiib,"axG",@progbits,_ZN5aiter24add_rmsnorm_quant_kernelIDF16_aLi256ELi16ELb0ELb1ELb1ELi1EEEvPT0_PT_PfS4_S4_S4_diiiiiiib,comdat
.Lfunc_end101:
	.size	_ZN5aiter24add_rmsnorm_quant_kernelIDF16_aLi256ELi16ELb0ELb1ELb1ELi1EEEvPT0_PT_PfS4_S4_S4_diiiiiiib, .Lfunc_end101-_ZN5aiter24add_rmsnorm_quant_kernelIDF16_aLi256ELi16ELb0ELb1ELb1ELi1EEEvPT0_PT_PfS4_S4_S4_diiiiiiib
                                        ; -- End function
	.section	.AMDGPU.csdata,"",@progbits
; Kernel info:
; codeLenInByte = 3896
; NumSgprs: 31
; NumVgprs: 43
; ScratchSize: 0
; MemoryBound: 0
; FloatMode: 240
; IeeeMode: 1
; LDSByteSize: 64 bytes/workgroup (compile time only)
; SGPRBlocks: 3
; VGPRBlocks: 5
; NumSGPRsForWavesPerEU: 31
; NumVGPRsForWavesPerEU: 43
; Occupancy: 16
; WaveLimiterHint : 0
; COMPUTE_PGM_RSRC2:SCRATCH_EN: 0
; COMPUTE_PGM_RSRC2:USER_SGPR: 15
; COMPUTE_PGM_RSRC2:TRAP_HANDLER: 0
; COMPUTE_PGM_RSRC2:TGID_X_EN: 1
; COMPUTE_PGM_RSRC2:TGID_Y_EN: 0
; COMPUTE_PGM_RSRC2:TGID_Z_EN: 0
; COMPUTE_PGM_RSRC2:TIDIG_COMP_CNT: 0
	.section	.text._ZN5aiter24add_rmsnorm_quant_kernelItaLi256ELi16ELb0ELb1ELb1ELi1EEEvPT0_PT_PfS4_S4_S4_diiiiiiib,"axG",@progbits,_ZN5aiter24add_rmsnorm_quant_kernelItaLi256ELi16ELb0ELb1ELb1ELi1EEEvPT0_PT_PfS4_S4_S4_diiiiiiib,comdat
	.protected	_ZN5aiter24add_rmsnorm_quant_kernelItaLi256ELi16ELb0ELb1ELb1ELi1EEEvPT0_PT_PfS4_S4_S4_diiiiiiib ; -- Begin function _ZN5aiter24add_rmsnorm_quant_kernelItaLi256ELi16ELb0ELb1ELb1ELi1EEEvPT0_PT_PfS4_S4_S4_diiiiiiib
	.globl	_ZN5aiter24add_rmsnorm_quant_kernelItaLi256ELi16ELb0ELb1ELb1ELi1EEEvPT0_PT_PfS4_S4_S4_diiiiiiib
	.p2align	8
	.type	_ZN5aiter24add_rmsnorm_quant_kernelItaLi256ELi16ELb0ELb1ELb1ELi1EEEvPT0_PT_PfS4_S4_S4_diiiiiiib,@function
_ZN5aiter24add_rmsnorm_quant_kernelItaLi256ELi16ELb0ELb1ELb1ELi1EEEvPT0_PT_PfS4_S4_S4_diiiiiiib: ; @_ZN5aiter24add_rmsnorm_quant_kernelItaLi256ELi16ELb0ELb1ELb1ELi1EEEvPT0_PT_PfS4_S4_S4_diiiiiiib
; %bb.0:
	s_load_b128 s[4:7], s[0:1], 0x38
	s_mov_b32 s20, s15
	s_mov_b32 s21, 0
	s_waitcnt lgkmcnt(0)
	s_ashr_i32 s3, s4, 31
	s_mov_b32 s2, s4
	s_delay_alu instid0(SALU_CYCLE_1) | instskip(NEXT) | instid1(VALU_DEP_1)
	v_cmp_ge_i64_e64 s2, s[20:21], s[2:3]
	s_and_b32 vcc_lo, exec_lo, s2
	s_cbranch_vccnz .LBB102_44
; %bb.1:
	s_clause 0x1
	s_load_b128 s[8:11], s[0:1], 0x10
	s_load_b128 s[16:19], s[0:1], 0x28
	v_lshlrev_b32_e32 v22, 4, v0
	s_ashr_i32 s2, s6, 31
	s_mul_hi_u32 s3, s6, s20
	s_mul_i32 s7, s2, s20
	v_lshlrev_b32_e32 v1, 3, v0
	v_and_b32_e32 v2, 0x3e00, v22
	s_mul_i32 s2, s6, s20
	s_add_i32 s3, s3, s7
	s_mov_b32 s15, -1
	s_lshl_b64 s[2:3], s[2:3], 1
	v_and_or_b32 v9, 0xf8, v1, v2
	s_mov_b32 s27, s15
	v_and_b32_e32 v29, 31, v0
	s_delay_alu instid0(VALU_DEP_2)
	v_lshlrev_b32_e32 v1, 1, v9
	s_waitcnt lgkmcnt(0)
	s_add_u32 s12, s10, s2
	s_addc_u32 s2, s11, s3
	s_add_i32 s3, s5, 1
	s_and_b32 s13, s2, 0xffff
	s_lshr_b32 s6, s3, 31
	s_movk_i32 s2, 0x200
	s_add_i32 s3, s3, s6
	s_mov_b32 s24, s16
	s_lshl_b32 s3, s3, 1
	s_and_b32 s25, s17, 0xffff
	s_and_b32 s14, s3, -4
	s_clause 0x1
	buffer_load_b128 v[14:17], v1, s[12:15], 0 offen glc slc
	buffer_load_b128 v[23:26], v1, s[12:15], s2 offen glc slc
	s_mov_b32 s26, s14
	s_waitcnt vmcnt(1)
	v_lshrrev_b32_e32 v10, 16, v14
	v_and_b32_e32 v12, 0xffff, v14
	v_lshrrev_b32_e32 v14, 16, v15
	v_lshrrev_b32_e32 v18, 16, v17
	s_waitcnt vmcnt(0)
	v_lshrrev_b32_e32 v20, 16, v23
	v_cvt_f32_u32_e32 v11, v10
	v_cvt_f32_u32_e32 v12, v12
	v_and_b32_e32 v10, 0xffff, v15
	v_cvt_f32_u32_e32 v14, v14
	v_cvt_f32_u32_e32 v18, v18
	v_mul_f32_e32 v28, v11, v11
	v_cvt_f32_u32_e32 v20, v20
	v_cvt_f32_u32_e32 v13, v10
	v_and_b32_e32 v10, 0xffff, v16
	v_lshrrev_b32_e32 v16, 16, v16
	v_fmac_f32_e32 v28, v12, v12
	s_clause 0x1
	buffer_load_b128 v[5:8], v1, s[24:27], 0 offen
	buffer_load_b128 v[1:4], v1, s[24:27], s2 offen
	v_lshrrev_b32_e32 v27, 16, v26
	v_cvt_f32_u32_e32 v15, v10
	v_and_b32_e32 v10, 0xffff, v17
	v_fmac_f32_e32 v28, v13, v13
	v_cvt_f32_u32_e32 v16, v16
	v_cvt_f32_u32_e32 v27, v27
	v_cmp_eq_u32_e64 s2, 31, v29
	v_cvt_f32_u32_e32 v17, v10
	v_fmac_f32_e32 v28, v14, v14
	v_and_b32_e32 v10, 0xffff, v23
	v_lshrrev_b32_e32 v23, 16, v24
	s_delay_alu instid0(VALU_DEP_3) | instskip(NEXT) | instid1(VALU_DEP_3)
	v_fmac_f32_e32 v28, v15, v15
	v_cvt_f32_u32_e32 v19, v10
	v_and_b32_e32 v10, 0xffff, v24
	s_delay_alu instid0(VALU_DEP_4) | instskip(NEXT) | instid1(VALU_DEP_4)
	v_cvt_f32_u32_e32 v23, v23
	v_fmac_f32_e32 v28, v16, v16
	s_delay_alu instid0(VALU_DEP_3) | instskip(SKIP_2) | instid1(VALU_DEP_4)
	v_cvt_f32_u32_e32 v21, v10
	v_and_b32_e32 v10, 0xffff, v25
	v_lshrrev_b32_e32 v25, 16, v25
	v_fmac_f32_e32 v28, v17, v17
	s_delay_alu instid0(VALU_DEP_3) | instskip(SKIP_1) | instid1(VALU_DEP_3)
	v_cvt_f32_u32_e32 v24, v10
	v_and_b32_e32 v10, 0xffff, v26
	v_fmac_f32_e32 v28, v18, v18
	v_cvt_f32_u32_e32 v25, v25
	s_delay_alu instid0(VALU_DEP_3) | instskip(NEXT) | instid1(VALU_DEP_3)
	v_cvt_f32_u32_e32 v26, v10
	v_fmac_f32_e32 v28, v19, v19
	s_delay_alu instid0(VALU_DEP_1) | instskip(NEXT) | instid1(VALU_DEP_1)
	v_fmac_f32_e32 v28, v20, v20
	v_fmac_f32_e32 v28, v21, v21
	s_delay_alu instid0(VALU_DEP_1) | instskip(NEXT) | instid1(VALU_DEP_1)
	v_fmac_f32_e32 v28, v23, v23
	;; [unrolled: 3-line block ×4, first 2 shown]
	v_mov_b32_dpp v10, v28 quad_perm:[1,0,3,2] row_mask:0xf bank_mask:0xf
	s_delay_alu instid0(VALU_DEP_1) | instskip(NEXT) | instid1(VALU_DEP_1)
	v_add_f32_e32 v10, v28, v10
	v_mov_b32_dpp v28, v10 quad_perm:[2,3,0,1] row_mask:0xf bank_mask:0xf
	s_delay_alu instid0(VALU_DEP_1) | instskip(NEXT) | instid1(VALU_DEP_1)
	v_add_f32_e32 v10, v10, v28
	v_mov_b32_dpp v28, v10 row_xmask:7 row_mask:0xf bank_mask:0xf
	s_delay_alu instid0(VALU_DEP_1) | instskip(NEXT) | instid1(VALU_DEP_1)
	v_add_f32_e32 v10, v10, v28
	v_mov_b32_dpp v28, v10 row_xmask:15 row_mask:0xf bank_mask:0xf
	s_and_saveexec_b32 s3, s2
	s_cbranch_execz .LBB102_3
; %bb.2:
	s_delay_alu instid0(VALU_DEP_1) | instskip(SKIP_2) | instid1(VALU_DEP_2)
	v_add_f32_e32 v10, v10, v28
	s_mov_b32 s6, 0x76543210
	v_lshrrev_b32_e32 v28, 3, v0
	v_permlanex16_b32 v29, v10, s6, 0xfedcba98 op_sel:[1,1]
	s_delay_alu instid0(VALU_DEP_2) | instskip(NEXT) | instid1(VALU_DEP_2)
	v_and_b32_e32 v28, 0x7c, v28
	v_add_f32_e32 v10, v10, v29
	ds_store_b32 v28, v10 offset:32
.LBB102_3:
	s_or_b32 exec_lo, exec_lo, s3
	v_and_b32_e32 v10, 7, v0
	s_waitcnt vmcnt(0) lgkmcnt(0)
	s_barrier
	buffer_gl0_inv
	v_cvt_f32_i32_e32 v30, s5
	v_dual_mov_b32 v37, 0x2edbe6ff :: v_dual_lshlrev_b32 v10, 2, v10
	v_and_b32_e32 v35, 0xffff, v2
	v_lshrrev_b32_e32 v2, 16, v2
	ds_load_b32 v28, v10 offset:32
	s_clause 0x1
	s_load_b64 s[6:7], s[0:1], 0x4c
	s_load_b32 s10, s[0:1], 0x54
	v_cvt_f32_u32_e32 v35, v35
	v_cvt_f32_u32_e32 v2, v2
	s_waitcnt lgkmcnt(0)
	v_mov_b32_dpp v29, v28 quad_perm:[1,0,3,2] row_mask:0xf bank_mask:0xf
	s_cmp_lg_u32 s7, 0
	s_delay_alu instid0(VALU_DEP_1) | instskip(NEXT) | instid1(VALU_DEP_1)
	v_add_f32_e32 v28, v28, v29
	v_mov_b32_dpp v29, v28 quad_perm:[2,3,0,1] row_mask:0xf bank_mask:0xf
	s_delay_alu instid0(VALU_DEP_1) | instskip(NEXT) | instid1(VALU_DEP_1)
	v_add_f32_e32 v28, v28, v29
	v_mov_b32_dpp v29, v28 row_xmask:7 row_mask:0xf bank_mask:0xf
	s_delay_alu instid0(VALU_DEP_1) | instskip(NEXT) | instid1(VALU_DEP_1)
	v_add_f32_e32 v28, v28, v29
	v_div_scale_f32 v29, null, v30, v30, v28
	v_div_scale_f32 v33, vcc_lo, v28, v30, v28
	s_delay_alu instid0(VALU_DEP_2) | instskip(SKIP_2) | instid1(VALU_DEP_1)
	v_rcp_f32_e32 v31, v29
	s_waitcnt_depctr 0xfff
	v_fma_f32 v32, -v29, v31, 1.0
	v_fmac_f32_e32 v31, v32, v31
	s_delay_alu instid0(VALU_DEP_1) | instskip(NEXT) | instid1(VALU_DEP_1)
	v_mul_f32_e32 v32, v33, v31
	v_fma_f32 v34, -v29, v32, v33
	s_delay_alu instid0(VALU_DEP_1) | instskip(NEXT) | instid1(VALU_DEP_1)
	v_fmac_f32_e32 v32, v34, v31
	v_fma_f32 v29, -v29, v32, v33
	v_and_b32_e32 v33, 0xffff, v1
	v_lshrrev_b32_e32 v1, 16, v1
	s_delay_alu instid0(VALU_DEP_3)
	v_div_fmas_f32 v29, v29, v31, v32
	v_and_b32_e32 v31, 0xffff, v7
	v_lshrrev_b32_e32 v7, 16, v7
	v_cvt_f32_u32_e32 v33, v33
	v_cvt_f32_u32_e32 v1, v1
	v_div_fixup_f32 v28, v29, v30, v28
	v_cvt_f32_u32_e32 v31, v31
	v_cvt_f32_u32_e32 v7, v7
	s_delay_alu instid0(VALU_DEP_3) | instskip(NEXT) | instid1(VALU_DEP_1)
	v_cvt_f64_f32_e32 v[28:29], v28
	v_add_f64 v[28:29], v[28:29], s[18:19]
	s_delay_alu instid0(VALU_DEP_1) | instskip(SKIP_2) | instid1(VALU_DEP_2)
	v_cvt_f32_f64_e32 v28, v[28:29]
	v_and_b32_e32 v29, 0xffff, v5
	v_lshrrev_b32_e32 v5, 16, v5
	v_cvt_f32_u32_e32 v29, v29
	s_delay_alu instid0(VALU_DEP_2) | instskip(SKIP_2) | instid1(VALU_DEP_2)
	v_cvt_f32_u32_e32 v5, v5
	v_mul_f32_e32 v34, 0x4b800000, v28
	v_cmp_gt_f32_e32 vcc_lo, 0x800000, v28
	v_cndmask_b32_e32 v28, v28, v34, vcc_lo
	s_delay_alu instid0(VALU_DEP_1) | instskip(SKIP_2) | instid1(VALU_DEP_1)
	v_rsq_f32_e32 v28, v28
	s_waitcnt_depctr 0xfff
	v_mul_f32_e32 v38, 0x45800000, v28
	v_cndmask_b32_e32 v28, v28, v38, vcc_lo
	v_and_b32_e32 v32, 0xffff, v8
	v_and_b32_e32 v34, 0xffff, v3
	v_lshrrev_b32_e32 v8, 16, v8
	v_lshrrev_b32_e32 v3, 16, v3
	v_mul_f32_e32 v39, v28, v17
	v_mul_f32_e32 v13, v28, v13
	v_cvt_f32_u32_e32 v32, v32
	v_mul_f32_e32 v15, v28, v15
	v_cvt_f32_u32_e32 v8, v8
	v_cvt_f32_u32_e32 v3, v3
	v_cvt_f32_u32_e32 v34, v34
	s_delay_alu instid0(VALU_DEP_4) | instskip(SKIP_4) | instid1(VALU_DEP_4)
	v_mul_f32_e32 v17, v15, v31
	v_dual_mul_f32 v15, v39, v32 :: v_dual_and_b32 v30, 0xffff, v6
	v_mul_f32_e32 v11, v28, v11
	v_lshrrev_b32_e32 v6, 16, v6
	v_dual_mul_f32 v41, v28, v19 :: v_dual_and_b32 v36, 0xffff, v4
	v_cvt_f32_u32_e32 v30, v30
	v_mul_f32_e32 v12, v28, v12
	v_mul_f32_e32 v21, v28, v21
	;; [unrolled: 1-line block ×3, first 2 shown]
	s_delay_alu instid0(VALU_DEP_4)
	v_dual_mul_f32 v25, v28, v25 :: v_dual_mul_f32 v14, v13, v30
	v_mul_f32_e32 v42, v28, v20
	v_lshrrev_b32_e32 v4, 16, v4
	v_cvt_f32_u32_e32 v6, v6
	v_dual_mul_f32 v23, v28, v23 :: v_dual_mul_f32 v20, v11, v5
	v_mul_f32_e32 v11, v41, v33
	v_mul_f32_e32 v19, v12, v29
	;; [unrolled: 1-line block ×3, first 2 shown]
	v_cvt_f32_u32_e32 v36, v36
	v_mul_f32_e32 v26, v28, v26
	v_mul_f32_e32 v40, v28, v18
	v_dual_mul_f32 v27, v28, v27 :: v_dual_mul_f32 v12, v42, v1
	v_cvt_f32_u32_e32 v4, v4
	v_and_b32_e32 v1, 0x7fffffff, v19
	v_mul_f32_e32 v18, v16, v7
	v_mul_f32_e32 v7, v21, v35
	v_and_b32_e32 v29, 0x7fffffff, v12
	v_dual_mul_f32 v13, v38, v6 :: v_dual_mul_f32 v24, v28, v24
	v_dual_mul_f32 v6, v25, v3 :: v_dual_mul_f32 v3, v26, v36
	v_dual_mul_f32 v16, v40, v8 :: v_dual_and_b32 v25, 0x7fffffff, v18
	v_mul_f32_e32 v8, v23, v2
	v_and_b32_e32 v2, 0x7fffffff, v20
	;;#ASMSTART
	v_max3_f32 v1, v37, v1, v2

	;;#ASMEND
	v_dual_mul_f32 v4, v27, v4 :: v_dual_and_b32 v21, 0x7fffffff, v14
	v_and_b32_e32 v23, 0x7fffffff, v13
	v_mul_f32_e32 v5, v24, v34
	;;#ASMSTART
	v_max3_f32 v1, v1, v21, v23

	;;#ASMEND
	v_and_b32_e32 v24, 0x7fffffff, v17
	;;#ASMSTART
	v_max3_f32 v1, v1, v24, v25

	;;#ASMEND
	v_and_b32_e32 v26, 0x7fffffff, v15
	v_and_b32_e32 v27, 0x7fffffff, v16
	;;#ASMSTART
	v_max3_f32 v1, v1, v26, v27

	;;#ASMEND
	v_and_b32_e32 v28, 0x7fffffff, v11
	;;#ASMSTART
	v_max3_f32 v1, v1, v28, v29

	;;#ASMEND
	v_and_b32_e32 v30, 0x7fffffff, v7
	v_and_b32_e32 v31, 0x7fffffff, v8
	;;#ASMSTART
	v_max3_f32 v1, v1, v30, v31

	;;#ASMEND
	v_and_b32_e32 v32, 0x7fffffff, v5
	v_and_b32_e32 v33, 0x7fffffff, v6
	;; [unrolled: 1-line block ×4, first 2 shown]
	;;#ASMSTART
	v_max3_f32 v1, v1, v32, v33

	;;#ASMEND
	;;#ASMSTART
	v_max3_f32 v21, v1, v34, v35

	;;#ASMEND
	s_cbranch_scc0 .LBB102_10
; %bb.4:
	s_ashr_i32 s11, s7, 31
	s_delay_alu instid0(SALU_CYCLE_1) | instskip(NEXT) | instid1(SALU_CYCLE_1)
	s_lshr_b32 s3, s11, 28
	s_add_i32 s3, s7, s3
	s_delay_alu instid0(SALU_CYCLE_1) | instskip(NEXT) | instid1(SALU_CYCLE_1)
	s_ashr_i32 s3, s3, 4
	s_cmp_lt_i32 s3, 8
	s_cbranch_scc1 .LBB102_11
; %bb.5:
	s_cmp_lt_i32 s3, 16
	s_cbranch_scc1 .LBB102_12
; %bb.6:
	;; [unrolled: 3-line block ×3, first 2 shown]
	v_mov_b32_e32 v1, v21
	s_cmp_eq_u32 s3, 32
	s_cbranch_scc0 .LBB102_9
; %bb.8:
	s_delay_alu instid0(VALU_DEP_1) | instskip(SKIP_1) | instid1(VALU_DEP_1)
	v_mov_b32_dpp v1, v21 quad_perm:[1,0,3,2] row_mask:0xf bank_mask:0xf
	s_mov_b32 s12, 0x76543210
	v_cmp_gt_f32_e32 vcc_lo, v21, v1
	v_cndmask_b32_e32 v1, v1, v21, vcc_lo
	s_delay_alu instid0(VALU_DEP_1) | instskip(NEXT) | instid1(VALU_DEP_1)
	v_mov_b32_dpp v2, v1 quad_perm:[2,3,0,1] row_mask:0xf bank_mask:0xf
	v_cmp_gt_f32_e32 vcc_lo, v1, v2
	v_cndmask_b32_e32 v1, v2, v1, vcc_lo
	s_delay_alu instid0(VALU_DEP_1) | instskip(NEXT) | instid1(VALU_DEP_1)
	v_mov_b32_dpp v2, v1 row_xmask:7 row_mask:0xf bank_mask:0xf
	v_cmp_gt_f32_e32 vcc_lo, v1, v2
	v_cndmask_b32_e32 v1, v2, v1, vcc_lo
	s_delay_alu instid0(VALU_DEP_1) | instskip(NEXT) | instid1(VALU_DEP_1)
	v_mov_b32_dpp v2, v1 row_xmask:15 row_mask:0xf bank_mask:0xf
	v_cmp_gt_f32_e32 vcc_lo, v1, v2
	v_cndmask_b32_e32 v1, v2, v1, vcc_lo
	s_delay_alu instid0(VALU_DEP_1) | instskip(NEXT) | instid1(VALU_DEP_1)
	v_permlanex16_b32 v2, v1, s12, 0xfedcba98 op_sel:[1,1]
	v_cmp_gt_f32_e32 vcc_lo, v1, v2
	v_cndmask_b32_e32 v1, v2, v1, vcc_lo
.LBB102_9:
	s_mov_b32 s12, 0
	s_branch .LBB102_14
.LBB102_10:
	s_mov_b32 s3, 0
                                        ; implicit-def: $vgpr22
                                        ; implicit-def: $vgpr1_vgpr2
	s_and_b32 vcc_lo, exec_lo, s15
	s_cbranch_vccnz .LBB102_38
	s_branch .LBB102_41
.LBB102_11:
                                        ; implicit-def: $vgpr1
	s_branch .LBB102_21
.LBB102_12:
                                        ; implicit-def: $vgpr1
	s_branch .LBB102_18
.LBB102_13:
	s_mov_b32 s12, -1
                                        ; implicit-def: $vgpr1
.LBB102_14:
	s_delay_alu instid0(SALU_CYCLE_1)
	s_and_not1_b32 vcc_lo, exec_lo, s12
	s_cbranch_vccnz .LBB102_17
; %bb.15:
	v_mov_b32_e32 v1, v21
	s_cmp_eq_u32 s3, 16
	s_cbranch_scc0 .LBB102_17
; %bb.16:
	s_delay_alu instid0(VALU_DEP_1) | instskip(NEXT) | instid1(VALU_DEP_1)
	v_mov_b32_dpp v1, v21 quad_perm:[1,0,3,2] row_mask:0xf bank_mask:0xf
	v_cmp_gt_f32_e32 vcc_lo, v21, v1
	v_cndmask_b32_e32 v1, v1, v21, vcc_lo
	s_delay_alu instid0(VALU_DEP_1) | instskip(NEXT) | instid1(VALU_DEP_1)
	v_mov_b32_dpp v2, v1 quad_perm:[2,3,0,1] row_mask:0xf bank_mask:0xf
	v_cmp_gt_f32_e32 vcc_lo, v1, v2
	v_cndmask_b32_e32 v1, v2, v1, vcc_lo
	s_delay_alu instid0(VALU_DEP_1) | instskip(NEXT) | instid1(VALU_DEP_1)
	v_mov_b32_dpp v2, v1 row_half_mirror row_mask:0xf bank_mask:0xf
	v_cmp_gt_f32_e32 vcc_lo, v1, v2
	v_cndmask_b32_e32 v1, v2, v1, vcc_lo
	s_delay_alu instid0(VALU_DEP_1) | instskip(NEXT) | instid1(VALU_DEP_1)
	v_mov_b32_dpp v2, v1 row_mirror row_mask:0xf bank_mask:0xf
	v_cmp_gt_f32_e32 vcc_lo, v1, v2
	v_cndmask_b32_e32 v1, v2, v1, vcc_lo
.LBB102_17:
	s_cbranch_execnz .LBB102_20
.LBB102_18:
	v_mov_b32_e32 v1, v21
	s_cmp_eq_u32 s3, 8
	s_cbranch_scc0 .LBB102_20
; %bb.19:
	s_delay_alu instid0(VALU_DEP_1) | instskip(NEXT) | instid1(VALU_DEP_1)
	v_mov_b32_dpp v1, v21 quad_perm:[1,0,3,2] row_mask:0xf bank_mask:0xf
	v_cmp_gt_f32_e32 vcc_lo, v21, v1
	v_cndmask_b32_e32 v1, v1, v21, vcc_lo
	s_delay_alu instid0(VALU_DEP_1) | instskip(NEXT) | instid1(VALU_DEP_1)
	v_mov_b32_dpp v2, v1 quad_perm:[2,3,0,1] row_mask:0xf bank_mask:0xf
	v_cmp_gt_f32_e32 vcc_lo, v1, v2
	v_cndmask_b32_e32 v1, v2, v1, vcc_lo
	s_delay_alu instid0(VALU_DEP_1) | instskip(NEXT) | instid1(VALU_DEP_1)
	v_mov_b32_dpp v2, v1 row_half_mirror row_mask:0xf bank_mask:0xf
	v_cmp_gt_f32_e32 vcc_lo, v1, v2
	v_cndmask_b32_e32 v1, v2, v1, vcc_lo
.LBB102_20:
	s_cbranch_execnz .LBB102_28
.LBB102_21:
	s_cmp_lt_i32 s3, 4
	s_cbranch_scc1 .LBB102_24
; %bb.22:
	v_mov_b32_e32 v1, v21
	s_cmp_eq_u32 s3, 4
	s_cbranch_scc0 .LBB102_25
; %bb.23:
	s_delay_alu instid0(VALU_DEP_1) | instskip(NEXT) | instid1(VALU_DEP_1)
	v_mov_b32_dpp v1, v21 quad_perm:[1,0,3,2] row_mask:0xf bank_mask:0xf
	v_cmp_gt_f32_e32 vcc_lo, v21, v1
	v_cndmask_b32_e32 v1, v1, v21, vcc_lo
	s_delay_alu instid0(VALU_DEP_1) | instskip(NEXT) | instid1(VALU_DEP_1)
	v_mov_b32_dpp v2, v1 quad_perm:[2,3,0,1] row_mask:0xf bank_mask:0xf
	v_cmp_gt_f32_e32 vcc_lo, v1, v2
	v_cndmask_b32_e32 v1, v2, v1, vcc_lo
	s_cbranch_execz .LBB102_26
	s_branch .LBB102_28
.LBB102_24:
                                        ; implicit-def: $vgpr1
	s_branch .LBB102_26
.LBB102_25:
	s_cbranch_execnz .LBB102_28
.LBB102_26:
	v_mov_b32_e32 v1, v21
	s_cmp_lg_u32 s3, 2
	s_cbranch_scc1 .LBB102_28
; %bb.27:
	s_delay_alu instid0(VALU_DEP_1) | instskip(NEXT) | instid1(VALU_DEP_1)
	v_mov_b32_dpp v1, v21 quad_perm:[1,0,3,2] row_mask:0xf bank_mask:0xf
	v_cmp_gt_f32_e32 vcc_lo, v21, v1
	v_cndmask_b32_e32 v1, v1, v21, vcc_lo
.LBB102_28:
	v_cvt_f32_u32_e32 v2, s3
	s_sub_i32 s12, 0, s3
	s_mov_b32 s15, 0
	s_delay_alu instid0(VALU_DEP_1) | instskip(SKIP_2) | instid1(VALU_DEP_1)
	v_rcp_iflag_f32_e32 v2, v2
	s_waitcnt_depctr 0xfff
	v_mul_f32_e32 v2, 0x4f7ffffe, v2
	v_cvt_u32_f32_e32 v2, v2
	s_delay_alu instid0(VALU_DEP_1) | instskip(NEXT) | instid1(VALU_DEP_1)
	v_mul_lo_u32 v23, s12, v2
	v_mul_hi_u32 v23, v2, v23
	s_delay_alu instid0(VALU_DEP_1) | instskip(NEXT) | instid1(VALU_DEP_1)
	v_add_nc_u32_e32 v2, v2, v23
	v_mul_hi_u32 v2, v0, v2
	s_delay_alu instid0(VALU_DEP_1) | instskip(SKIP_1) | instid1(VALU_DEP_2)
	v_mul_lo_u32 v23, v2, s3
	v_add_nc_u32_e32 v24, 1, v2
	v_sub_nc_u32_e32 v23, v0, v23
	s_delay_alu instid0(VALU_DEP_1) | instskip(SKIP_1) | instid1(VALU_DEP_2)
	v_subrev_nc_u32_e32 v25, s3, v23
	v_cmp_le_u32_e32 vcc_lo, s3, v23
	v_dual_cndmask_b32 v23, v23, v25 :: v_dual_cndmask_b32 v2, v2, v24
	s_delay_alu instid0(VALU_DEP_1) | instskip(NEXT) | instid1(VALU_DEP_2)
	v_cmp_le_u32_e32 vcc_lo, s3, v23
	v_add_nc_u32_e32 v24, 1, v2
	s_delay_alu instid0(VALU_DEP_1) | instskip(SKIP_2) | instid1(VALU_DEP_3)
	v_cndmask_b32_e32 v23, v2, v24, vcc_lo
	v_cmp_gt_u32_e32 vcc_lo, s5, v22
	v_mul_f32_e32 v22, 0x3c010204, v1
	v_mul_lo_u32 v2, v23, s3
	s_delay_alu instid0(VALU_DEP_1) | instskip(NEXT) | instid1(VALU_DEP_1)
	v_sub_nc_u32_e32 v2, v0, v2
	v_cmp_eq_u32_e64 s3, 0, v2
                                        ; implicit-def: $vgpr1_vgpr2
	s_delay_alu instid0(VALU_DEP_1) | instskip(SKIP_2) | instid1(SALU_CYCLE_1)
	s_and_b32 s12, s3, vcc_lo
	s_mov_b32 s3, 0
	s_and_saveexec_b32 s13, s12
	s_xor_b32 s14, exec_lo, s13
	s_cbranch_execz .LBB102_37
; %bb.29:
	s_bitcmp0_b32 s10, 0
	s_mov_b32 s16, 0
	s_cbranch_scc0 .LBB102_34
; %bb.30:
	s_ashr_i32 s3, s5, 31
	s_mul_hi_u32 s10, s5, s20
	s_mul_i32 s3, s3, s20
	s_mul_i32 s12, s5, s20
	s_add_i32 s13, s10, s3
	s_mov_b32 s10, s7
	s_delay_alu instid0(SALU_CYCLE_1) | instskip(NEXT) | instid1(SALU_CYCLE_1)
	s_or_b64 s[18:19], s[12:13], s[10:11]
	s_mov_b32 s17, s19
	s_delay_alu instid0(SALU_CYCLE_1)
	s_cmp_lg_u64 s[16:17], 0
	s_cbranch_scc0 .LBB102_45
; %bb.31:
	s_add_u32 s18, s10, s11
	s_mov_b32 s16, s11
	s_mov_b32 s17, s11
	s_addc_u32 s19, s11, s11
	s_delay_alu instid0(SALU_CYCLE_1) | instskip(NEXT) | instid1(SALU_CYCLE_1)
	s_xor_b64 s[18:19], s[18:19], s[16:17]
	v_cvt_f32_u32_e32 v1, s18
	v_cvt_f32_u32_e32 v2, s19
	s_sub_u32 s11, 0, s18
	s_subb_u32 s22, 0, s19
	s_delay_alu instid0(VALU_DEP_1) | instskip(NEXT) | instid1(VALU_DEP_1)
	v_fmamk_f32 v1, v2, 0x4f800000, v1
	v_rcp_f32_e32 v1, v1
	s_waitcnt_depctr 0xfff
	v_mul_f32_e32 v1, 0x5f7ffffc, v1
	s_delay_alu instid0(VALU_DEP_1) | instskip(NEXT) | instid1(VALU_DEP_1)
	v_mul_f32_e32 v2, 0x2f800000, v1
	v_trunc_f32_e32 v2, v2
	s_delay_alu instid0(VALU_DEP_1) | instskip(SKIP_1) | instid1(VALU_DEP_2)
	v_fmamk_f32 v1, v2, 0xcf800000, v1
	v_cvt_u32_f32_e32 v2, v2
	v_cvt_u32_f32_e32 v1, v1
	s_delay_alu instid0(VALU_DEP_2) | instskip(NEXT) | instid1(VALU_DEP_2)
	v_readfirstlane_b32 s3, v2
	v_readfirstlane_b32 s7, v1
	s_delay_alu instid0(VALU_DEP_2) | instskip(NEXT) | instid1(VALU_DEP_1)
	s_mul_i32 s23, s11, s3
	s_mul_hi_u32 s25, s11, s7
	s_mul_i32 s24, s22, s7
	s_add_i32 s23, s25, s23
	s_mul_i32 s26, s11, s7
	s_add_i32 s23, s23, s24
	s_mul_hi_u32 s25, s7, s26
	s_mul_hi_u32 s27, s3, s26
	s_mul_i32 s24, s3, s26
	s_mul_hi_u32 s26, s7, s23
	s_mul_i32 s7, s7, s23
	s_mul_hi_u32 s28, s3, s23
	s_add_u32 s7, s25, s7
	s_addc_u32 s25, 0, s26
	s_add_u32 s7, s7, s24
	s_mul_i32 s23, s3, s23
	s_addc_u32 s7, s25, s27
	s_addc_u32 s24, s28, 0
	s_add_u32 s7, s7, s23
	s_addc_u32 s23, 0, s24
	v_add_co_u32 v1, s7, v1, s7
	s_delay_alu instid0(VALU_DEP_1) | instskip(SKIP_1) | instid1(VALU_DEP_1)
	s_cmp_lg_u32 s7, 0
	s_addc_u32 s3, s3, s23
	v_readfirstlane_b32 s7, v1
	s_mul_i32 s23, s11, s3
	s_delay_alu instid0(VALU_DEP_1)
	s_mul_hi_u32 s24, s11, s7
	s_mul_i32 s22, s22, s7
	s_add_i32 s23, s24, s23
	s_mul_i32 s11, s11, s7
	s_add_i32 s23, s23, s22
	s_mul_hi_u32 s24, s3, s11
	s_mul_i32 s25, s3, s11
	s_mul_hi_u32 s11, s7, s11
	s_mul_hi_u32 s26, s7, s23
	s_mul_i32 s7, s7, s23
	s_mul_hi_u32 s22, s3, s23
	s_add_u32 s7, s11, s7
	s_addc_u32 s11, 0, s26
	s_add_u32 s7, s7, s25
	s_mul_i32 s23, s3, s23
	s_addc_u32 s7, s11, s24
	s_addc_u32 s11, s22, 0
	s_add_u32 s7, s7, s23
	s_addc_u32 s11, 0, s11
	v_add_co_u32 v1, s7, v1, s7
	s_delay_alu instid0(VALU_DEP_1) | instskip(SKIP_2) | instid1(VALU_DEP_1)
	s_cmp_lg_u32 s7, 0
	s_addc_u32 s3, s3, s11
	s_ashr_i32 s22, s13, 31
	v_readfirstlane_b32 s7, v1
	s_add_u32 s24, s12, s22
	s_mov_b32 s23, s22
	s_addc_u32 s25, s13, s22
	s_delay_alu instid0(SALU_CYCLE_1) | instskip(NEXT) | instid1(SALU_CYCLE_1)
	s_xor_b64 s[24:25], s[24:25], s[22:23]
	s_mul_i32 s13, s24, s3
	s_mul_hi_u32 s26, s24, s7
	s_mul_hi_u32 s11, s24, s3
	;; [unrolled: 1-line block ×3, first 2 shown]
	s_mul_i32 s7, s25, s7
	s_add_u32 s13, s26, s13
	s_addc_u32 s11, 0, s11
	s_mul_hi_u32 s27, s25, s3
	s_add_u32 s7, s13, s7
	s_mul_i32 s3, s25, s3
	s_addc_u32 s7, s11, s28
	s_addc_u32 s11, s27, 0
	s_add_u32 s7, s7, s3
	s_addc_u32 s11, 0, s11
	s_mul_i32 s27, s18, s7
	s_mul_hi_u32 s3, s18, s7
	s_mul_i32 s26, s18, s11
	v_sub_co_u32 v1, s24, s24, s27
	s_mul_i32 s13, s19, s7
	s_add_i32 s3, s3, s26
	s_delay_alu instid0(SALU_CYCLE_1) | instskip(NEXT) | instid1(VALU_DEP_1)
	s_add_i32 s3, s3, s13
	v_sub_co_u32 v2, s26, v1, s18
	s_sub_i32 s13, s25, s3
	s_cmp_lg_u32 s24, 0
	s_subb_u32 s13, s13, s19
	s_cmp_lg_u32 s26, 0
	v_cmp_le_u32_e32 vcc_lo, s18, v2
	s_subb_u32 s13, s13, 0
	s_delay_alu instid0(SALU_CYCLE_1)
	s_cmp_ge_u32 s13, s19
	v_cndmask_b32_e64 v2, 0, -1, vcc_lo
	s_cselect_b32 s26, -1, 0
	s_cmp_eq_u32 s13, s19
	s_cselect_b32 vcc_lo, -1, 0
	s_add_u32 s13, s7, 1
	v_cndmask_b32_e32 v2, s26, v2, vcc_lo
	s_addc_u32 s26, s11, 0
	s_add_u32 s27, s7, 2
	s_addc_u32 s28, s11, 0
	s_cmp_lg_u32 s24, 0
	v_cmp_le_u32_e32 vcc_lo, s18, v1
	s_subb_u32 s3, s25, s3
	v_mov_b32_e32 v24, s27
	s_cmp_ge_u32 s3, s19
	v_cndmask_b32_e64 v1, 0, -1, vcc_lo
	s_cselect_b32 s18, -1, 0
	s_cmp_eq_u32 s3, s19
	v_cmp_ne_u32_e32 vcc_lo, 0, v2
	v_mov_b32_e32 v2, s28
	s_cselect_b32 s3, -1, 0
	s_xor_b64 s[16:17], s[22:23], s[16:17]
	v_cndmask_b32_e64 v1, s18, v1, s3
	v_cndmask_b32_e32 v24, s13, v24, vcc_lo
	v_cndmask_b32_e32 v2, s26, v2, vcc_lo
	s_delay_alu instid0(VALU_DEP_3) | instskip(NEXT) | instid1(VALU_DEP_2)
	v_cmp_ne_u32_e32 vcc_lo, 0, v1
	v_cndmask_b32_e32 v1, s11, v2, vcc_lo
	s_delay_alu instid0(VALU_DEP_4) | instskip(NEXT) | instid1(VALU_DEP_2)
	v_cndmask_b32_e32 v2, s7, v24, vcc_lo
	v_xor_b32_e32 v24, s17, v1
	s_delay_alu instid0(VALU_DEP_2) | instskip(NEXT) | instid1(VALU_DEP_1)
	v_xor_b32_e32 v2, s16, v2
	v_sub_co_u32 v1, vcc_lo, v2, s16
	s_delay_alu instid0(VALU_DEP_3)
	v_subrev_co_ci_u32_e32 v2, vcc_lo, s17, v24, vcc_lo
	s_cbranch_execnz .LBB102_33
.LBB102_32:
	v_cvt_f32_u32_e32 v1, s10
	s_sub_i32 s7, 0, s10
	s_delay_alu instid0(VALU_DEP_1) | instskip(SKIP_2) | instid1(VALU_DEP_1)
	v_rcp_iflag_f32_e32 v1, v1
	s_waitcnt_depctr 0xfff
	v_mul_f32_e32 v1, 0x4f7ffffe, v1
	v_cvt_u32_f32_e32 v1, v1
	s_delay_alu instid0(VALU_DEP_1) | instskip(NEXT) | instid1(VALU_DEP_1)
	v_readfirstlane_b32 s3, v1
	s_mul_i32 s7, s7, s3
	s_delay_alu instid0(SALU_CYCLE_1) | instskip(NEXT) | instid1(SALU_CYCLE_1)
	s_mul_hi_u32 s7, s3, s7
	s_add_i32 s3, s3, s7
	s_delay_alu instid0(SALU_CYCLE_1) | instskip(NEXT) | instid1(SALU_CYCLE_1)
	s_mul_hi_u32 s3, s12, s3
	s_mul_i32 s7, s3, s10
	s_add_i32 s11, s3, 1
	s_sub_i32 s7, s12, s7
	s_delay_alu instid0(SALU_CYCLE_1)
	s_sub_i32 s12, s7, s10
	s_cmp_ge_u32 s7, s10
	s_cselect_b32 s3, s11, s3
	s_cselect_b32 s7, s12, s7
	s_add_i32 s12, s3, 1
	s_cmp_ge_u32 s7, s10
	s_mov_b32 s11, 0
	s_cselect_b32 s10, s12, s3
	s_delay_alu instid0(SALU_CYCLE_1)
	v_dual_mov_b32 v1, s10 :: v_dual_mov_b32 v2, s11
.LBB102_33:
	s_delay_alu instid0(VALU_DEP_1) | instskip(NEXT) | instid1(VALU_DEP_2)
	v_add_co_u32 v1, vcc_lo, v1, v23
	v_add_co_ci_u32_e32 v2, vcc_lo, 0, v2, vcc_lo
	s_branch .LBB102_36
.LBB102_34:
                                        ; implicit-def: $vgpr1_vgpr2
	s_cbranch_execz .LBB102_36
; %bb.35:
	v_mul_lo_u32 v1, v23, s4
	s_delay_alu instid0(VALU_DEP_1) | instskip(SKIP_1) | instid1(VALU_DEP_2)
	v_ashrrev_i32_e32 v2, 31, v1
	v_add_co_u32 v1, vcc_lo, v1, s20
	v_add_co_ci_u32_e32 v2, vcc_lo, 0, v2, vcc_lo
.LBB102_36:
	s_mov_b32 s3, exec_lo
.LBB102_37:
	s_or_b32 exec_lo, exec_lo, s14
	s_delay_alu instid0(SALU_CYCLE_1)
	s_and_b32 vcc_lo, exec_lo, s15
	s_cbranch_vccz .LBB102_41
.LBB102_38:
	v_mov_b32_dpp v1, v21 quad_perm:[1,0,3,2] row_mask:0xf bank_mask:0xf
	s_delay_alu instid0(VALU_DEP_1) | instskip(SKIP_1) | instid1(VALU_DEP_1)
	v_cmp_gt_f32_e32 vcc_lo, v21, v1
	v_cndmask_b32_e32 v1, v1, v21, vcc_lo
	v_mov_b32_dpp v2, v1 quad_perm:[2,3,0,1] row_mask:0xf bank_mask:0xf
	s_delay_alu instid0(VALU_DEP_1) | instskip(SKIP_1) | instid1(VALU_DEP_1)
	v_cmp_gt_f32_e32 vcc_lo, v1, v2
	v_cndmask_b32_e32 v1, v2, v1, vcc_lo
	v_mov_b32_dpp v2, v1 row_xmask:7 row_mask:0xf bank_mask:0xf
	s_delay_alu instid0(VALU_DEP_1) | instskip(SKIP_1) | instid1(VALU_DEP_1)
	v_cmp_gt_f32_e32 vcc_lo, v1, v2
	v_cndmask_b32_e32 v1, v2, v1, vcc_lo
	v_mov_b32_dpp v2, v1 row_xmask:15 row_mask:0xf bank_mask:0xf
	s_delay_alu instid0(VALU_DEP_1)
	v_cmp_gt_f32_e32 vcc_lo, v1, v2
	s_and_saveexec_b32 s3, s2
	s_cbranch_execz .LBB102_40
; %bb.39:
	v_cndmask_b32_e32 v1, v2, v1, vcc_lo
	v_lshrrev_b32_e32 v2, 3, v0
	s_mov_b32 s2, 0x76543210
	s_delay_alu instid0(VALU_DEP_1) | instskip(NEXT) | instid1(VALU_DEP_3)
	v_and_b32_e32 v2, 0x7c, v2
	v_permlanex16_b32 v21, v1, s2, 0xfedcba98 op_sel:[1,1]
	s_delay_alu instid0(VALU_DEP_1)
	v_cmp_gt_f32_e32 vcc_lo, v1, v21
	v_cndmask_b32_e32 v1, v21, v1, vcc_lo
	ds_store_b32 v2, v1
.LBB102_40:
	s_or_b32 exec_lo, exec_lo, s3
	s_waitcnt lgkmcnt(0)
	s_barrier
	buffer_gl0_inv
	ds_load_b32 v1, v10
	v_cmp_eq_u32_e64 s3, 0, v0
	s_waitcnt lgkmcnt(0)
	v_mov_b32_dpp v2, v1 quad_perm:[1,0,3,2] row_mask:0xf bank_mask:0xf
	s_delay_alu instid0(VALU_DEP_1) | instskip(SKIP_1) | instid1(VALU_DEP_1)
	v_cmp_gt_f32_e32 vcc_lo, v1, v2
	v_cndmask_b32_e32 v1, v2, v1, vcc_lo
	v_mov_b32_dpp v2, v1 quad_perm:[2,3,0,1] row_mask:0xf bank_mask:0xf
	s_delay_alu instid0(VALU_DEP_1) | instskip(SKIP_1) | instid1(VALU_DEP_1)
	v_cmp_gt_f32_e32 vcc_lo, v1, v2
	v_cndmask_b32_e32 v1, v2, v1, vcc_lo
	v_mov_b32_dpp v2, v1 row_xmask:7 row_mask:0xf bank_mask:0xf
	s_delay_alu instid0(VALU_DEP_1) | instskip(SKIP_1) | instid1(VALU_DEP_1)
	v_cmp_gt_f32_e32 vcc_lo, v1, v2
	v_cndmask_b32_e32 v1, v2, v1, vcc_lo
	v_dual_mul_f32 v22, 0x3c010204, v1 :: v_dual_mov_b32 v1, s20
	v_mov_b32_e32 v2, s21
.LBB102_41:
	s_and_saveexec_b32 s2, s3
	s_cbranch_execz .LBB102_43
; %bb.42:
	s_delay_alu instid0(VALU_DEP_1) | instskip(NEXT) | instid1(VALU_DEP_1)
	v_lshlrev_b64 v[0:1], 2, v[1:2]
	v_add_co_u32 v0, vcc_lo, s8, v0
	s_delay_alu instid0(VALU_DEP_2)
	v_add_co_ci_u32_e32 v1, vcc_lo, s9, v1, vcc_lo
	global_store_b32 v[0:1], v22, off
.LBB102_43:
	s_or_b32 exec_lo, exec_lo, s2
	;;#ASMSTART
	v_rcp_f32 v0, v22
	;;#ASMEND
	v_mul_f32_e32 v10, v17, v0
	v_mul_f32_e32 v15, v15, v0
	v_mul_f32_e32 v5, v5, v0
	v_mul_f32_e32 v17, v18, v0
	v_mul_f32_e32 v11, v11, v0
	v_cvt_i32_f32_e32 v10, v10
	v_mul_f32_e32 v1, v19, v0
	v_cvt_i32_f32_e32 v15, v15
	v_mul_f32_e32 v2, v20, v0
	s_delay_alu instid0(VALU_DEP_4) | instskip(NEXT) | instid1(VALU_DEP_4)
	v_dual_mul_f32 v7, v7, v0 :: v_dual_and_b32 v10, 0xff, v10
	v_cvt_i32_f32_e32 v1, v1
	s_delay_alu instid0(VALU_DEP_4) | instskip(NEXT) | instid1(VALU_DEP_4)
	v_and_b32_e32 v15, 0xff, v15
	v_cvt_i32_f32_e32 v2, v2
	v_cvt_i32_f32_e32 v5, v5
	s_delay_alu instid0(VALU_DEP_4) | instskip(SKIP_1) | instid1(VALU_DEP_4)
	v_dual_mul_f32 v14, v14, v0 :: v_dual_and_b32 v1, 0xff, v1
	v_cvt_i32_f32_e32 v17, v17
	v_lshlrev_b16 v2, 8, v2
	s_delay_alu instid0(VALU_DEP_4) | instskip(NEXT) | instid1(VALU_DEP_4)
	v_and_b32_e32 v5, 0xff, v5
	v_cvt_i32_f32_e32 v14, v14
	v_mul_f32_e32 v12, v12, v0
	v_cvt_i32_f32_e32 v11, v11
	v_or_b32_e32 v1, v1, v2
	v_mul_f32_e32 v16, v16, v0
	v_mul_f32_e32 v8, v8, v0
	v_mul_f32_e32 v6, v6, v0
	v_mul_f32_e32 v4, v4, v0
	v_lshlrev_b16 v17, 8, v17
	v_cvt_i32_f32_e32 v16, v16
	s_load_b64 s[0:1], s[0:1], 0x0
	v_and_b32_e32 v11, 0xff, v11
	s_add_i32 s2, s5, 3
	v_or_b32_e32 v10, v10, v17
	v_lshlrev_b16 v16, 8, v16
	s_ashr_i32 s3, s6, 31
	s_mul_hi_u32 s4, s6, s20
	s_mul_i32 s5, s6, s20
	v_and_b32_e32 v2, 0xffff, v10
	v_or_b32_e32 v15, v15, v16
	v_mul_f32_e32 v13, v13, v0
	v_mul_f32_e32 v0, v3, v0
	v_cvt_i32_f32_e32 v3, v7
	v_cvt_i32_f32_e32 v7, v8
	v_lshlrev_b32_e32 v10, 16, v15
	v_cvt_i32_f32_e32 v13, v13
	v_and_b32_e32 v15, 0xffff, v1
	v_and_b32_e32 v3, 0xff, v3
	v_cvt_i32_f32_e32 v6, v6
	v_cvt_i32_f32_e32 v0, v0
	v_lshlrev_b16 v1, 8, v13
	v_and_b32_e32 v13, 0xff, v14
	v_cvt_i32_f32_e32 v12, v12
	v_lshlrev_b16 v6, 8, v6
	v_and_b32_e32 v0, 0xff, v0
	v_lshlrev_b16 v7, 8, v7
	v_or_b32_e32 v1, v13, v1
	v_lshlrev_b16 v8, 8, v12
	v_or_b32_e32 v5, v5, v6
	s_ashr_i32 s6, s2, 31
	v_or_b32_e32 v3, v3, v7
	s_lshr_b32 s6, s6, 30
	v_lshlrev_b32_e32 v6, 16, v1
	v_and_b32_e32 v5, 0xffff, v5
	v_cvt_i32_f32_e32 v4, v4
	s_mul_i32 s3, s3, s20
	s_add_i32 s2, s2, s6
	s_add_i32 s4, s4, s3
	s_and_b32 s2, s2, -4
	v_lshlrev_b16 v4, 8, v4
	s_waitcnt lgkmcnt(0)
	s_add_u32 s0, s0, s5
	v_or_b32_e32 v1, v2, v10
	s_addc_u32 s1, s1, s4
	s_mov_b32 s3, -1
	v_or_b32_e32 v0, v0, v4
	v_or_b32_e32 v4, v11, v8
	v_lshlrev_b32_e32 v8, 16, v3
	s_and_b32 s1, s1, 0xffff
	s_movk_i32 s4, 0x100
	v_lshlrev_b32_e32 v7, 16, v0
	v_and_b32_e32 v4, 0xffff, v4
	v_or_b32_e32 v0, v15, v6
	s_delay_alu instid0(VALU_DEP_3) | instskip(NEXT) | instid1(VALU_DEP_3)
	v_or_b32_e32 v3, v5, v7
	v_or_b32_e32 v2, v4, v8
	buffer_store_b64 v[0:1], v9, s[0:3], 0 offen
	;;#ASMSTART
	s_nop 0
	;;#ASMEND
	buffer_store_b64 v[2:3], v9, s[0:3], s4 offen
	;;#ASMSTART
	s_nop 0
	;;#ASMEND
.LBB102_44:
	s_nop 0
	s_sendmsg sendmsg(MSG_DEALLOC_VGPRS)
	s_endpgm
.LBB102_45:
                                        ; implicit-def: $vgpr1_vgpr2
	s_branch .LBB102_32
	.section	.rodata,"a",@progbits
	.p2align	6, 0x0
	.amdhsa_kernel _ZN5aiter24add_rmsnorm_quant_kernelItaLi256ELi16ELb0ELb1ELb1ELi1EEEvPT0_PT_PfS4_S4_S4_diiiiiiib
		.amdhsa_group_segment_fixed_size 64
		.amdhsa_private_segment_fixed_size 0
		.amdhsa_kernarg_size 88
		.amdhsa_user_sgpr_count 15
		.amdhsa_user_sgpr_dispatch_ptr 0
		.amdhsa_user_sgpr_queue_ptr 0
		.amdhsa_user_sgpr_kernarg_segment_ptr 1
		.amdhsa_user_sgpr_dispatch_id 0
		.amdhsa_user_sgpr_private_segment_size 0
		.amdhsa_wavefront_size32 1
		.amdhsa_uses_dynamic_stack 0
		.amdhsa_enable_private_segment 0
		.amdhsa_system_sgpr_workgroup_id_x 1
		.amdhsa_system_sgpr_workgroup_id_y 0
		.amdhsa_system_sgpr_workgroup_id_z 0
		.amdhsa_system_sgpr_workgroup_info 0
		.amdhsa_system_vgpr_workitem_id 0
		.amdhsa_next_free_vgpr 43
		.amdhsa_next_free_sgpr 29
		.amdhsa_reserve_vcc 1
		.amdhsa_float_round_mode_32 0
		.amdhsa_float_round_mode_16_64 0
		.amdhsa_float_denorm_mode_32 3
		.amdhsa_float_denorm_mode_16_64 3
		.amdhsa_dx10_clamp 1
		.amdhsa_ieee_mode 1
		.amdhsa_fp16_overflow 0
		.amdhsa_workgroup_processor_mode 1
		.amdhsa_memory_ordered 1
		.amdhsa_forward_progress 0
		.amdhsa_shared_vgpr_count 0
		.amdhsa_exception_fp_ieee_invalid_op 0
		.amdhsa_exception_fp_denorm_src 0
		.amdhsa_exception_fp_ieee_div_zero 0
		.amdhsa_exception_fp_ieee_overflow 0
		.amdhsa_exception_fp_ieee_underflow 0
		.amdhsa_exception_fp_ieee_inexact 0
		.amdhsa_exception_int_div_zero 0
	.end_amdhsa_kernel
	.section	.text._ZN5aiter24add_rmsnorm_quant_kernelItaLi256ELi16ELb0ELb1ELb1ELi1EEEvPT0_PT_PfS4_S4_S4_diiiiiiib,"axG",@progbits,_ZN5aiter24add_rmsnorm_quant_kernelItaLi256ELi16ELb0ELb1ELb1ELi1EEEvPT0_PT_PfS4_S4_S4_diiiiiiib,comdat
.Lfunc_end102:
	.size	_ZN5aiter24add_rmsnorm_quant_kernelItaLi256ELi16ELb0ELb1ELb1ELi1EEEvPT0_PT_PfS4_S4_S4_diiiiiiib, .Lfunc_end102-_ZN5aiter24add_rmsnorm_quant_kernelItaLi256ELi16ELb0ELb1ELb1ELi1EEEvPT0_PT_PfS4_S4_S4_diiiiiiib
                                        ; -- End function
	.section	.AMDGPU.csdata,"",@progbits
; Kernel info:
; codeLenInByte = 3956
; NumSgprs: 31
; NumVgprs: 43
; ScratchSize: 0
; MemoryBound: 0
; FloatMode: 240
; IeeeMode: 1
; LDSByteSize: 64 bytes/workgroup (compile time only)
; SGPRBlocks: 3
; VGPRBlocks: 5
; NumSGPRsForWavesPerEU: 31
; NumVGPRsForWavesPerEU: 43
; Occupancy: 16
; WaveLimiterHint : 0
; COMPUTE_PGM_RSRC2:SCRATCH_EN: 0
; COMPUTE_PGM_RSRC2:USER_SGPR: 15
; COMPUTE_PGM_RSRC2:TRAP_HANDLER: 0
; COMPUTE_PGM_RSRC2:TGID_X_EN: 1
; COMPUTE_PGM_RSRC2:TGID_Y_EN: 0
; COMPUTE_PGM_RSRC2:TGID_Z_EN: 0
; COMPUTE_PGM_RSRC2:TIDIG_COMP_CNT: 0
	.section	.text._ZN5aiter24add_rmsnorm_quant_kernelIDF16_aLi256ELi16ELb0ELb1ELb0ELi1EEEvPT0_PT_PfS4_S4_S4_diiiiiiib,"axG",@progbits,_ZN5aiter24add_rmsnorm_quant_kernelIDF16_aLi256ELi16ELb0ELb1ELb0ELi1EEEvPT0_PT_PfS4_S4_S4_diiiiiiib,comdat
	.protected	_ZN5aiter24add_rmsnorm_quant_kernelIDF16_aLi256ELi16ELb0ELb1ELb0ELi1EEEvPT0_PT_PfS4_S4_S4_diiiiiiib ; -- Begin function _ZN5aiter24add_rmsnorm_quant_kernelIDF16_aLi256ELi16ELb0ELb1ELb0ELi1EEEvPT0_PT_PfS4_S4_S4_diiiiiiib
	.globl	_ZN5aiter24add_rmsnorm_quant_kernelIDF16_aLi256ELi16ELb0ELb1ELb0ELi1EEEvPT0_PT_PfS4_S4_S4_diiiiiiib
	.p2align	8
	.type	_ZN5aiter24add_rmsnorm_quant_kernelIDF16_aLi256ELi16ELb0ELb1ELb0ELi1EEEvPT0_PT_PfS4_S4_S4_diiiiiiib,@function
_ZN5aiter24add_rmsnorm_quant_kernelIDF16_aLi256ELi16ELb0ELb1ELb0ELi1EEEvPT0_PT_PfS4_S4_S4_diiiiiiib: ; @_ZN5aiter24add_rmsnorm_quant_kernelIDF16_aLi256ELi16ELb0ELb1ELb0ELi1EEEvPT0_PT_PfS4_S4_S4_diiiiiiib
; %bb.0:
	s_load_b128 s[4:7], s[0:1], 0x38
	s_mov_b32 s20, s15
	s_mov_b32 s21, 0
	s_waitcnt lgkmcnt(0)
	s_ashr_i32 s3, s4, 31
	s_mov_b32 s2, s4
	s_delay_alu instid0(SALU_CYCLE_1) | instskip(NEXT) | instid1(VALU_DEP_1)
	v_cmp_ge_i64_e64 s2, s[20:21], s[2:3]
	s_and_b32 vcc_lo, exec_lo, s2
	s_cbranch_vccnz .LBB103_44
; %bb.1:
	s_clause 0x1
	s_load_b128 s[8:11], s[0:1], 0x10
	s_load_b128 s[16:19], s[0:1], 0x28
	s_ashr_i32 s2, s6, 31
	s_mul_hi_u32 s3, s6, s20
	s_mul_i32 s7, s2, s20
	s_mul_i32 s2, s6, s20
	s_add_i32 s3, s3, s7
	v_lshlrev_b32_e32 v1, 5, v0
	s_lshl_b64 s[2:3], s[2:3], 1
	s_mov_b32 s15, -1
	v_and_b32_e32 v27, 31, v0
	s_mov_b32 s27, s15
	s_waitcnt lgkmcnt(0)
	s_add_u32 s12, s10, s2
	s_addc_u32 s2, s11, s3
	s_add_i32 s3, s5, 1
	s_and_b32 s13, s2, 0xffff
	s_lshr_b32 s6, s3, 31
	s_mov_b32 s24, s16
	s_add_i32 s3, s3, s6
	s_and_b32 s25, s17, 0xffff
	s_lshl_b32 s3, s3, 1
	v_cmp_eq_u32_e64 s2, 31, v27
	s_and_b32 s14, s3, -4
	s_clause 0x1
	buffer_load_b128 v[13:16], v1, s[12:15], 0 offen
	buffer_load_b128 v[17:20], v1, s[12:15], 16 offen
	s_mov_b32 s26, s14
	s_clause 0x1
	buffer_load_b128 v[5:8], v1, s[24:27], 0 offen
	buffer_load_b128 v[1:4], v1, s[24:27], 16 offen
	s_waitcnt vmcnt(3)
	v_lshrrev_b32_e32 v9, 16, v13
	v_cvt_f32_f16_e32 v12, v14
	v_lshrrev_b32_e32 v21, 16, v15
	v_lshrrev_b32_e32 v23, 16, v16
	s_waitcnt vmcnt(2)
	v_lshrrev_b32_e32 v24, 16, v17
	v_cvt_f32_f16_e32 v11, v9
	v_lshrrev_b32_e32 v28, 16, v19
	v_cvt_f32_f16_e32 v25, v21
	v_cvt_f32_f16_e32 v23, v23
	;; [unrolled: 1-line block ×3, first 2 shown]
	v_mul_f32_e32 v9, v11, v11
	v_cvt_f32_f16_e32 v21, v28
	s_delay_alu instid0(VALU_DEP_2) | instskip(SKIP_1) | instid1(VALU_DEP_2)
	v_fma_mix_f32 v9, v13, v13, v9 op_sel_hi:[1,1,0]
	v_cvt_f32_f16_e32 v13, v13
	v_fma_mix_f32 v9, v14, v14, v9 op_sel_hi:[1,1,0]
	s_delay_alu instid0(VALU_DEP_1) | instskip(NEXT) | instid1(VALU_DEP_1)
	v_fma_mix_f32 v9, v14, v14, v9 op_sel:[1,1,0] op_sel_hi:[1,1,0]
	v_fma_mix_f32 v9, v15, v15, v9 op_sel_hi:[1,1,0]
	s_delay_alu instid0(VALU_DEP_1) | instskip(NEXT) | instid1(VALU_DEP_1)
	v_fma_mix_f32 v9, v15, v15, v9 op_sel:[1,1,0] op_sel_hi:[1,1,0]
	;; [unrolled: 3-line block ×7, first 2 shown]
	v_mov_b32_dpp v10, v9 quad_perm:[1,0,3,2] row_mask:0xf bank_mask:0xf
	s_delay_alu instid0(VALU_DEP_1)
	v_add_f32_e32 v9, v9, v10
	v_lshrrev_b32_e32 v10, 16, v14
	v_cvt_f32_f16_e32 v14, v15
	v_cvt_f32_f16_e32 v15, v16
	;; [unrolled: 1-line block ×3, first 2 shown]
	v_mov_b32_dpp v22, v9 quad_perm:[2,3,0,1] row_mask:0xf bank_mask:0xf
	v_cvt_f32_f16_e32 v17, v18
	v_cvt_f32_f16_e32 v26, v10
	s_delay_alu instid0(VALU_DEP_3)
	v_add_f32_e32 v9, v9, v22
	v_lshrrev_b32_e32 v22, 16, v18
	v_cvt_f32_f16_e32 v18, v19
	v_cvt_f32_f16_e32 v19, v20
	v_lshrrev_b32_e32 v20, 16, v20
	v_mov_b32_dpp v29, v9 row_xmask:7 row_mask:0xf bank_mask:0xf
	v_cvt_f32_f16_e32 v22, v22
	s_delay_alu instid0(VALU_DEP_3) | instskip(NEXT) | instid1(VALU_DEP_3)
	v_cvt_f32_f16_e32 v20, v20
	v_add_f32_e32 v9, v9, v29
	s_delay_alu instid0(VALU_DEP_1)
	v_mov_b32_dpp v10, v9 row_xmask:15 row_mask:0xf bank_mask:0xf
	s_and_saveexec_b32 s3, s2
	s_cbranch_execz .LBB103_3
; %bb.2:
	s_delay_alu instid0(VALU_DEP_1) | instskip(SKIP_2) | instid1(VALU_DEP_2)
	v_add_f32_e32 v9, v9, v10
	s_mov_b32 s6, 0x76543210
	v_lshrrev_b32_e32 v10, 3, v0
	v_permlanex16_b32 v27, v9, s6, 0xfedcba98 op_sel:[1,1]
	s_delay_alu instid0(VALU_DEP_1)
	v_dual_add_f32 v9, v9, v27 :: v_dual_and_b32 v10, 0x7c, v10
	ds_store_b32 v10, v9 offset:32
.LBB103_3:
	s_or_b32 exec_lo, exec_lo, s3
	v_and_b32_e32 v9, 7, v0
	s_waitcnt vmcnt(0) lgkmcnt(0)
	s_barrier
	buffer_gl0_inv
	v_cvt_f32_i32_e32 v28, s5
	v_lshlrev_b32_e32 v10, 2, v9
	v_cvt_f32_f16_e32 v33, v2
	v_lshrrev_b32_e32 v2, 16, v2
	v_cvt_f32_f16_e32 v34, v3
	v_lshrrev_b32_e32 v3, 16, v3
	ds_load_b32 v9, v10 offset:32
	v_cvt_f32_f16_e32 v35, v4
	v_lshrrev_b32_e32 v4, 16, v4
	v_cvt_f32_f16_e32 v2, v2
	s_clause 0x1
	s_load_b64 s[6:7], s[0:1], 0x4c
	s_load_b32 s10, s[0:1], 0x54
	v_mov_b32_e32 v36, 0x2edbe6ff
	v_cvt_f32_f16_e32 v38, v4
	s_waitcnt lgkmcnt(0)
	v_mov_b32_dpp v27, v9 quad_perm:[1,0,3,2] row_mask:0xf bank_mask:0xf
	s_cmp_lg_u32 s7, 0
	s_delay_alu instid0(VALU_DEP_1) | instskip(NEXT) | instid1(VALU_DEP_1)
	v_add_f32_e32 v9, v9, v27
	v_mov_b32_dpp v27, v9 quad_perm:[2,3,0,1] row_mask:0xf bank_mask:0xf
	s_delay_alu instid0(VALU_DEP_1) | instskip(NEXT) | instid1(VALU_DEP_1)
	v_add_f32_e32 v9, v9, v27
	v_mov_b32_dpp v27, v9 row_xmask:7 row_mask:0xf bank_mask:0xf
	s_delay_alu instid0(VALU_DEP_1) | instskip(NEXT) | instid1(VALU_DEP_1)
	v_add_f32_e32 v9, v9, v27
	v_div_scale_f32 v27, null, v28, v28, v9
	v_div_scale_f32 v31, vcc_lo, v9, v28, v9
	s_delay_alu instid0(VALU_DEP_2) | instskip(SKIP_2) | instid1(VALU_DEP_1)
	v_rcp_f32_e32 v29, v27
	s_waitcnt_depctr 0xfff
	v_fma_f32 v30, -v27, v29, 1.0
	v_fmac_f32_e32 v29, v30, v29
	s_delay_alu instid0(VALU_DEP_1) | instskip(NEXT) | instid1(VALU_DEP_1)
	v_mul_f32_e32 v30, v31, v29
	v_fma_f32 v32, -v27, v30, v31
	s_delay_alu instid0(VALU_DEP_1) | instskip(SKIP_2) | instid1(VALU_DEP_3)
	v_fmac_f32_e32 v30, v32, v29
	v_cvt_f32_f16_e32 v32, v1
	v_lshrrev_b32_e32 v1, 16, v1
	v_fma_f32 v27, -v27, v30, v31
	v_cvt_f32_f16_e32 v31, v8
	s_delay_alu instid0(VALU_DEP_3) | instskip(SKIP_1) | instid1(VALU_DEP_4)
	v_cvt_f32_f16_e32 v1, v1
	v_lshrrev_b32_e32 v8, 16, v8
	v_div_fmas_f32 v27, v27, v29, v30
	v_cvt_f32_f16_e32 v30, v6
	v_lshrrev_b32_e32 v6, 16, v6
	s_delay_alu instid0(VALU_DEP_4) | instskip(NEXT) | instid1(VALU_DEP_4)
	v_cvt_f32_f16_e32 v8, v8
	v_div_fixup_f32 v9, v27, v28, v9
	s_delay_alu instid0(VALU_DEP_3) | instskip(NEXT) | instid1(VALU_DEP_2)
	v_cvt_f32_f16_e32 v6, v6
	v_cvt_f64_f32_e32 v[27:28], v9
	s_delay_alu instid0(VALU_DEP_1) | instskip(NEXT) | instid1(VALU_DEP_1)
	v_add_f64 v[27:28], v[27:28], s[18:19]
	v_cvt_f32_f64_e32 v27, v[27:28]
	v_cvt_f32_f16_e32 v28, v5
	v_lshrrev_b32_e32 v5, 16, v5
	s_delay_alu instid0(VALU_DEP_1) | instskip(NEXT) | instid1(VALU_DEP_4)
	v_cvt_f32_f16_e32 v5, v5
	v_mul_f32_e32 v29, 0x4b800000, v27
	v_cmp_gt_f32_e32 vcc_lo, 0x800000, v27
	s_delay_alu instid0(VALU_DEP_2) | instskip(SKIP_2) | instid1(VALU_DEP_3)
	v_cndmask_b32_e32 v27, v27, v29, vcc_lo
	v_cvt_f32_f16_e32 v29, v7
	v_lshrrev_b32_e32 v7, 16, v7
	v_rsq_f32_e32 v27, v27
	s_delay_alu instid0(VALU_DEP_1) | instskip(SKIP_2) | instid1(VALU_DEP_1)
	v_cvt_f32_f16_e32 v7, v7
	s_waitcnt_depctr 0xfff
	v_mul_f32_e32 v37, 0x45800000, v27
	v_cndmask_b32_e32 v27, v27, v37, vcc_lo
	v_lshlrev_b32_e32 v9, 4, v0
	v_cvt_f32_f16_e32 v37, v3
	s_delay_alu instid0(VALU_DEP_3)
	v_mul_f32_e32 v3, v27, v13
	v_mul_f32_e32 v4, v27, v11
	;; [unrolled: 1-line block ×10, first 2 shown]
	v_dual_mul_f32 v12, v24, v1 :: v_dual_mul_f32 v25, v27, v15
	v_dual_mul_f32 v16, v13, v29 :: v_dual_mul_f32 v15, v14, v7
	v_mul_f32_e32 v21, v27, v21
	v_mul_f32_e32 v39, v27, v17
	s_delay_alu instid0(VALU_DEP_4) | instskip(NEXT) | instid1(VALU_DEP_4)
	v_dual_mul_f32 v22, v27, v22 :: v_dual_mul_f32 v13, v25, v31
	v_and_b32_e32 v24, 0x7fffffff, v15
	v_mul_f32_e32 v23, v27, v23
	s_delay_alu instid0(VALU_DEP_1)
	v_dual_mul_f32 v14, v23, v8 :: v_dual_and_b32 v25, 0x7fffffff, v13
	v_mul_f32_e32 v41, v27, v19
	v_dual_mul_f32 v27, v27, v20 :: v_dual_mul_f32 v20, v4, v5
	v_mul_f32_e32 v4, v22, v2
	v_mul_f32_e32 v17, v11, v30
	v_dual_mul_f32 v11, v26, v32 :: v_dual_and_b32 v22, 0x7fffffff, v18
	s_delay_alu instid0(VALU_DEP_4) | instskip(SKIP_3) | instid1(VALU_DEP_3)
	v_and_b32_e32 v2, 0x7fffffff, v20
	v_mul_f32_e32 v19, v3, v28
	v_dual_mul_f32 v3, v39, v33 :: v_dual_and_b32 v28, 0x7fffffff, v12
	v_dual_mul_f32 v7, v40, v34 :: v_dual_and_b32 v30, 0x7fffffff, v4
	v_and_b32_e32 v1, 0x7fffffff, v19
	;;#ASMSTART
	v_max3_f32 v1, v36, v1, v2

	;;#ASMEND
	v_mul_f32_e32 v8, v21, v37
	v_dual_mul_f32 v6, v27, v38 :: v_dual_and_b32 v21, 0x7fffffff, v17
	v_dual_mul_f32 v5, v41, v35 :: v_dual_and_b32 v26, 0x7fffffff, v14
	;;#ASMSTART
	v_max3_f32 v1, v1, v21, v22

	;;#ASMEND
	v_and_b32_e32 v23, 0x7fffffff, v16
	;;#ASMSTART
	v_max3_f32 v1, v1, v23, v24

	;;#ASMEND
	;;#ASMSTART
	v_max3_f32 v1, v1, v25, v26

	;;#ASMEND
	v_and_b32_e32 v27, 0x7fffffff, v11
	;;#ASMSTART
	v_max3_f32 v1, v1, v27, v28

	;;#ASMEND
	v_and_b32_e32 v29, 0x7fffffff, v3
	;; [unrolled: 5-line block ×3, first 2 shown]
	v_and_b32_e32 v32, 0x7fffffff, v8
	v_and_b32_e32 v33, 0x7fffffff, v5
	;; [unrolled: 1-line block ×3, first 2 shown]
	;;#ASMSTART
	v_max3_f32 v1, v1, v31, v32

	;;#ASMEND
	;;#ASMSTART
	v_max3_f32 v21, v1, v33, v34

	;;#ASMEND
	s_cbranch_scc0 .LBB103_10
; %bb.4:
	s_ashr_i32 s11, s7, 31
	s_delay_alu instid0(SALU_CYCLE_1) | instskip(NEXT) | instid1(SALU_CYCLE_1)
	s_lshr_b32 s3, s11, 28
	s_add_i32 s3, s7, s3
	s_delay_alu instid0(SALU_CYCLE_1) | instskip(NEXT) | instid1(SALU_CYCLE_1)
	s_ashr_i32 s3, s3, 4
	s_cmp_lt_i32 s3, 8
	s_cbranch_scc1 .LBB103_11
; %bb.5:
	s_cmp_lt_i32 s3, 16
	s_cbranch_scc1 .LBB103_12
; %bb.6:
	;; [unrolled: 3-line block ×3, first 2 shown]
	v_mov_b32_e32 v1, v21
	s_cmp_eq_u32 s3, 32
	s_cbranch_scc0 .LBB103_9
; %bb.8:
	s_delay_alu instid0(VALU_DEP_1) | instskip(SKIP_1) | instid1(VALU_DEP_1)
	v_mov_b32_dpp v1, v21 quad_perm:[1,0,3,2] row_mask:0xf bank_mask:0xf
	s_mov_b32 s12, 0x76543210
	v_cmp_gt_f32_e32 vcc_lo, v21, v1
	v_cndmask_b32_e32 v1, v1, v21, vcc_lo
	s_delay_alu instid0(VALU_DEP_1) | instskip(NEXT) | instid1(VALU_DEP_1)
	v_mov_b32_dpp v2, v1 quad_perm:[2,3,0,1] row_mask:0xf bank_mask:0xf
	v_cmp_gt_f32_e32 vcc_lo, v1, v2
	v_cndmask_b32_e32 v1, v2, v1, vcc_lo
	s_delay_alu instid0(VALU_DEP_1) | instskip(NEXT) | instid1(VALU_DEP_1)
	v_mov_b32_dpp v2, v1 row_xmask:7 row_mask:0xf bank_mask:0xf
	v_cmp_gt_f32_e32 vcc_lo, v1, v2
	v_cndmask_b32_e32 v1, v2, v1, vcc_lo
	s_delay_alu instid0(VALU_DEP_1) | instskip(NEXT) | instid1(VALU_DEP_1)
	v_mov_b32_dpp v2, v1 row_xmask:15 row_mask:0xf bank_mask:0xf
	v_cmp_gt_f32_e32 vcc_lo, v1, v2
	v_cndmask_b32_e32 v1, v2, v1, vcc_lo
	s_delay_alu instid0(VALU_DEP_1) | instskip(NEXT) | instid1(VALU_DEP_1)
	v_permlanex16_b32 v2, v1, s12, 0xfedcba98 op_sel:[1,1]
	v_cmp_gt_f32_e32 vcc_lo, v1, v2
	v_cndmask_b32_e32 v1, v2, v1, vcc_lo
.LBB103_9:
	s_mov_b32 s12, 0
	s_branch .LBB103_14
.LBB103_10:
	s_mov_b32 s3, 0
                                        ; implicit-def: $vgpr22
                                        ; implicit-def: $vgpr1_vgpr2
	s_and_b32 vcc_lo, exec_lo, s15
	s_cbranch_vccnz .LBB103_38
	s_branch .LBB103_41
.LBB103_11:
                                        ; implicit-def: $vgpr1
	s_branch .LBB103_21
.LBB103_12:
                                        ; implicit-def: $vgpr1
	s_branch .LBB103_18
.LBB103_13:
	s_mov_b32 s12, -1
                                        ; implicit-def: $vgpr1
.LBB103_14:
	s_delay_alu instid0(SALU_CYCLE_1)
	s_and_not1_b32 vcc_lo, exec_lo, s12
	s_cbranch_vccnz .LBB103_17
; %bb.15:
	v_mov_b32_e32 v1, v21
	s_cmp_eq_u32 s3, 16
	s_cbranch_scc0 .LBB103_17
; %bb.16:
	s_delay_alu instid0(VALU_DEP_1) | instskip(NEXT) | instid1(VALU_DEP_1)
	v_mov_b32_dpp v1, v21 quad_perm:[1,0,3,2] row_mask:0xf bank_mask:0xf
	v_cmp_gt_f32_e32 vcc_lo, v21, v1
	v_cndmask_b32_e32 v1, v1, v21, vcc_lo
	s_delay_alu instid0(VALU_DEP_1) | instskip(NEXT) | instid1(VALU_DEP_1)
	v_mov_b32_dpp v2, v1 quad_perm:[2,3,0,1] row_mask:0xf bank_mask:0xf
	v_cmp_gt_f32_e32 vcc_lo, v1, v2
	v_cndmask_b32_e32 v1, v2, v1, vcc_lo
	s_delay_alu instid0(VALU_DEP_1) | instskip(NEXT) | instid1(VALU_DEP_1)
	v_mov_b32_dpp v2, v1 row_half_mirror row_mask:0xf bank_mask:0xf
	v_cmp_gt_f32_e32 vcc_lo, v1, v2
	v_cndmask_b32_e32 v1, v2, v1, vcc_lo
	s_delay_alu instid0(VALU_DEP_1) | instskip(NEXT) | instid1(VALU_DEP_1)
	v_mov_b32_dpp v2, v1 row_mirror row_mask:0xf bank_mask:0xf
	v_cmp_gt_f32_e32 vcc_lo, v1, v2
	v_cndmask_b32_e32 v1, v2, v1, vcc_lo
.LBB103_17:
	s_cbranch_execnz .LBB103_20
.LBB103_18:
	v_mov_b32_e32 v1, v21
	s_cmp_eq_u32 s3, 8
	s_cbranch_scc0 .LBB103_20
; %bb.19:
	s_delay_alu instid0(VALU_DEP_1) | instskip(NEXT) | instid1(VALU_DEP_1)
	v_mov_b32_dpp v1, v21 quad_perm:[1,0,3,2] row_mask:0xf bank_mask:0xf
	v_cmp_gt_f32_e32 vcc_lo, v21, v1
	v_cndmask_b32_e32 v1, v1, v21, vcc_lo
	s_delay_alu instid0(VALU_DEP_1) | instskip(NEXT) | instid1(VALU_DEP_1)
	v_mov_b32_dpp v2, v1 quad_perm:[2,3,0,1] row_mask:0xf bank_mask:0xf
	v_cmp_gt_f32_e32 vcc_lo, v1, v2
	v_cndmask_b32_e32 v1, v2, v1, vcc_lo
	s_delay_alu instid0(VALU_DEP_1) | instskip(NEXT) | instid1(VALU_DEP_1)
	v_mov_b32_dpp v2, v1 row_half_mirror row_mask:0xf bank_mask:0xf
	v_cmp_gt_f32_e32 vcc_lo, v1, v2
	v_cndmask_b32_e32 v1, v2, v1, vcc_lo
.LBB103_20:
	s_cbranch_execnz .LBB103_28
.LBB103_21:
	s_cmp_lt_i32 s3, 4
	s_cbranch_scc1 .LBB103_24
; %bb.22:
	v_mov_b32_e32 v1, v21
	s_cmp_eq_u32 s3, 4
	s_cbranch_scc0 .LBB103_25
; %bb.23:
	s_delay_alu instid0(VALU_DEP_1) | instskip(NEXT) | instid1(VALU_DEP_1)
	v_mov_b32_dpp v1, v21 quad_perm:[1,0,3,2] row_mask:0xf bank_mask:0xf
	v_cmp_gt_f32_e32 vcc_lo, v21, v1
	v_cndmask_b32_e32 v1, v1, v21, vcc_lo
	s_delay_alu instid0(VALU_DEP_1) | instskip(NEXT) | instid1(VALU_DEP_1)
	v_mov_b32_dpp v2, v1 quad_perm:[2,3,0,1] row_mask:0xf bank_mask:0xf
	v_cmp_gt_f32_e32 vcc_lo, v1, v2
	v_cndmask_b32_e32 v1, v2, v1, vcc_lo
	s_cbranch_execz .LBB103_26
	s_branch .LBB103_28
.LBB103_24:
                                        ; implicit-def: $vgpr1
	s_branch .LBB103_26
.LBB103_25:
	s_cbranch_execnz .LBB103_28
.LBB103_26:
	v_mov_b32_e32 v1, v21
	s_cmp_lg_u32 s3, 2
	s_cbranch_scc1 .LBB103_28
; %bb.27:
	s_delay_alu instid0(VALU_DEP_1) | instskip(NEXT) | instid1(VALU_DEP_1)
	v_mov_b32_dpp v1, v21 quad_perm:[1,0,3,2] row_mask:0xf bank_mask:0xf
	v_cmp_gt_f32_e32 vcc_lo, v21, v1
	v_cndmask_b32_e32 v1, v1, v21, vcc_lo
.LBB103_28:
	v_cvt_f32_u32_e32 v2, s3
	s_sub_i32 s12, 0, s3
	s_mov_b32 s15, 0
	s_delay_alu instid0(VALU_DEP_1) | instskip(SKIP_2) | instid1(VALU_DEP_1)
	v_rcp_iflag_f32_e32 v2, v2
	s_waitcnt_depctr 0xfff
	v_mul_f32_e32 v2, 0x4f7ffffe, v2
	v_cvt_u32_f32_e32 v2, v2
	s_delay_alu instid0(VALU_DEP_1) | instskip(NEXT) | instid1(VALU_DEP_1)
	v_mul_lo_u32 v22, s12, v2
	v_mul_hi_u32 v22, v2, v22
	s_delay_alu instid0(VALU_DEP_1) | instskip(NEXT) | instid1(VALU_DEP_1)
	v_add_nc_u32_e32 v2, v2, v22
	v_mul_hi_u32 v2, v0, v2
	s_delay_alu instid0(VALU_DEP_1) | instskip(NEXT) | instid1(VALU_DEP_1)
	v_mul_lo_u32 v22, v2, s3
	v_sub_nc_u32_e32 v22, v0, v22
	s_delay_alu instid0(VALU_DEP_1) | instskip(SKIP_1) | instid1(VALU_DEP_2)
	v_subrev_nc_u32_e32 v24, s3, v22
	v_cmp_le_u32_e32 vcc_lo, s3, v22
	v_dual_cndmask_b32 v22, v22, v24 :: v_dual_add_nc_u32 v23, 1, v2
	s_delay_alu instid0(VALU_DEP_1) | instskip(NEXT) | instid1(VALU_DEP_2)
	v_cndmask_b32_e32 v2, v2, v23, vcc_lo
	v_cmp_le_u32_e32 vcc_lo, s3, v22
	s_delay_alu instid0(VALU_DEP_2) | instskip(NEXT) | instid1(VALU_DEP_1)
	v_dual_mul_f32 v22, 0x3c010204, v1 :: v_dual_add_nc_u32 v23, 1, v2
	v_cndmask_b32_e32 v23, v2, v23, vcc_lo
	v_cmp_gt_u32_e32 vcc_lo, s5, v9
	s_delay_alu instid0(VALU_DEP_2) | instskip(NEXT) | instid1(VALU_DEP_1)
	v_mul_lo_u32 v2, v23, s3
	v_sub_nc_u32_e32 v2, v0, v2
	s_delay_alu instid0(VALU_DEP_1) | instskip(NEXT) | instid1(VALU_DEP_1)
	v_cmp_eq_u32_e64 s3, 0, v2
                                        ; implicit-def: $vgpr1_vgpr2
	s_and_b32 s12, s3, vcc_lo
	s_mov_b32 s3, 0
	s_and_saveexec_b32 s13, s12
	s_delay_alu instid0(SALU_CYCLE_1)
	s_xor_b32 s14, exec_lo, s13
	s_cbranch_execz .LBB103_37
; %bb.29:
	s_bitcmp0_b32 s10, 0
	s_mov_b32 s16, 0
	s_cbranch_scc0 .LBB103_34
; %bb.30:
	s_ashr_i32 s3, s5, 31
	s_mul_hi_u32 s10, s5, s20
	s_mul_i32 s3, s3, s20
	s_mul_i32 s12, s5, s20
	s_add_i32 s13, s10, s3
	s_mov_b32 s10, s7
	s_delay_alu instid0(SALU_CYCLE_1) | instskip(NEXT) | instid1(SALU_CYCLE_1)
	s_or_b64 s[18:19], s[12:13], s[10:11]
	s_mov_b32 s17, s19
	s_delay_alu instid0(SALU_CYCLE_1)
	s_cmp_lg_u64 s[16:17], 0
	s_cbranch_scc0 .LBB103_45
; %bb.31:
	s_add_u32 s18, s10, s11
	s_mov_b32 s16, s11
	s_mov_b32 s17, s11
	s_addc_u32 s19, s11, s11
	s_delay_alu instid0(SALU_CYCLE_1) | instskip(NEXT) | instid1(SALU_CYCLE_1)
	s_xor_b64 s[18:19], s[18:19], s[16:17]
	v_cvt_f32_u32_e32 v1, s18
	v_cvt_f32_u32_e32 v2, s19
	s_sub_u32 s11, 0, s18
	s_subb_u32 s22, 0, s19
	s_delay_alu instid0(VALU_DEP_1) | instskip(NEXT) | instid1(VALU_DEP_1)
	v_fmamk_f32 v1, v2, 0x4f800000, v1
	v_rcp_f32_e32 v1, v1
	s_waitcnt_depctr 0xfff
	v_mul_f32_e32 v1, 0x5f7ffffc, v1
	s_delay_alu instid0(VALU_DEP_1) | instskip(NEXT) | instid1(VALU_DEP_1)
	v_mul_f32_e32 v2, 0x2f800000, v1
	v_trunc_f32_e32 v2, v2
	s_delay_alu instid0(VALU_DEP_1) | instskip(SKIP_1) | instid1(VALU_DEP_2)
	v_fmamk_f32 v1, v2, 0xcf800000, v1
	v_cvt_u32_f32_e32 v2, v2
	v_cvt_u32_f32_e32 v1, v1
	s_delay_alu instid0(VALU_DEP_2) | instskip(NEXT) | instid1(VALU_DEP_2)
	v_readfirstlane_b32 s3, v2
	v_readfirstlane_b32 s7, v1
	s_delay_alu instid0(VALU_DEP_2) | instskip(NEXT) | instid1(VALU_DEP_1)
	s_mul_i32 s23, s11, s3
	s_mul_hi_u32 s25, s11, s7
	s_mul_i32 s24, s22, s7
	s_add_i32 s23, s25, s23
	s_mul_i32 s26, s11, s7
	s_add_i32 s23, s23, s24
	s_mul_hi_u32 s25, s7, s26
	s_mul_hi_u32 s27, s3, s26
	s_mul_i32 s24, s3, s26
	s_mul_hi_u32 s26, s7, s23
	s_mul_i32 s7, s7, s23
	s_mul_hi_u32 s28, s3, s23
	s_add_u32 s7, s25, s7
	s_addc_u32 s25, 0, s26
	s_add_u32 s7, s7, s24
	s_mul_i32 s23, s3, s23
	s_addc_u32 s7, s25, s27
	s_addc_u32 s24, s28, 0
	s_add_u32 s7, s7, s23
	s_addc_u32 s23, 0, s24
	v_add_co_u32 v1, s7, v1, s7
	s_delay_alu instid0(VALU_DEP_1) | instskip(SKIP_1) | instid1(VALU_DEP_1)
	s_cmp_lg_u32 s7, 0
	s_addc_u32 s3, s3, s23
	v_readfirstlane_b32 s7, v1
	s_mul_i32 s23, s11, s3
	s_delay_alu instid0(VALU_DEP_1)
	s_mul_hi_u32 s24, s11, s7
	s_mul_i32 s22, s22, s7
	s_add_i32 s23, s24, s23
	s_mul_i32 s11, s11, s7
	s_add_i32 s23, s23, s22
	s_mul_hi_u32 s24, s3, s11
	s_mul_i32 s25, s3, s11
	s_mul_hi_u32 s11, s7, s11
	s_mul_hi_u32 s26, s7, s23
	s_mul_i32 s7, s7, s23
	s_mul_hi_u32 s22, s3, s23
	s_add_u32 s7, s11, s7
	s_addc_u32 s11, 0, s26
	s_add_u32 s7, s7, s25
	s_mul_i32 s23, s3, s23
	s_addc_u32 s7, s11, s24
	s_addc_u32 s11, s22, 0
	s_add_u32 s7, s7, s23
	s_addc_u32 s11, 0, s11
	v_add_co_u32 v1, s7, v1, s7
	s_delay_alu instid0(VALU_DEP_1) | instskip(SKIP_2) | instid1(VALU_DEP_1)
	s_cmp_lg_u32 s7, 0
	s_addc_u32 s3, s3, s11
	s_ashr_i32 s22, s13, 31
	v_readfirstlane_b32 s7, v1
	s_add_u32 s24, s12, s22
	s_mov_b32 s23, s22
	s_addc_u32 s25, s13, s22
	s_delay_alu instid0(SALU_CYCLE_1) | instskip(NEXT) | instid1(SALU_CYCLE_1)
	s_xor_b64 s[24:25], s[24:25], s[22:23]
	s_mul_i32 s13, s24, s3
	s_mul_hi_u32 s26, s24, s7
	s_mul_hi_u32 s11, s24, s3
	;; [unrolled: 1-line block ×3, first 2 shown]
	s_mul_i32 s7, s25, s7
	s_add_u32 s13, s26, s13
	s_addc_u32 s11, 0, s11
	s_mul_hi_u32 s27, s25, s3
	s_add_u32 s7, s13, s7
	s_mul_i32 s3, s25, s3
	s_addc_u32 s7, s11, s28
	s_addc_u32 s11, s27, 0
	s_add_u32 s7, s7, s3
	s_addc_u32 s11, 0, s11
	s_mul_i32 s27, s18, s7
	s_mul_hi_u32 s3, s18, s7
	s_mul_i32 s26, s18, s11
	v_sub_co_u32 v1, s24, s24, s27
	s_mul_i32 s13, s19, s7
	s_add_i32 s3, s3, s26
	s_delay_alu instid0(SALU_CYCLE_1) | instskip(NEXT) | instid1(VALU_DEP_1)
	s_add_i32 s3, s3, s13
	v_sub_co_u32 v2, s26, v1, s18
	s_sub_i32 s13, s25, s3
	s_cmp_lg_u32 s24, 0
	s_subb_u32 s13, s13, s19
	s_cmp_lg_u32 s26, 0
	v_cmp_le_u32_e32 vcc_lo, s18, v2
	s_subb_u32 s13, s13, 0
	s_delay_alu instid0(SALU_CYCLE_1)
	s_cmp_ge_u32 s13, s19
	v_cndmask_b32_e64 v2, 0, -1, vcc_lo
	s_cselect_b32 s26, -1, 0
	s_cmp_eq_u32 s13, s19
	s_cselect_b32 vcc_lo, -1, 0
	s_add_u32 s13, s7, 1
	v_cndmask_b32_e32 v2, s26, v2, vcc_lo
	s_addc_u32 s26, s11, 0
	s_add_u32 s27, s7, 2
	s_addc_u32 s28, s11, 0
	s_cmp_lg_u32 s24, 0
	v_cmp_le_u32_e32 vcc_lo, s18, v1
	s_subb_u32 s3, s25, s3
	v_mov_b32_e32 v24, s27
	s_cmp_ge_u32 s3, s19
	v_cndmask_b32_e64 v1, 0, -1, vcc_lo
	s_cselect_b32 s18, -1, 0
	s_cmp_eq_u32 s3, s19
	v_cmp_ne_u32_e32 vcc_lo, 0, v2
	v_mov_b32_e32 v2, s28
	s_cselect_b32 s3, -1, 0
	s_xor_b64 s[16:17], s[22:23], s[16:17]
	v_cndmask_b32_e64 v1, s18, v1, s3
	v_cndmask_b32_e32 v24, s13, v24, vcc_lo
	v_cndmask_b32_e32 v2, s26, v2, vcc_lo
	s_delay_alu instid0(VALU_DEP_3) | instskip(NEXT) | instid1(VALU_DEP_2)
	v_cmp_ne_u32_e32 vcc_lo, 0, v1
	v_cndmask_b32_e32 v1, s11, v2, vcc_lo
	s_delay_alu instid0(VALU_DEP_4) | instskip(NEXT) | instid1(VALU_DEP_2)
	v_cndmask_b32_e32 v2, s7, v24, vcc_lo
	v_xor_b32_e32 v24, s17, v1
	s_delay_alu instid0(VALU_DEP_2) | instskip(NEXT) | instid1(VALU_DEP_1)
	v_xor_b32_e32 v2, s16, v2
	v_sub_co_u32 v1, vcc_lo, v2, s16
	s_delay_alu instid0(VALU_DEP_3)
	v_subrev_co_ci_u32_e32 v2, vcc_lo, s17, v24, vcc_lo
	s_cbranch_execnz .LBB103_33
.LBB103_32:
	v_cvt_f32_u32_e32 v1, s10
	s_sub_i32 s7, 0, s10
	s_delay_alu instid0(VALU_DEP_1) | instskip(SKIP_2) | instid1(VALU_DEP_1)
	v_rcp_iflag_f32_e32 v1, v1
	s_waitcnt_depctr 0xfff
	v_mul_f32_e32 v1, 0x4f7ffffe, v1
	v_cvt_u32_f32_e32 v1, v1
	s_delay_alu instid0(VALU_DEP_1) | instskip(NEXT) | instid1(VALU_DEP_1)
	v_readfirstlane_b32 s3, v1
	s_mul_i32 s7, s7, s3
	s_delay_alu instid0(SALU_CYCLE_1) | instskip(NEXT) | instid1(SALU_CYCLE_1)
	s_mul_hi_u32 s7, s3, s7
	s_add_i32 s3, s3, s7
	s_delay_alu instid0(SALU_CYCLE_1) | instskip(NEXT) | instid1(SALU_CYCLE_1)
	s_mul_hi_u32 s3, s12, s3
	s_mul_i32 s7, s3, s10
	s_add_i32 s11, s3, 1
	s_sub_i32 s7, s12, s7
	s_delay_alu instid0(SALU_CYCLE_1)
	s_sub_i32 s12, s7, s10
	s_cmp_ge_u32 s7, s10
	s_cselect_b32 s3, s11, s3
	s_cselect_b32 s7, s12, s7
	s_add_i32 s12, s3, 1
	s_cmp_ge_u32 s7, s10
	s_mov_b32 s11, 0
	s_cselect_b32 s10, s12, s3
	s_delay_alu instid0(SALU_CYCLE_1)
	v_dual_mov_b32 v1, s10 :: v_dual_mov_b32 v2, s11
.LBB103_33:
	s_delay_alu instid0(VALU_DEP_1) | instskip(NEXT) | instid1(VALU_DEP_2)
	v_add_co_u32 v1, vcc_lo, v1, v23
	v_add_co_ci_u32_e32 v2, vcc_lo, 0, v2, vcc_lo
	s_branch .LBB103_36
.LBB103_34:
                                        ; implicit-def: $vgpr1_vgpr2
	s_cbranch_execz .LBB103_36
; %bb.35:
	v_mul_lo_u32 v1, v23, s4
	s_delay_alu instid0(VALU_DEP_1) | instskip(SKIP_1) | instid1(VALU_DEP_2)
	v_ashrrev_i32_e32 v2, 31, v1
	v_add_co_u32 v1, vcc_lo, v1, s20
	v_add_co_ci_u32_e32 v2, vcc_lo, 0, v2, vcc_lo
.LBB103_36:
	s_mov_b32 s3, exec_lo
.LBB103_37:
	s_or_b32 exec_lo, exec_lo, s14
	s_delay_alu instid0(SALU_CYCLE_1)
	s_and_b32 vcc_lo, exec_lo, s15
	s_cbranch_vccz .LBB103_41
.LBB103_38:
	v_mov_b32_dpp v1, v21 quad_perm:[1,0,3,2] row_mask:0xf bank_mask:0xf
	s_delay_alu instid0(VALU_DEP_1) | instskip(SKIP_1) | instid1(VALU_DEP_1)
	v_cmp_gt_f32_e32 vcc_lo, v21, v1
	v_cndmask_b32_e32 v1, v1, v21, vcc_lo
	v_mov_b32_dpp v2, v1 quad_perm:[2,3,0,1] row_mask:0xf bank_mask:0xf
	s_delay_alu instid0(VALU_DEP_1) | instskip(SKIP_1) | instid1(VALU_DEP_1)
	v_cmp_gt_f32_e32 vcc_lo, v1, v2
	v_cndmask_b32_e32 v1, v2, v1, vcc_lo
	v_mov_b32_dpp v2, v1 row_xmask:7 row_mask:0xf bank_mask:0xf
	s_delay_alu instid0(VALU_DEP_1) | instskip(SKIP_1) | instid1(VALU_DEP_1)
	v_cmp_gt_f32_e32 vcc_lo, v1, v2
	v_cndmask_b32_e32 v1, v2, v1, vcc_lo
	v_mov_b32_dpp v2, v1 row_xmask:15 row_mask:0xf bank_mask:0xf
	s_delay_alu instid0(VALU_DEP_1)
	v_cmp_gt_f32_e32 vcc_lo, v1, v2
	s_and_saveexec_b32 s3, s2
	s_cbranch_execz .LBB103_40
; %bb.39:
	v_cndmask_b32_e32 v1, v2, v1, vcc_lo
	v_lshrrev_b32_e32 v2, 3, v0
	s_mov_b32 s2, 0x76543210
	s_delay_alu instid0(VALU_DEP_1) | instskip(NEXT) | instid1(VALU_DEP_3)
	v_and_b32_e32 v2, 0x7c, v2
	v_permlanex16_b32 v21, v1, s2, 0xfedcba98 op_sel:[1,1]
	s_delay_alu instid0(VALU_DEP_1)
	v_cmp_gt_f32_e32 vcc_lo, v1, v21
	v_cndmask_b32_e32 v1, v21, v1, vcc_lo
	ds_store_b32 v2, v1
.LBB103_40:
	s_or_b32 exec_lo, exec_lo, s3
	s_waitcnt lgkmcnt(0)
	s_barrier
	buffer_gl0_inv
	ds_load_b32 v1, v10
	v_cmp_eq_u32_e64 s3, 0, v0
	s_waitcnt lgkmcnt(0)
	v_mov_b32_dpp v2, v1 quad_perm:[1,0,3,2] row_mask:0xf bank_mask:0xf
	s_delay_alu instid0(VALU_DEP_1) | instskip(SKIP_1) | instid1(VALU_DEP_1)
	v_cmp_gt_f32_e32 vcc_lo, v1, v2
	v_cndmask_b32_e32 v1, v2, v1, vcc_lo
	v_mov_b32_dpp v2, v1 quad_perm:[2,3,0,1] row_mask:0xf bank_mask:0xf
	s_delay_alu instid0(VALU_DEP_1) | instskip(SKIP_1) | instid1(VALU_DEP_1)
	v_cmp_gt_f32_e32 vcc_lo, v1, v2
	v_cndmask_b32_e32 v1, v2, v1, vcc_lo
	v_mov_b32_dpp v2, v1 row_xmask:7 row_mask:0xf bank_mask:0xf
	s_delay_alu instid0(VALU_DEP_1) | instskip(SKIP_1) | instid1(VALU_DEP_1)
	v_cmp_gt_f32_e32 vcc_lo, v1, v2
	v_cndmask_b32_e32 v1, v2, v1, vcc_lo
	v_dual_mul_f32 v22, 0x3c010204, v1 :: v_dual_mov_b32 v1, s20
	v_mov_b32_e32 v2, s21
.LBB103_41:
	s_and_saveexec_b32 s2, s3
	s_cbranch_execz .LBB103_43
; %bb.42:
	s_delay_alu instid0(VALU_DEP_1) | instskip(NEXT) | instid1(VALU_DEP_1)
	v_lshlrev_b64 v[0:1], 2, v[1:2]
	v_add_co_u32 v0, vcc_lo, s8, v0
	s_delay_alu instid0(VALU_DEP_2)
	v_add_co_ci_u32_e32 v1, vcc_lo, s9, v1, vcc_lo
	global_store_b32 v[0:1], v22, off
.LBB103_43:
	s_or_b32 exec_lo, exec_lo, s2
	;;#ASMSTART
	v_rcp_f32 v0, v22
	;;#ASMEND
	v_mul_f32_e32 v6, v6, v0
	v_mul_f32_e32 v5, v5, v0
	;; [unrolled: 1-line block ×5, first 2 shown]
	v_cvt_i32_f32_e32 v6, v6
	v_cvt_i32_f32_e32 v5, v5
	v_mul_f32_e32 v10, v17, v0
	v_cvt_i32_f32_e32 v11, v11
	v_mul_f32_e32 v16, v16, v0
	v_lshlrev_b16 v6, 8, v6
	v_and_b32_e32 v5, 0xff, v5
	v_cvt_i32_f32_e32 v7, v7
	v_dual_mul_f32 v2, v20, v0 :: v_dual_and_b32 v11, 0xff, v11
	v_cvt_i32_f32_e32 v10, v10
	s_delay_alu instid0(VALU_DEP_4) | instskip(NEXT) | instid1(VALU_DEP_4)
	v_or_b32_e32 v5, v5, v6
	v_dual_mul_f32 v12, v12, v0 :: v_dual_and_b32 v7, 0xff, v7
	s_delay_alu instid0(VALU_DEP_4) | instskip(NEXT) | instid1(VALU_DEP_4)
	v_cvt_i32_f32_e32 v2, v2
	v_dual_mul_f32 v15, v15, v0 :: v_dual_and_b32 v10, 0xff, v10
	s_delay_alu instid0(VALU_DEP_4) | instskip(NEXT) | instid1(VALU_DEP_4)
	v_lshlrev_b32_e32 v5, 16, v5
	v_cvt_i32_f32_e32 v12, v12
	s_delay_alu instid0(VALU_DEP_4)
	v_lshlrev_b16 v2, 8, v2
	v_mul_f32_e32 v4, v4, v0
	s_load_b64 s[0:1], s[0:1], 0x0
	v_cvt_i32_f32_e32 v16, v16
	v_lshlrev_b16 v12, 8, v12
	v_cvt_i32_f32_e32 v15, v15
	v_cvt_i32_f32_e32 v4, v4
	s_add_i32 s2, s5, 3
	s_ashr_i32 s3, s6, 31
	v_or_b32_e32 v6, v11, v12
	v_mul_f32_e32 v1, v19, v0
	v_lshlrev_b16 v4, 8, v4
	s_mul_hi_u32 s4, s6, s20
	s_mul_i32 s5, s6, s20
	v_and_b32_e32 v6, 0xffff, v6
	v_cvt_i32_f32_e32 v1, v1
	v_mul_f32_e32 v8, v8, v0
	s_ashr_i32 s6, s2, 31
	s_mul_i32 s3, s3, s20
	s_lshr_b32 s6, s6, 30
	v_and_b32_e32 v1, 0xff, v1
	v_cvt_i32_f32_e32 v8, v8
	s_add_i32 s2, s2, s6
	s_add_i32 s4, s4, s3
	s_and_b32 s2, s2, -4
	v_or_b32_e32 v1, v1, v2
	v_mul_f32_e32 v13, v13, v0
	v_lshlrev_b16 v8, 8, v8
	s_waitcnt lgkmcnt(0)
	s_add_u32 s0, s0, s5
	s_addc_u32 s1, s1, s4
	s_mov_b32 s3, -1
	v_cvt_i32_f32_e32 v13, v13
	v_mul_f32_e32 v17, v18, v0
	v_mul_f32_e32 v0, v3, v0
	v_or_b32_e32 v3, v7, v8
	v_lshlrev_b16 v7, 8, v15
	v_and_b32_e32 v12, 0xff, v13
	v_cvt_i32_f32_e32 v17, v17
	v_cvt_i32_f32_e32 v0, v0
	v_and_b32_e32 v3, 0xffff, v3
	v_cvt_i32_f32_e32 v14, v14
	v_and_b32_e32 v8, 0xff, v16
	v_lshlrev_b16 v13, 8, v17
	v_and_b32_e32 v0, 0xff, v0
	v_or_b32_e32 v3, v3, v5
	v_lshlrev_b16 v11, 8, v14
	s_and_b32 s1, s1, 0xffff
	v_or_b32_e32 v2, v10, v13
	v_or_b32_e32 v0, v0, v4
	;; [unrolled: 1-line block ×4, first 2 shown]
	v_and_b32_e32 v8, 0xffff, v1
	v_lshlrev_b32_e32 v10, 16, v2
	v_lshlrev_b32_e32 v0, 16, v0
	v_and_b32_e32 v4, 0xffff, v4
	v_lshlrev_b32_e32 v7, 16, v7
	s_delay_alu instid0(VALU_DEP_3) | instskip(SKIP_1) | instid1(VALU_DEP_3)
	v_or_b32_e32 v2, v6, v0
	v_or_b32_e32 v0, v8, v10
	;; [unrolled: 1-line block ×3, first 2 shown]
	buffer_store_b128 v[0:3], v9, s[0:3], 0 offen
	;;#ASMSTART
	s_nop 0
	;;#ASMEND
.LBB103_44:
	s_nop 0
	s_sendmsg sendmsg(MSG_DEALLOC_VGPRS)
	s_endpgm
.LBB103_45:
                                        ; implicit-def: $vgpr1_vgpr2
	s_branch .LBB103_32
	.section	.rodata,"a",@progbits
	.p2align	6, 0x0
	.amdhsa_kernel _ZN5aiter24add_rmsnorm_quant_kernelIDF16_aLi256ELi16ELb0ELb1ELb0ELi1EEEvPT0_PT_PfS4_S4_S4_diiiiiiib
		.amdhsa_group_segment_fixed_size 64
		.amdhsa_private_segment_fixed_size 0
		.amdhsa_kernarg_size 88
		.amdhsa_user_sgpr_count 15
		.amdhsa_user_sgpr_dispatch_ptr 0
		.amdhsa_user_sgpr_queue_ptr 0
		.amdhsa_user_sgpr_kernarg_segment_ptr 1
		.amdhsa_user_sgpr_dispatch_id 0
		.amdhsa_user_sgpr_private_segment_size 0
		.amdhsa_wavefront_size32 1
		.amdhsa_uses_dynamic_stack 0
		.amdhsa_enable_private_segment 0
		.amdhsa_system_sgpr_workgroup_id_x 1
		.amdhsa_system_sgpr_workgroup_id_y 0
		.amdhsa_system_sgpr_workgroup_id_z 0
		.amdhsa_system_sgpr_workgroup_info 0
		.amdhsa_system_vgpr_workitem_id 0
		.amdhsa_next_free_vgpr 42
		.amdhsa_next_free_sgpr 29
		.amdhsa_reserve_vcc 1
		.amdhsa_float_round_mode_32 0
		.amdhsa_float_round_mode_16_64 0
		.amdhsa_float_denorm_mode_32 3
		.amdhsa_float_denorm_mode_16_64 3
		.amdhsa_dx10_clamp 1
		.amdhsa_ieee_mode 1
		.amdhsa_fp16_overflow 0
		.amdhsa_workgroup_processor_mode 1
		.amdhsa_memory_ordered 1
		.amdhsa_forward_progress 0
		.amdhsa_shared_vgpr_count 0
		.amdhsa_exception_fp_ieee_invalid_op 0
		.amdhsa_exception_fp_denorm_src 0
		.amdhsa_exception_fp_ieee_div_zero 0
		.amdhsa_exception_fp_ieee_overflow 0
		.amdhsa_exception_fp_ieee_underflow 0
		.amdhsa_exception_fp_ieee_inexact 0
		.amdhsa_exception_int_div_zero 0
	.end_amdhsa_kernel
	.section	.text._ZN5aiter24add_rmsnorm_quant_kernelIDF16_aLi256ELi16ELb0ELb1ELb0ELi1EEEvPT0_PT_PfS4_S4_S4_diiiiiiib,"axG",@progbits,_ZN5aiter24add_rmsnorm_quant_kernelIDF16_aLi256ELi16ELb0ELb1ELb0ELi1EEEvPT0_PT_PfS4_S4_S4_diiiiiiib,comdat
.Lfunc_end103:
	.size	_ZN5aiter24add_rmsnorm_quant_kernelIDF16_aLi256ELi16ELb0ELb1ELb0ELi1EEEvPT0_PT_PfS4_S4_S4_diiiiiiib, .Lfunc_end103-_ZN5aiter24add_rmsnorm_quant_kernelIDF16_aLi256ELi16ELb0ELb1ELb0ELi1EEEvPT0_PT_PfS4_S4_S4_diiiiiiib
                                        ; -- End function
	.section	.AMDGPU.csdata,"",@progbits
; Kernel info:
; codeLenInByte = 3844
; NumSgprs: 31
; NumVgprs: 42
; ScratchSize: 0
; MemoryBound: 0
; FloatMode: 240
; IeeeMode: 1
; LDSByteSize: 64 bytes/workgroup (compile time only)
; SGPRBlocks: 3
; VGPRBlocks: 5
; NumSGPRsForWavesPerEU: 31
; NumVGPRsForWavesPerEU: 42
; Occupancy: 16
; WaveLimiterHint : 0
; COMPUTE_PGM_RSRC2:SCRATCH_EN: 0
; COMPUTE_PGM_RSRC2:USER_SGPR: 15
; COMPUTE_PGM_RSRC2:TRAP_HANDLER: 0
; COMPUTE_PGM_RSRC2:TGID_X_EN: 1
; COMPUTE_PGM_RSRC2:TGID_Y_EN: 0
; COMPUTE_PGM_RSRC2:TGID_Z_EN: 0
; COMPUTE_PGM_RSRC2:TIDIG_COMP_CNT: 0
	.section	.text._ZN5aiter24add_rmsnorm_quant_kernelItaLi256ELi16ELb0ELb1ELb0ELi1EEEvPT0_PT_PfS4_S4_S4_diiiiiiib,"axG",@progbits,_ZN5aiter24add_rmsnorm_quant_kernelItaLi256ELi16ELb0ELb1ELb0ELi1EEEvPT0_PT_PfS4_S4_S4_diiiiiiib,comdat
	.protected	_ZN5aiter24add_rmsnorm_quant_kernelItaLi256ELi16ELb0ELb1ELb0ELi1EEEvPT0_PT_PfS4_S4_S4_diiiiiiib ; -- Begin function _ZN5aiter24add_rmsnorm_quant_kernelItaLi256ELi16ELb0ELb1ELb0ELi1EEEvPT0_PT_PfS4_S4_S4_diiiiiiib
	.globl	_ZN5aiter24add_rmsnorm_quant_kernelItaLi256ELi16ELb0ELb1ELb0ELi1EEEvPT0_PT_PfS4_S4_S4_diiiiiiib
	.p2align	8
	.type	_ZN5aiter24add_rmsnorm_quant_kernelItaLi256ELi16ELb0ELb1ELb0ELi1EEEvPT0_PT_PfS4_S4_S4_diiiiiiib,@function
_ZN5aiter24add_rmsnorm_quant_kernelItaLi256ELi16ELb0ELb1ELb0ELi1EEEvPT0_PT_PfS4_S4_S4_diiiiiiib: ; @_ZN5aiter24add_rmsnorm_quant_kernelItaLi256ELi16ELb0ELb1ELb0ELi1EEEvPT0_PT_PfS4_S4_S4_diiiiiiib
; %bb.0:
	s_load_b128 s[4:7], s[0:1], 0x38
	s_mov_b32 s20, s15
	s_mov_b32 s21, 0
	s_waitcnt lgkmcnt(0)
	s_ashr_i32 s3, s4, 31
	s_mov_b32 s2, s4
	s_delay_alu instid0(SALU_CYCLE_1) | instskip(NEXT) | instid1(VALU_DEP_1)
	v_cmp_ge_i64_e64 s2, s[20:21], s[2:3]
	s_and_b32 vcc_lo, exec_lo, s2
	s_cbranch_vccnz .LBB104_44
; %bb.1:
	s_clause 0x1
	s_load_b128 s[8:11], s[0:1], 0x10
	s_load_b128 s[16:19], s[0:1], 0x28
	s_ashr_i32 s2, s6, 31
	s_mul_hi_u32 s3, s6, s20
	s_mul_i32 s7, s2, s20
	s_mul_i32 s2, s6, s20
	s_add_i32 s3, s3, s7
	v_lshlrev_b32_e32 v1, 5, v0
	s_lshl_b64 s[2:3], s[2:3], 1
	s_mov_b32 s15, -1
	v_and_b32_e32 v27, 31, v0
	s_mov_b32 s27, s15
	s_waitcnt lgkmcnt(0)
	s_add_u32 s12, s10, s2
	s_addc_u32 s2, s11, s3
	s_add_i32 s3, s5, 1
	s_and_b32 s13, s2, 0xffff
	s_lshr_b32 s6, s3, 31
	s_mov_b32 s24, s16
	s_add_i32 s3, s3, s6
	s_and_b32 s25, s17, 0xffff
	s_lshl_b32 s3, s3, 1
	v_cmp_eq_u32_e64 s2, 31, v27
	s_and_b32 s14, s3, -4
	s_clause 0x1
	buffer_load_b128 v[14:17], v1, s[12:15], 0 offen
	buffer_load_b128 v[22:25], v1, s[12:15], 16 offen
	s_mov_b32 s26, s14
	s_waitcnt vmcnt(1)
	v_lshrrev_b32_e32 v9, 16, v14
	v_and_b32_e32 v10, 0xffff, v14
	v_lshrrev_b32_e32 v14, 16, v15
	v_lshrrev_b32_e32 v18, 16, v17
	s_waitcnt vmcnt(0)
	v_lshrrev_b32_e32 v20, 16, v22
	v_cvt_f32_u32_e32 v11, v9
	v_cvt_f32_u32_e32 v12, v10
	;; [unrolled: 1-line block ×5, first 2 shown]
	v_mul_f32_e32 v10, v11, v11
	s_clause 0x1
	buffer_load_b128 v[5:8], v1, s[24:27], 0 offen
	buffer_load_b128 v[1:4], v1, s[24:27], 16 offen
	v_and_b32_e32 v9, 0xffff, v15
	v_lshrrev_b32_e32 v26, 16, v25
	v_fmac_f32_e32 v10, v12, v12
	s_delay_alu instid0(VALU_DEP_3) | instskip(SKIP_3) | instid1(VALU_DEP_4)
	v_cvt_f32_u32_e32 v13, v9
	v_and_b32_e32 v9, 0xffff, v16
	v_lshrrev_b32_e32 v16, 16, v16
	v_cvt_f32_u32_e32 v26, v26
	v_fmac_f32_e32 v10, v13, v13
	s_delay_alu instid0(VALU_DEP_4) | instskip(SKIP_2) | instid1(VALU_DEP_4)
	v_cvt_f32_u32_e32 v15, v9
	v_and_b32_e32 v9, 0xffff, v17
	v_cvt_f32_u32_e32 v16, v16
	v_fmac_f32_e32 v10, v14, v14
	s_delay_alu instid0(VALU_DEP_3) | instskip(SKIP_2) | instid1(VALU_DEP_4)
	v_cvt_f32_u32_e32 v17, v9
	v_and_b32_e32 v9, 0xffff, v22
	v_lshrrev_b32_e32 v22, 16, v23
	v_fmac_f32_e32 v10, v15, v15
	s_delay_alu instid0(VALU_DEP_3) | instskip(NEXT) | instid1(VALU_DEP_2)
	v_cvt_f32_u32_e32 v19, v9
	v_dual_fmac_f32 v10, v16, v16 :: v_dual_and_b32 v9, 0xffff, v23
	s_delay_alu instid0(VALU_DEP_4) | instskip(NEXT) | instid1(VALU_DEP_2)
	v_cvt_f32_u32_e32 v22, v22
	v_cvt_f32_u32_e32 v21, v9
	s_delay_alu instid0(VALU_DEP_3) | instskip(SKIP_1) | instid1(VALU_DEP_2)
	v_dual_fmac_f32 v10, v17, v17 :: v_dual_and_b32 v9, 0xffff, v24
	v_lshrrev_b32_e32 v24, 16, v24
	v_fmac_f32_e32 v10, v18, v18
	s_delay_alu instid0(VALU_DEP_3) | instskip(SKIP_1) | instid1(VALU_DEP_4)
	v_cvt_f32_u32_e32 v23, v9
	v_and_b32_e32 v9, 0xffff, v25
	v_cvt_f32_u32_e32 v24, v24
	s_delay_alu instid0(VALU_DEP_4) | instskip(NEXT) | instid1(VALU_DEP_3)
	v_fmac_f32_e32 v10, v19, v19
	v_cvt_f32_u32_e32 v25, v9
	s_delay_alu instid0(VALU_DEP_2) | instskip(NEXT) | instid1(VALU_DEP_1)
	v_fmac_f32_e32 v10, v20, v20
	v_fmac_f32_e32 v10, v21, v21
	s_delay_alu instid0(VALU_DEP_1) | instskip(NEXT) | instid1(VALU_DEP_1)
	v_fmac_f32_e32 v10, v22, v22
	v_fmac_f32_e32 v10, v23, v23
	s_delay_alu instid0(VALU_DEP_1) | instskip(NEXT) | instid1(VALU_DEP_1)
	;; [unrolled: 3-line block ×3, first 2 shown]
	v_fmac_f32_e32 v10, v26, v26
	v_mov_b32_dpp v9, v10 quad_perm:[1,0,3,2] row_mask:0xf bank_mask:0xf
	s_delay_alu instid0(VALU_DEP_1) | instskip(NEXT) | instid1(VALU_DEP_1)
	v_add_f32_e32 v9, v10, v9
	v_mov_b32_dpp v10, v9 quad_perm:[2,3,0,1] row_mask:0xf bank_mask:0xf
	s_delay_alu instid0(VALU_DEP_1) | instskip(NEXT) | instid1(VALU_DEP_1)
	v_add_f32_e32 v9, v9, v10
	v_mov_b32_dpp v10, v9 row_xmask:7 row_mask:0xf bank_mask:0xf
	s_delay_alu instid0(VALU_DEP_1) | instskip(NEXT) | instid1(VALU_DEP_1)
	v_add_f32_e32 v9, v9, v10
	v_mov_b32_dpp v10, v9 row_xmask:15 row_mask:0xf bank_mask:0xf
	s_and_saveexec_b32 s3, s2
	s_cbranch_execz .LBB104_3
; %bb.2:
	s_delay_alu instid0(VALU_DEP_1) | instskip(SKIP_2) | instid1(VALU_DEP_2)
	v_add_f32_e32 v9, v9, v10
	s_mov_b32 s6, 0x76543210
	v_lshrrev_b32_e32 v10, 3, v0
	v_permlanex16_b32 v27, v9, s6, 0xfedcba98 op_sel:[1,1]
	s_delay_alu instid0(VALU_DEP_1)
	v_dual_add_f32 v9, v9, v27 :: v_dual_and_b32 v10, 0x7c, v10
	ds_store_b32 v10, v9 offset:32
.LBB104_3:
	s_or_b32 exec_lo, exec_lo, s3
	v_and_b32_e32 v9, 7, v0
	s_waitcnt vmcnt(0) lgkmcnt(0)
	s_barrier
	buffer_gl0_inv
	v_cvt_f32_i32_e32 v28, s5
	v_lshlrev_b32_e32 v10, 2, v9
	v_mov_b32_e32 v36, 0x2edbe6ff
	ds_load_b32 v9, v10 offset:32
	s_clause 0x1
	s_load_b64 s[6:7], s[0:1], 0x4c
	s_load_b32 s10, s[0:1], 0x54
	s_waitcnt lgkmcnt(0)
	v_mov_b32_dpp v27, v9 quad_perm:[1,0,3,2] row_mask:0xf bank_mask:0xf
	s_cmp_lg_u32 s7, 0
	s_delay_alu instid0(VALU_DEP_1) | instskip(NEXT) | instid1(VALU_DEP_1)
	v_add_f32_e32 v9, v9, v27
	v_mov_b32_dpp v27, v9 quad_perm:[2,3,0,1] row_mask:0xf bank_mask:0xf
	s_delay_alu instid0(VALU_DEP_1) | instskip(NEXT) | instid1(VALU_DEP_1)
	v_add_f32_e32 v9, v9, v27
	v_mov_b32_dpp v27, v9 row_xmask:7 row_mask:0xf bank_mask:0xf
	s_delay_alu instid0(VALU_DEP_1) | instskip(NEXT) | instid1(VALU_DEP_1)
	v_add_f32_e32 v9, v9, v27
	v_div_scale_f32 v27, null, v28, v28, v9
	v_div_scale_f32 v31, vcc_lo, v9, v28, v9
	s_delay_alu instid0(VALU_DEP_2) | instskip(SKIP_2) | instid1(VALU_DEP_1)
	v_rcp_f32_e32 v29, v27
	s_waitcnt_depctr 0xfff
	v_fma_f32 v30, -v27, v29, 1.0
	v_fmac_f32_e32 v29, v30, v29
	s_delay_alu instid0(VALU_DEP_1) | instskip(NEXT) | instid1(VALU_DEP_1)
	v_mul_f32_e32 v30, v31, v29
	v_fma_f32 v32, -v27, v30, v31
	s_delay_alu instid0(VALU_DEP_1) | instskip(NEXT) | instid1(VALU_DEP_1)
	v_fmac_f32_e32 v30, v32, v29
	v_fma_f32 v27, -v27, v30, v31
	s_delay_alu instid0(VALU_DEP_1) | instskip(SKIP_2) | instid1(VALU_DEP_3)
	v_div_fmas_f32 v27, v27, v29, v30
	v_and_b32_e32 v30, 0xffff, v7
	v_lshrrev_b32_e32 v7, 16, v7
	v_div_fixup_f32 v9, v27, v28, v9
	s_delay_alu instid0(VALU_DEP_3) | instskip(NEXT) | instid1(VALU_DEP_3)
	v_cvt_f32_u32_e32 v30, v30
	v_cvt_f32_u32_e32 v7, v7
	s_delay_alu instid0(VALU_DEP_3) | instskip(SKIP_1) | instid1(VALU_DEP_2)
	v_cvt_f64_f32_e32 v[27:28], v9
	v_lshlrev_b32_e32 v9, 4, v0
	v_add_f64 v[27:28], v[27:28], s[18:19]
	s_delay_alu instid0(VALU_DEP_1) | instskip(SKIP_2) | instid1(VALU_DEP_2)
	v_cvt_f32_f64_e32 v27, v[27:28]
	v_and_b32_e32 v28, 0xffff, v5
	v_lshrrev_b32_e32 v5, 16, v5
	v_cvt_f32_u32_e32 v28, v28
	s_delay_alu instid0(VALU_DEP_2) | instskip(SKIP_4) | instid1(VALU_DEP_4)
	v_cvt_f32_u32_e32 v5, v5
	v_mul_f32_e32 v33, 0x4b800000, v27
	v_cmp_gt_f32_e32 vcc_lo, 0x800000, v27
	v_and_b32_e32 v34, 0xffff, v2
	v_lshrrev_b32_e32 v2, 16, v2
	v_cndmask_b32_e32 v27, v27, v33, vcc_lo
	s_delay_alu instid0(VALU_DEP_3) | instskip(NEXT) | instid1(VALU_DEP_3)
	v_cvt_f32_u32_e32 v34, v34
	v_cvt_f32_u32_e32 v2, v2
	s_delay_alu instid0(VALU_DEP_3) | instskip(SKIP_2) | instid1(VALU_DEP_1)
	v_rsq_f32_e32 v27, v27
	s_waitcnt_depctr 0xfff
	v_mul_f32_e32 v37, 0x45800000, v27
	v_cndmask_b32_e32 v27, v27, v37, vcc_lo
	v_and_b32_e32 v29, 0xffff, v6
	v_lshrrev_b32_e32 v6, 16, v6
	v_and_b32_e32 v33, 0xffff, v3
	v_lshrrev_b32_e32 v3, 16, v3
	v_dual_mul_f32 v40, v27, v18 :: v_dual_and_b32 v31, 0xffff, v8
	v_and_b32_e32 v32, 0xffff, v1
	v_cvt_f32_u32_e32 v6, v6
	s_delay_alu instid0(VALU_DEP_4)
	v_cvt_f32_u32_e32 v37, v3
	v_mul_f32_e32 v3, v27, v12
	v_mul_f32_e32 v12, v27, v14
	v_lshrrev_b32_e32 v1, 16, v1
	v_lshrrev_b32_e32 v8, 16, v8
	v_cvt_f32_u32_e32 v32, v32
	v_cvt_f32_u32_e32 v31, v31
	v_dual_mul_f32 v18, v12, v6 :: v_dual_and_b32 v35, 0xffff, v4
	v_mul_f32_e32 v22, v27, v22
	v_lshrrev_b32_e32 v4, 16, v4
	v_cvt_f32_u32_e32 v1, v1
	v_mul_f32_e32 v14, v27, v16
	v_mul_f32_e32 v42, v27, v20
	;; [unrolled: 1-line block ×3, first 2 shown]
	v_cvt_f32_u32_e32 v38, v4
	v_mul_f32_e32 v4, v27, v11
	v_cvt_f32_u32_e32 v29, v29
	v_mul_f32_e32 v12, v42, v1
	v_mul_f32_e32 v11, v27, v13
	s_delay_alu instid0(VALU_DEP_4)
	v_dual_mul_f32 v13, v27, v15 :: v_dual_mul_f32 v20, v4, v5
	v_cvt_f32_u32_e32 v8, v8
	v_mul_f32_e32 v39, v27, v17
	v_mul_f32_e32 v19, v3, v28
	v_dual_mul_f32 v21, v27, v21 :: v_dual_mul_f32 v4, v22, v2
	v_cvt_f32_u32_e32 v33, v33
	v_cvt_f32_u32_e32 v35, v35
	v_dual_mul_f32 v24, v27, v24 :: v_dual_mul_f32 v15, v14, v7
	v_mul_f32_e32 v23, v27, v23
	v_mul_f32_e32 v26, v27, v26
	v_dual_mul_f32 v16, v13, v30 :: v_dual_mul_f32 v17, v11, v29
	v_and_b32_e32 v2, 0x7fffffff, v20
	v_mul_f32_e32 v11, v41, v32
	s_delay_alu instid0(VALU_DEP_4)
	v_dual_mul_f32 v25, v27, v25 :: v_dual_mul_f32 v6, v26, v38
	v_dual_mul_f32 v14, v40, v8 :: v_dual_mul_f32 v13, v39, v31
	v_and_b32_e32 v22, 0x7fffffff, v18
	v_and_b32_e32 v1, 0x7fffffff, v19
	v_mul_f32_e32 v3, v21, v34
	;;#ASMSTART
	v_max3_f32 v1, v36, v1, v2

	;;#ASMEND
	v_mul_f32_e32 v8, v24, v37
	v_dual_mul_f32 v7, v23, v33 :: v_dual_and_b32 v24, 0x7fffffff, v15
	v_dual_mul_f32 v5, v25, v35 :: v_dual_and_b32 v28, 0x7fffffff, v12
	v_and_b32_e32 v30, 0x7fffffff, v4
	v_and_b32_e32 v21, 0x7fffffff, v17
	;;#ASMSTART
	v_max3_f32 v1, v1, v21, v22

	;;#ASMEND
	v_and_b32_e32 v23, 0x7fffffff, v16
	;;#ASMSTART
	v_max3_f32 v1, v1, v23, v24

	;;#ASMEND
	v_and_b32_e32 v26, 0x7fffffff, v14
	v_and_b32_e32 v25, 0x7fffffff, v13
	;;#ASMSTART
	v_max3_f32 v1, v1, v25, v26

	;;#ASMEND
	v_and_b32_e32 v27, 0x7fffffff, v11
	;;#ASMSTART
	v_max3_f32 v1, v1, v27, v28

	;;#ASMEND
	;; [unrolled: 5-line block ×3, first 2 shown]
	v_and_b32_e32 v31, 0x7fffffff, v7
	v_and_b32_e32 v32, 0x7fffffff, v8
	;; [unrolled: 1-line block ×4, first 2 shown]
	;;#ASMSTART
	v_max3_f32 v1, v1, v31, v32

	;;#ASMEND
	;;#ASMSTART
	v_max3_f32 v21, v1, v33, v34

	;;#ASMEND
	s_cbranch_scc0 .LBB104_10
; %bb.4:
	s_ashr_i32 s11, s7, 31
	s_delay_alu instid0(SALU_CYCLE_1) | instskip(NEXT) | instid1(SALU_CYCLE_1)
	s_lshr_b32 s3, s11, 28
	s_add_i32 s3, s7, s3
	s_delay_alu instid0(SALU_CYCLE_1) | instskip(NEXT) | instid1(SALU_CYCLE_1)
	s_ashr_i32 s3, s3, 4
	s_cmp_lt_i32 s3, 8
	s_cbranch_scc1 .LBB104_11
; %bb.5:
	s_cmp_lt_i32 s3, 16
	s_cbranch_scc1 .LBB104_12
; %bb.6:
	;; [unrolled: 3-line block ×3, first 2 shown]
	v_mov_b32_e32 v1, v21
	s_cmp_eq_u32 s3, 32
	s_cbranch_scc0 .LBB104_9
; %bb.8:
	s_delay_alu instid0(VALU_DEP_1) | instskip(SKIP_1) | instid1(VALU_DEP_1)
	v_mov_b32_dpp v1, v21 quad_perm:[1,0,3,2] row_mask:0xf bank_mask:0xf
	s_mov_b32 s12, 0x76543210
	v_cmp_gt_f32_e32 vcc_lo, v21, v1
	v_cndmask_b32_e32 v1, v1, v21, vcc_lo
	s_delay_alu instid0(VALU_DEP_1) | instskip(NEXT) | instid1(VALU_DEP_1)
	v_mov_b32_dpp v2, v1 quad_perm:[2,3,0,1] row_mask:0xf bank_mask:0xf
	v_cmp_gt_f32_e32 vcc_lo, v1, v2
	v_cndmask_b32_e32 v1, v2, v1, vcc_lo
	s_delay_alu instid0(VALU_DEP_1) | instskip(NEXT) | instid1(VALU_DEP_1)
	v_mov_b32_dpp v2, v1 row_xmask:7 row_mask:0xf bank_mask:0xf
	v_cmp_gt_f32_e32 vcc_lo, v1, v2
	v_cndmask_b32_e32 v1, v2, v1, vcc_lo
	s_delay_alu instid0(VALU_DEP_1) | instskip(NEXT) | instid1(VALU_DEP_1)
	v_mov_b32_dpp v2, v1 row_xmask:15 row_mask:0xf bank_mask:0xf
	v_cmp_gt_f32_e32 vcc_lo, v1, v2
	v_cndmask_b32_e32 v1, v2, v1, vcc_lo
	s_delay_alu instid0(VALU_DEP_1) | instskip(NEXT) | instid1(VALU_DEP_1)
	v_permlanex16_b32 v2, v1, s12, 0xfedcba98 op_sel:[1,1]
	v_cmp_gt_f32_e32 vcc_lo, v1, v2
	v_cndmask_b32_e32 v1, v2, v1, vcc_lo
.LBB104_9:
	s_mov_b32 s12, 0
	s_branch .LBB104_14
.LBB104_10:
	s_mov_b32 s3, 0
                                        ; implicit-def: $vgpr22
                                        ; implicit-def: $vgpr1_vgpr2
	s_and_b32 vcc_lo, exec_lo, s15
	s_cbranch_vccnz .LBB104_38
	s_branch .LBB104_41
.LBB104_11:
                                        ; implicit-def: $vgpr1
	s_branch .LBB104_21
.LBB104_12:
                                        ; implicit-def: $vgpr1
	s_branch .LBB104_18
.LBB104_13:
	s_mov_b32 s12, -1
                                        ; implicit-def: $vgpr1
.LBB104_14:
	s_delay_alu instid0(SALU_CYCLE_1)
	s_and_not1_b32 vcc_lo, exec_lo, s12
	s_cbranch_vccnz .LBB104_17
; %bb.15:
	v_mov_b32_e32 v1, v21
	s_cmp_eq_u32 s3, 16
	s_cbranch_scc0 .LBB104_17
; %bb.16:
	s_delay_alu instid0(VALU_DEP_1) | instskip(NEXT) | instid1(VALU_DEP_1)
	v_mov_b32_dpp v1, v21 quad_perm:[1,0,3,2] row_mask:0xf bank_mask:0xf
	v_cmp_gt_f32_e32 vcc_lo, v21, v1
	v_cndmask_b32_e32 v1, v1, v21, vcc_lo
	s_delay_alu instid0(VALU_DEP_1) | instskip(NEXT) | instid1(VALU_DEP_1)
	v_mov_b32_dpp v2, v1 quad_perm:[2,3,0,1] row_mask:0xf bank_mask:0xf
	v_cmp_gt_f32_e32 vcc_lo, v1, v2
	v_cndmask_b32_e32 v1, v2, v1, vcc_lo
	s_delay_alu instid0(VALU_DEP_1) | instskip(NEXT) | instid1(VALU_DEP_1)
	v_mov_b32_dpp v2, v1 row_half_mirror row_mask:0xf bank_mask:0xf
	v_cmp_gt_f32_e32 vcc_lo, v1, v2
	v_cndmask_b32_e32 v1, v2, v1, vcc_lo
	s_delay_alu instid0(VALU_DEP_1) | instskip(NEXT) | instid1(VALU_DEP_1)
	v_mov_b32_dpp v2, v1 row_mirror row_mask:0xf bank_mask:0xf
	v_cmp_gt_f32_e32 vcc_lo, v1, v2
	v_cndmask_b32_e32 v1, v2, v1, vcc_lo
.LBB104_17:
	s_cbranch_execnz .LBB104_20
.LBB104_18:
	v_mov_b32_e32 v1, v21
	s_cmp_eq_u32 s3, 8
	s_cbranch_scc0 .LBB104_20
; %bb.19:
	s_delay_alu instid0(VALU_DEP_1) | instskip(NEXT) | instid1(VALU_DEP_1)
	v_mov_b32_dpp v1, v21 quad_perm:[1,0,3,2] row_mask:0xf bank_mask:0xf
	v_cmp_gt_f32_e32 vcc_lo, v21, v1
	v_cndmask_b32_e32 v1, v1, v21, vcc_lo
	s_delay_alu instid0(VALU_DEP_1) | instskip(NEXT) | instid1(VALU_DEP_1)
	v_mov_b32_dpp v2, v1 quad_perm:[2,3,0,1] row_mask:0xf bank_mask:0xf
	v_cmp_gt_f32_e32 vcc_lo, v1, v2
	v_cndmask_b32_e32 v1, v2, v1, vcc_lo
	s_delay_alu instid0(VALU_DEP_1) | instskip(NEXT) | instid1(VALU_DEP_1)
	v_mov_b32_dpp v2, v1 row_half_mirror row_mask:0xf bank_mask:0xf
	v_cmp_gt_f32_e32 vcc_lo, v1, v2
	v_cndmask_b32_e32 v1, v2, v1, vcc_lo
.LBB104_20:
	s_cbranch_execnz .LBB104_28
.LBB104_21:
	s_cmp_lt_i32 s3, 4
	s_cbranch_scc1 .LBB104_24
; %bb.22:
	v_mov_b32_e32 v1, v21
	s_cmp_eq_u32 s3, 4
	s_cbranch_scc0 .LBB104_25
; %bb.23:
	s_delay_alu instid0(VALU_DEP_1) | instskip(NEXT) | instid1(VALU_DEP_1)
	v_mov_b32_dpp v1, v21 quad_perm:[1,0,3,2] row_mask:0xf bank_mask:0xf
	v_cmp_gt_f32_e32 vcc_lo, v21, v1
	v_cndmask_b32_e32 v1, v1, v21, vcc_lo
	s_delay_alu instid0(VALU_DEP_1) | instskip(NEXT) | instid1(VALU_DEP_1)
	v_mov_b32_dpp v2, v1 quad_perm:[2,3,0,1] row_mask:0xf bank_mask:0xf
	v_cmp_gt_f32_e32 vcc_lo, v1, v2
	v_cndmask_b32_e32 v1, v2, v1, vcc_lo
	s_cbranch_execz .LBB104_26
	s_branch .LBB104_28
.LBB104_24:
                                        ; implicit-def: $vgpr1
	s_branch .LBB104_26
.LBB104_25:
	s_cbranch_execnz .LBB104_28
.LBB104_26:
	v_mov_b32_e32 v1, v21
	s_cmp_lg_u32 s3, 2
	s_cbranch_scc1 .LBB104_28
; %bb.27:
	s_delay_alu instid0(VALU_DEP_1) | instskip(NEXT) | instid1(VALU_DEP_1)
	v_mov_b32_dpp v1, v21 quad_perm:[1,0,3,2] row_mask:0xf bank_mask:0xf
	v_cmp_gt_f32_e32 vcc_lo, v21, v1
	v_cndmask_b32_e32 v1, v1, v21, vcc_lo
.LBB104_28:
	v_cvt_f32_u32_e32 v2, s3
	s_sub_i32 s12, 0, s3
	s_mov_b32 s15, 0
	s_delay_alu instid0(VALU_DEP_1) | instskip(SKIP_2) | instid1(VALU_DEP_1)
	v_rcp_iflag_f32_e32 v2, v2
	s_waitcnt_depctr 0xfff
	v_mul_f32_e32 v2, 0x4f7ffffe, v2
	v_cvt_u32_f32_e32 v2, v2
	s_delay_alu instid0(VALU_DEP_1) | instskip(NEXT) | instid1(VALU_DEP_1)
	v_mul_lo_u32 v22, s12, v2
	v_mul_hi_u32 v22, v2, v22
	s_delay_alu instid0(VALU_DEP_1) | instskip(NEXT) | instid1(VALU_DEP_1)
	v_add_nc_u32_e32 v2, v2, v22
	v_mul_hi_u32 v2, v0, v2
	s_delay_alu instid0(VALU_DEP_1) | instskip(NEXT) | instid1(VALU_DEP_1)
	v_mul_lo_u32 v22, v2, s3
	v_sub_nc_u32_e32 v22, v0, v22
	s_delay_alu instid0(VALU_DEP_1) | instskip(SKIP_1) | instid1(VALU_DEP_2)
	v_subrev_nc_u32_e32 v24, s3, v22
	v_cmp_le_u32_e32 vcc_lo, s3, v22
	v_dual_cndmask_b32 v22, v22, v24 :: v_dual_add_nc_u32 v23, 1, v2
	s_delay_alu instid0(VALU_DEP_1) | instskip(NEXT) | instid1(VALU_DEP_2)
	v_cndmask_b32_e32 v2, v2, v23, vcc_lo
	v_cmp_le_u32_e32 vcc_lo, s3, v22
	s_delay_alu instid0(VALU_DEP_2) | instskip(NEXT) | instid1(VALU_DEP_1)
	v_dual_mul_f32 v22, 0x3c010204, v1 :: v_dual_add_nc_u32 v23, 1, v2
	v_cndmask_b32_e32 v23, v2, v23, vcc_lo
	v_cmp_gt_u32_e32 vcc_lo, s5, v9
	s_delay_alu instid0(VALU_DEP_2) | instskip(NEXT) | instid1(VALU_DEP_1)
	v_mul_lo_u32 v2, v23, s3
	v_sub_nc_u32_e32 v2, v0, v2
	s_delay_alu instid0(VALU_DEP_1) | instskip(NEXT) | instid1(VALU_DEP_1)
	v_cmp_eq_u32_e64 s3, 0, v2
                                        ; implicit-def: $vgpr1_vgpr2
	s_and_b32 s12, s3, vcc_lo
	s_mov_b32 s3, 0
	s_and_saveexec_b32 s13, s12
	s_delay_alu instid0(SALU_CYCLE_1)
	s_xor_b32 s14, exec_lo, s13
	s_cbranch_execz .LBB104_37
; %bb.29:
	s_bitcmp0_b32 s10, 0
	s_mov_b32 s16, 0
	s_cbranch_scc0 .LBB104_34
; %bb.30:
	s_ashr_i32 s3, s5, 31
	s_mul_hi_u32 s10, s5, s20
	s_mul_i32 s3, s3, s20
	s_mul_i32 s12, s5, s20
	s_add_i32 s13, s10, s3
	s_mov_b32 s10, s7
	s_delay_alu instid0(SALU_CYCLE_1) | instskip(NEXT) | instid1(SALU_CYCLE_1)
	s_or_b64 s[18:19], s[12:13], s[10:11]
	s_mov_b32 s17, s19
	s_delay_alu instid0(SALU_CYCLE_1)
	s_cmp_lg_u64 s[16:17], 0
	s_cbranch_scc0 .LBB104_45
; %bb.31:
	s_add_u32 s18, s10, s11
	s_mov_b32 s16, s11
	s_mov_b32 s17, s11
	s_addc_u32 s19, s11, s11
	s_delay_alu instid0(SALU_CYCLE_1) | instskip(NEXT) | instid1(SALU_CYCLE_1)
	s_xor_b64 s[18:19], s[18:19], s[16:17]
	v_cvt_f32_u32_e32 v1, s18
	v_cvt_f32_u32_e32 v2, s19
	s_sub_u32 s11, 0, s18
	s_subb_u32 s22, 0, s19
	s_delay_alu instid0(VALU_DEP_1) | instskip(NEXT) | instid1(VALU_DEP_1)
	v_fmamk_f32 v1, v2, 0x4f800000, v1
	v_rcp_f32_e32 v1, v1
	s_waitcnt_depctr 0xfff
	v_mul_f32_e32 v1, 0x5f7ffffc, v1
	s_delay_alu instid0(VALU_DEP_1) | instskip(NEXT) | instid1(VALU_DEP_1)
	v_mul_f32_e32 v2, 0x2f800000, v1
	v_trunc_f32_e32 v2, v2
	s_delay_alu instid0(VALU_DEP_1) | instskip(SKIP_1) | instid1(VALU_DEP_2)
	v_fmamk_f32 v1, v2, 0xcf800000, v1
	v_cvt_u32_f32_e32 v2, v2
	v_cvt_u32_f32_e32 v1, v1
	s_delay_alu instid0(VALU_DEP_2) | instskip(NEXT) | instid1(VALU_DEP_2)
	v_readfirstlane_b32 s3, v2
	v_readfirstlane_b32 s7, v1
	s_delay_alu instid0(VALU_DEP_2) | instskip(NEXT) | instid1(VALU_DEP_1)
	s_mul_i32 s23, s11, s3
	s_mul_hi_u32 s25, s11, s7
	s_mul_i32 s24, s22, s7
	s_add_i32 s23, s25, s23
	s_mul_i32 s26, s11, s7
	s_add_i32 s23, s23, s24
	s_mul_hi_u32 s25, s7, s26
	s_mul_hi_u32 s27, s3, s26
	s_mul_i32 s24, s3, s26
	s_mul_hi_u32 s26, s7, s23
	s_mul_i32 s7, s7, s23
	s_mul_hi_u32 s28, s3, s23
	s_add_u32 s7, s25, s7
	s_addc_u32 s25, 0, s26
	s_add_u32 s7, s7, s24
	s_mul_i32 s23, s3, s23
	s_addc_u32 s7, s25, s27
	s_addc_u32 s24, s28, 0
	s_add_u32 s7, s7, s23
	s_addc_u32 s23, 0, s24
	v_add_co_u32 v1, s7, v1, s7
	s_delay_alu instid0(VALU_DEP_1) | instskip(SKIP_1) | instid1(VALU_DEP_1)
	s_cmp_lg_u32 s7, 0
	s_addc_u32 s3, s3, s23
	v_readfirstlane_b32 s7, v1
	s_mul_i32 s23, s11, s3
	s_delay_alu instid0(VALU_DEP_1)
	s_mul_hi_u32 s24, s11, s7
	s_mul_i32 s22, s22, s7
	s_add_i32 s23, s24, s23
	s_mul_i32 s11, s11, s7
	s_add_i32 s23, s23, s22
	s_mul_hi_u32 s24, s3, s11
	s_mul_i32 s25, s3, s11
	s_mul_hi_u32 s11, s7, s11
	s_mul_hi_u32 s26, s7, s23
	s_mul_i32 s7, s7, s23
	s_mul_hi_u32 s22, s3, s23
	s_add_u32 s7, s11, s7
	s_addc_u32 s11, 0, s26
	s_add_u32 s7, s7, s25
	s_mul_i32 s23, s3, s23
	s_addc_u32 s7, s11, s24
	s_addc_u32 s11, s22, 0
	s_add_u32 s7, s7, s23
	s_addc_u32 s11, 0, s11
	v_add_co_u32 v1, s7, v1, s7
	s_delay_alu instid0(VALU_DEP_1) | instskip(SKIP_2) | instid1(VALU_DEP_1)
	s_cmp_lg_u32 s7, 0
	s_addc_u32 s3, s3, s11
	s_ashr_i32 s22, s13, 31
	v_readfirstlane_b32 s7, v1
	s_add_u32 s24, s12, s22
	s_mov_b32 s23, s22
	s_addc_u32 s25, s13, s22
	s_delay_alu instid0(SALU_CYCLE_1) | instskip(NEXT) | instid1(SALU_CYCLE_1)
	s_xor_b64 s[24:25], s[24:25], s[22:23]
	s_mul_i32 s13, s24, s3
	s_mul_hi_u32 s26, s24, s7
	s_mul_hi_u32 s11, s24, s3
	;; [unrolled: 1-line block ×3, first 2 shown]
	s_mul_i32 s7, s25, s7
	s_add_u32 s13, s26, s13
	s_addc_u32 s11, 0, s11
	s_mul_hi_u32 s27, s25, s3
	s_add_u32 s7, s13, s7
	s_mul_i32 s3, s25, s3
	s_addc_u32 s7, s11, s28
	s_addc_u32 s11, s27, 0
	s_add_u32 s7, s7, s3
	s_addc_u32 s11, 0, s11
	s_mul_i32 s27, s18, s7
	s_mul_hi_u32 s3, s18, s7
	s_mul_i32 s26, s18, s11
	v_sub_co_u32 v1, s24, s24, s27
	s_mul_i32 s13, s19, s7
	s_add_i32 s3, s3, s26
	s_delay_alu instid0(SALU_CYCLE_1) | instskip(NEXT) | instid1(VALU_DEP_1)
	s_add_i32 s3, s3, s13
	v_sub_co_u32 v2, s26, v1, s18
	s_sub_i32 s13, s25, s3
	s_cmp_lg_u32 s24, 0
	s_subb_u32 s13, s13, s19
	s_cmp_lg_u32 s26, 0
	v_cmp_le_u32_e32 vcc_lo, s18, v2
	s_subb_u32 s13, s13, 0
	s_delay_alu instid0(SALU_CYCLE_1)
	s_cmp_ge_u32 s13, s19
	v_cndmask_b32_e64 v2, 0, -1, vcc_lo
	s_cselect_b32 s26, -1, 0
	s_cmp_eq_u32 s13, s19
	s_cselect_b32 vcc_lo, -1, 0
	s_add_u32 s13, s7, 1
	v_cndmask_b32_e32 v2, s26, v2, vcc_lo
	s_addc_u32 s26, s11, 0
	s_add_u32 s27, s7, 2
	s_addc_u32 s28, s11, 0
	s_cmp_lg_u32 s24, 0
	v_cmp_le_u32_e32 vcc_lo, s18, v1
	s_subb_u32 s3, s25, s3
	v_mov_b32_e32 v24, s27
	s_cmp_ge_u32 s3, s19
	v_cndmask_b32_e64 v1, 0, -1, vcc_lo
	s_cselect_b32 s18, -1, 0
	s_cmp_eq_u32 s3, s19
	v_cmp_ne_u32_e32 vcc_lo, 0, v2
	v_mov_b32_e32 v2, s28
	s_cselect_b32 s3, -1, 0
	s_xor_b64 s[16:17], s[22:23], s[16:17]
	v_cndmask_b32_e64 v1, s18, v1, s3
	v_cndmask_b32_e32 v24, s13, v24, vcc_lo
	v_cndmask_b32_e32 v2, s26, v2, vcc_lo
	s_delay_alu instid0(VALU_DEP_3) | instskip(NEXT) | instid1(VALU_DEP_2)
	v_cmp_ne_u32_e32 vcc_lo, 0, v1
	v_cndmask_b32_e32 v1, s11, v2, vcc_lo
	s_delay_alu instid0(VALU_DEP_4) | instskip(NEXT) | instid1(VALU_DEP_2)
	v_cndmask_b32_e32 v2, s7, v24, vcc_lo
	v_xor_b32_e32 v24, s17, v1
	s_delay_alu instid0(VALU_DEP_2) | instskip(NEXT) | instid1(VALU_DEP_1)
	v_xor_b32_e32 v2, s16, v2
	v_sub_co_u32 v1, vcc_lo, v2, s16
	s_delay_alu instid0(VALU_DEP_3)
	v_subrev_co_ci_u32_e32 v2, vcc_lo, s17, v24, vcc_lo
	s_cbranch_execnz .LBB104_33
.LBB104_32:
	v_cvt_f32_u32_e32 v1, s10
	s_sub_i32 s7, 0, s10
	s_delay_alu instid0(VALU_DEP_1) | instskip(SKIP_2) | instid1(VALU_DEP_1)
	v_rcp_iflag_f32_e32 v1, v1
	s_waitcnt_depctr 0xfff
	v_mul_f32_e32 v1, 0x4f7ffffe, v1
	v_cvt_u32_f32_e32 v1, v1
	s_delay_alu instid0(VALU_DEP_1) | instskip(NEXT) | instid1(VALU_DEP_1)
	v_readfirstlane_b32 s3, v1
	s_mul_i32 s7, s7, s3
	s_delay_alu instid0(SALU_CYCLE_1) | instskip(NEXT) | instid1(SALU_CYCLE_1)
	s_mul_hi_u32 s7, s3, s7
	s_add_i32 s3, s3, s7
	s_delay_alu instid0(SALU_CYCLE_1) | instskip(NEXT) | instid1(SALU_CYCLE_1)
	s_mul_hi_u32 s3, s12, s3
	s_mul_i32 s7, s3, s10
	s_add_i32 s11, s3, 1
	s_sub_i32 s7, s12, s7
	s_delay_alu instid0(SALU_CYCLE_1)
	s_sub_i32 s12, s7, s10
	s_cmp_ge_u32 s7, s10
	s_cselect_b32 s3, s11, s3
	s_cselect_b32 s7, s12, s7
	s_add_i32 s12, s3, 1
	s_cmp_ge_u32 s7, s10
	s_mov_b32 s11, 0
	s_cselect_b32 s10, s12, s3
	s_delay_alu instid0(SALU_CYCLE_1)
	v_dual_mov_b32 v1, s10 :: v_dual_mov_b32 v2, s11
.LBB104_33:
	s_delay_alu instid0(VALU_DEP_1) | instskip(NEXT) | instid1(VALU_DEP_2)
	v_add_co_u32 v1, vcc_lo, v1, v23
	v_add_co_ci_u32_e32 v2, vcc_lo, 0, v2, vcc_lo
	s_branch .LBB104_36
.LBB104_34:
                                        ; implicit-def: $vgpr1_vgpr2
	s_cbranch_execz .LBB104_36
; %bb.35:
	v_mul_lo_u32 v1, v23, s4
	s_delay_alu instid0(VALU_DEP_1) | instskip(SKIP_1) | instid1(VALU_DEP_2)
	v_ashrrev_i32_e32 v2, 31, v1
	v_add_co_u32 v1, vcc_lo, v1, s20
	v_add_co_ci_u32_e32 v2, vcc_lo, 0, v2, vcc_lo
.LBB104_36:
	s_mov_b32 s3, exec_lo
.LBB104_37:
	s_or_b32 exec_lo, exec_lo, s14
	s_delay_alu instid0(SALU_CYCLE_1)
	s_and_b32 vcc_lo, exec_lo, s15
	s_cbranch_vccz .LBB104_41
.LBB104_38:
	v_mov_b32_dpp v1, v21 quad_perm:[1,0,3,2] row_mask:0xf bank_mask:0xf
	s_delay_alu instid0(VALU_DEP_1) | instskip(SKIP_1) | instid1(VALU_DEP_1)
	v_cmp_gt_f32_e32 vcc_lo, v21, v1
	v_cndmask_b32_e32 v1, v1, v21, vcc_lo
	v_mov_b32_dpp v2, v1 quad_perm:[2,3,0,1] row_mask:0xf bank_mask:0xf
	s_delay_alu instid0(VALU_DEP_1) | instskip(SKIP_1) | instid1(VALU_DEP_1)
	v_cmp_gt_f32_e32 vcc_lo, v1, v2
	v_cndmask_b32_e32 v1, v2, v1, vcc_lo
	v_mov_b32_dpp v2, v1 row_xmask:7 row_mask:0xf bank_mask:0xf
	s_delay_alu instid0(VALU_DEP_1) | instskip(SKIP_1) | instid1(VALU_DEP_1)
	v_cmp_gt_f32_e32 vcc_lo, v1, v2
	v_cndmask_b32_e32 v1, v2, v1, vcc_lo
	v_mov_b32_dpp v2, v1 row_xmask:15 row_mask:0xf bank_mask:0xf
	s_delay_alu instid0(VALU_DEP_1)
	v_cmp_gt_f32_e32 vcc_lo, v1, v2
	s_and_saveexec_b32 s3, s2
	s_cbranch_execz .LBB104_40
; %bb.39:
	v_cndmask_b32_e32 v1, v2, v1, vcc_lo
	v_lshrrev_b32_e32 v2, 3, v0
	s_mov_b32 s2, 0x76543210
	s_delay_alu instid0(VALU_DEP_1) | instskip(NEXT) | instid1(VALU_DEP_3)
	v_and_b32_e32 v2, 0x7c, v2
	v_permlanex16_b32 v21, v1, s2, 0xfedcba98 op_sel:[1,1]
	s_delay_alu instid0(VALU_DEP_1)
	v_cmp_gt_f32_e32 vcc_lo, v1, v21
	v_cndmask_b32_e32 v1, v21, v1, vcc_lo
	ds_store_b32 v2, v1
.LBB104_40:
	s_or_b32 exec_lo, exec_lo, s3
	s_waitcnt lgkmcnt(0)
	s_barrier
	buffer_gl0_inv
	ds_load_b32 v1, v10
	v_cmp_eq_u32_e64 s3, 0, v0
	s_waitcnt lgkmcnt(0)
	v_mov_b32_dpp v2, v1 quad_perm:[1,0,3,2] row_mask:0xf bank_mask:0xf
	s_delay_alu instid0(VALU_DEP_1) | instskip(SKIP_1) | instid1(VALU_DEP_1)
	v_cmp_gt_f32_e32 vcc_lo, v1, v2
	v_cndmask_b32_e32 v1, v2, v1, vcc_lo
	v_mov_b32_dpp v2, v1 quad_perm:[2,3,0,1] row_mask:0xf bank_mask:0xf
	s_delay_alu instid0(VALU_DEP_1) | instskip(SKIP_1) | instid1(VALU_DEP_1)
	v_cmp_gt_f32_e32 vcc_lo, v1, v2
	v_cndmask_b32_e32 v1, v2, v1, vcc_lo
	v_mov_b32_dpp v2, v1 row_xmask:7 row_mask:0xf bank_mask:0xf
	s_delay_alu instid0(VALU_DEP_1) | instskip(SKIP_1) | instid1(VALU_DEP_1)
	v_cmp_gt_f32_e32 vcc_lo, v1, v2
	v_cndmask_b32_e32 v1, v2, v1, vcc_lo
	v_dual_mul_f32 v22, 0x3c010204, v1 :: v_dual_mov_b32 v1, s20
	v_mov_b32_e32 v2, s21
.LBB104_41:
	s_and_saveexec_b32 s2, s3
	s_cbranch_execz .LBB104_43
; %bb.42:
	s_delay_alu instid0(VALU_DEP_1) | instskip(NEXT) | instid1(VALU_DEP_1)
	v_lshlrev_b64 v[0:1], 2, v[1:2]
	v_add_co_u32 v0, vcc_lo, s8, v0
	s_delay_alu instid0(VALU_DEP_2)
	v_add_co_ci_u32_e32 v1, vcc_lo, s9, v1, vcc_lo
	global_store_b32 v[0:1], v22, off
.LBB104_43:
	s_or_b32 exec_lo, exec_lo, s2
	;;#ASMSTART
	v_rcp_f32 v0, v22
	;;#ASMEND
	v_mul_f32_e32 v6, v6, v0
	v_mul_f32_e32 v5, v5, v0
	;; [unrolled: 1-line block ×5, first 2 shown]
	v_cvt_i32_f32_e32 v6, v6
	v_cvt_i32_f32_e32 v5, v5
	v_mul_f32_e32 v10, v17, v0
	v_cvt_i32_f32_e32 v11, v11
	v_mul_f32_e32 v16, v16, v0
	v_lshlrev_b16 v6, 8, v6
	v_and_b32_e32 v5, 0xff, v5
	v_cvt_i32_f32_e32 v7, v7
	v_dual_mul_f32 v2, v20, v0 :: v_dual_and_b32 v11, 0xff, v11
	v_cvt_i32_f32_e32 v10, v10
	s_delay_alu instid0(VALU_DEP_4) | instskip(NEXT) | instid1(VALU_DEP_4)
	v_or_b32_e32 v5, v5, v6
	v_dual_mul_f32 v12, v12, v0 :: v_dual_and_b32 v7, 0xff, v7
	s_delay_alu instid0(VALU_DEP_4) | instskip(NEXT) | instid1(VALU_DEP_4)
	v_cvt_i32_f32_e32 v2, v2
	v_dual_mul_f32 v15, v15, v0 :: v_dual_and_b32 v10, 0xff, v10
	s_delay_alu instid0(VALU_DEP_4) | instskip(NEXT) | instid1(VALU_DEP_4)
	v_lshlrev_b32_e32 v5, 16, v5
	v_cvt_i32_f32_e32 v12, v12
	s_delay_alu instid0(VALU_DEP_4)
	v_lshlrev_b16 v2, 8, v2
	v_mul_f32_e32 v4, v4, v0
	s_load_b64 s[0:1], s[0:1], 0x0
	v_cvt_i32_f32_e32 v16, v16
	v_lshlrev_b16 v12, 8, v12
	v_cvt_i32_f32_e32 v15, v15
	v_cvt_i32_f32_e32 v4, v4
	s_add_i32 s2, s5, 3
	s_ashr_i32 s3, s6, 31
	v_or_b32_e32 v6, v11, v12
	v_mul_f32_e32 v1, v19, v0
	v_lshlrev_b16 v4, 8, v4
	s_mul_hi_u32 s4, s6, s20
	s_mul_i32 s5, s6, s20
	v_and_b32_e32 v6, 0xffff, v6
	v_cvt_i32_f32_e32 v1, v1
	v_mul_f32_e32 v8, v8, v0
	s_ashr_i32 s6, s2, 31
	s_mul_i32 s3, s3, s20
	s_lshr_b32 s6, s6, 30
	v_and_b32_e32 v1, 0xff, v1
	v_cvt_i32_f32_e32 v8, v8
	s_add_i32 s2, s2, s6
	s_add_i32 s4, s4, s3
	s_and_b32 s2, s2, -4
	v_or_b32_e32 v1, v1, v2
	v_mul_f32_e32 v13, v13, v0
	v_lshlrev_b16 v8, 8, v8
	s_waitcnt lgkmcnt(0)
	s_add_u32 s0, s0, s5
	s_addc_u32 s1, s1, s4
	s_mov_b32 s3, -1
	v_cvt_i32_f32_e32 v13, v13
	v_mul_f32_e32 v17, v18, v0
	v_mul_f32_e32 v0, v3, v0
	v_or_b32_e32 v3, v7, v8
	v_lshlrev_b16 v7, 8, v15
	v_and_b32_e32 v12, 0xff, v13
	v_cvt_i32_f32_e32 v17, v17
	v_cvt_i32_f32_e32 v0, v0
	v_and_b32_e32 v3, 0xffff, v3
	v_cvt_i32_f32_e32 v14, v14
	v_and_b32_e32 v8, 0xff, v16
	v_lshlrev_b16 v13, 8, v17
	v_and_b32_e32 v0, 0xff, v0
	v_or_b32_e32 v3, v3, v5
	v_lshlrev_b16 v11, 8, v14
	s_and_b32 s1, s1, 0xffff
	v_or_b32_e32 v2, v10, v13
	v_or_b32_e32 v0, v0, v4
	;; [unrolled: 1-line block ×4, first 2 shown]
	v_and_b32_e32 v8, 0xffff, v1
	v_lshlrev_b32_e32 v10, 16, v2
	v_lshlrev_b32_e32 v0, 16, v0
	v_and_b32_e32 v4, 0xffff, v4
	v_lshlrev_b32_e32 v7, 16, v7
	s_delay_alu instid0(VALU_DEP_3) | instskip(SKIP_1) | instid1(VALU_DEP_3)
	v_or_b32_e32 v2, v6, v0
	v_or_b32_e32 v0, v8, v10
	;; [unrolled: 1-line block ×3, first 2 shown]
	buffer_store_b128 v[0:3], v9, s[0:3], 0 offen
	;;#ASMSTART
	s_nop 0
	;;#ASMEND
.LBB104_44:
	s_nop 0
	s_sendmsg sendmsg(MSG_DEALLOC_VGPRS)
	s_endpgm
.LBB104_45:
                                        ; implicit-def: $vgpr1_vgpr2
	s_branch .LBB104_32
	.section	.rodata,"a",@progbits
	.p2align	6, 0x0
	.amdhsa_kernel _ZN5aiter24add_rmsnorm_quant_kernelItaLi256ELi16ELb0ELb1ELb0ELi1EEEvPT0_PT_PfS4_S4_S4_diiiiiiib
		.amdhsa_group_segment_fixed_size 64
		.amdhsa_private_segment_fixed_size 0
		.amdhsa_kernarg_size 88
		.amdhsa_user_sgpr_count 15
		.amdhsa_user_sgpr_dispatch_ptr 0
		.amdhsa_user_sgpr_queue_ptr 0
		.amdhsa_user_sgpr_kernarg_segment_ptr 1
		.amdhsa_user_sgpr_dispatch_id 0
		.amdhsa_user_sgpr_private_segment_size 0
		.amdhsa_wavefront_size32 1
		.amdhsa_uses_dynamic_stack 0
		.amdhsa_enable_private_segment 0
		.amdhsa_system_sgpr_workgroup_id_x 1
		.amdhsa_system_sgpr_workgroup_id_y 0
		.amdhsa_system_sgpr_workgroup_id_z 0
		.amdhsa_system_sgpr_workgroup_info 0
		.amdhsa_system_vgpr_workitem_id 0
		.amdhsa_next_free_vgpr 43
		.amdhsa_next_free_sgpr 29
		.amdhsa_reserve_vcc 1
		.amdhsa_float_round_mode_32 0
		.amdhsa_float_round_mode_16_64 0
		.amdhsa_float_denorm_mode_32 3
		.amdhsa_float_denorm_mode_16_64 3
		.amdhsa_dx10_clamp 1
		.amdhsa_ieee_mode 1
		.amdhsa_fp16_overflow 0
		.amdhsa_workgroup_processor_mode 1
		.amdhsa_memory_ordered 1
		.amdhsa_forward_progress 0
		.amdhsa_shared_vgpr_count 0
		.amdhsa_exception_fp_ieee_invalid_op 0
		.amdhsa_exception_fp_denorm_src 0
		.amdhsa_exception_fp_ieee_div_zero 0
		.amdhsa_exception_fp_ieee_overflow 0
		.amdhsa_exception_fp_ieee_underflow 0
		.amdhsa_exception_fp_ieee_inexact 0
		.amdhsa_exception_int_div_zero 0
	.end_amdhsa_kernel
	.section	.text._ZN5aiter24add_rmsnorm_quant_kernelItaLi256ELi16ELb0ELb1ELb0ELi1EEEvPT0_PT_PfS4_S4_S4_diiiiiiib,"axG",@progbits,_ZN5aiter24add_rmsnorm_quant_kernelItaLi256ELi16ELb0ELb1ELb0ELi1EEEvPT0_PT_PfS4_S4_S4_diiiiiiib,comdat
.Lfunc_end104:
	.size	_ZN5aiter24add_rmsnorm_quant_kernelItaLi256ELi16ELb0ELb1ELb0ELi1EEEvPT0_PT_PfS4_S4_S4_diiiiiiib, .Lfunc_end104-_ZN5aiter24add_rmsnorm_quant_kernelItaLi256ELi16ELb0ELb1ELb0ELi1EEEvPT0_PT_PfS4_S4_S4_diiiiiiib
                                        ; -- End function
	.section	.AMDGPU.csdata,"",@progbits
; Kernel info:
; codeLenInByte = 3920
; NumSgprs: 31
; NumVgprs: 43
; ScratchSize: 0
; MemoryBound: 0
; FloatMode: 240
; IeeeMode: 1
; LDSByteSize: 64 bytes/workgroup (compile time only)
; SGPRBlocks: 3
; VGPRBlocks: 5
; NumSGPRsForWavesPerEU: 31
; NumVGPRsForWavesPerEU: 43
; Occupancy: 16
; WaveLimiterHint : 0
; COMPUTE_PGM_RSRC2:SCRATCH_EN: 0
; COMPUTE_PGM_RSRC2:USER_SGPR: 15
; COMPUTE_PGM_RSRC2:TRAP_HANDLER: 0
; COMPUTE_PGM_RSRC2:TGID_X_EN: 1
; COMPUTE_PGM_RSRC2:TGID_Y_EN: 0
; COMPUTE_PGM_RSRC2:TGID_Z_EN: 0
; COMPUTE_PGM_RSRC2:TIDIG_COMP_CNT: 0
	.section	.text._ZN5aiter24add_rmsnorm_quant_kernelIDF16_aLi256ELi24ELb0ELb1ELb1ELi1EEEvPT0_PT_PfS4_S4_S4_diiiiiiib,"axG",@progbits,_ZN5aiter24add_rmsnorm_quant_kernelIDF16_aLi256ELi24ELb0ELb1ELb1ELi1EEEvPT0_PT_PfS4_S4_S4_diiiiiiib,comdat
	.protected	_ZN5aiter24add_rmsnorm_quant_kernelIDF16_aLi256ELi24ELb0ELb1ELb1ELi1EEEvPT0_PT_PfS4_S4_S4_diiiiiiib ; -- Begin function _ZN5aiter24add_rmsnorm_quant_kernelIDF16_aLi256ELi24ELb0ELb1ELb1ELi1EEEvPT0_PT_PfS4_S4_S4_diiiiiiib
	.globl	_ZN5aiter24add_rmsnorm_quant_kernelIDF16_aLi256ELi24ELb0ELb1ELb1ELi1EEEvPT0_PT_PfS4_S4_S4_diiiiiiib
	.p2align	8
	.type	_ZN5aiter24add_rmsnorm_quant_kernelIDF16_aLi256ELi24ELb0ELb1ELb1ELi1EEEvPT0_PT_PfS4_S4_S4_diiiiiiib,@function
_ZN5aiter24add_rmsnorm_quant_kernelIDF16_aLi256ELi24ELb0ELb1ELb1ELi1EEEvPT0_PT_PfS4_S4_S4_diiiiiiib: ; @_ZN5aiter24add_rmsnorm_quant_kernelIDF16_aLi256ELi24ELb0ELb1ELb1ELi1EEEvPT0_PT_PfS4_S4_S4_diiiiiiib
; %bb.0:
	s_load_b128 s[4:7], s[0:1], 0x38
	s_mov_b32 s20, s15
	s_mov_b32 s21, 0
	s_waitcnt lgkmcnt(0)
	s_ashr_i32 s3, s4, 31
	s_mov_b32 s2, s4
	s_delay_alu instid0(SALU_CYCLE_1) | instskip(NEXT) | instid1(VALU_DEP_1)
	v_cmp_ge_i64_e64 s2, s[20:21], s[2:3]
	s_and_b32 vcc_lo, exec_lo, s2
	s_cbranch_vccnz .LBB105_44
; %bb.1:
	s_clause 0x1
	s_load_b128 s[8:11], s[0:1], 0x10
	s_load_b128 s[16:19], s[0:1], 0x28
	v_and_b32_e32 v1, 0x3e0, v0
	s_ashr_i32 s2, s6, 31
	s_mul_hi_u32 s3, s6, s20
	s_mul_i32 s7, s2, s20
	v_lshlrev_b32_e32 v2, 3, v0
	v_mul_u32_u24_e32 v1, 24, v1
	s_mul_i32 s2, s6, s20
	s_add_i32 s3, s3, s7
	s_mov_b32 s15, -1
	s_lshl_b64 s[2:3], s[2:3], 1
	v_and_or_b32 v13, 0xf8, v2, v1
	s_mov_b32 s27, s15
	v_and_b32_e32 v40, 31, v0
	s_delay_alu instid0(VALU_DEP_2)
	v_lshlrev_b32_e32 v1, 1, v13
	s_waitcnt lgkmcnt(0)
	s_add_u32 s12, s10, s2
	s_addc_u32 s2, s11, s3
	s_add_i32 s3, s5, 1
	s_and_b32 s13, s2, 0xffff
	s_lshr_b32 s6, s3, 31
	s_movk_i32 s2, 0x200
	s_add_i32 s3, s3, s6
	s_mov_b32 s24, s16
	s_lshl_b32 s3, s3, 1
	s_and_b32 s25, s17, 0xffff
	s_and_b32 s14, s3, -4
	s_movk_i32 s3, 0x400
	s_clause 0x2
	buffer_load_b128 v[17:20], v1, s[12:15], 0 offen glc slc
	buffer_load_b128 v[21:24], v1, s[12:15], s2 offen glc slc
	buffer_load_b128 v[25:28], v1, s[12:15], s3 offen glc slc
	s_mov_b32 s26, s14
	s_clause 0x2
	buffer_load_b128 v[9:12], v1, s[24:27], 0 offen
	buffer_load_b128 v[5:8], v1, s[24:27], s2 offen
	;; [unrolled: 1-line block ×3, first 2 shown]
	v_cmp_eq_u32_e64 s2, 31, v40
	s_waitcnt vmcnt(5)
	v_lshrrev_b32_e32 v14, 16, v17
	v_lshrrev_b32_e32 v29, 16, v18
	v_cvt_f32_f16_e32 v16, v18
	v_lshrrev_b32_e32 v30, 16, v19
	v_lshrrev_b32_e32 v31, 16, v20
	v_cvt_f32_f16_e32 v15, v14
	v_cvt_f32_f16_e32 v38, v29
	s_waitcnt vmcnt(4)
	v_lshrrev_b32_e32 v32, 16, v21
	v_lshrrev_b32_e32 v34, 16, v22
	;; [unrolled: 1-line block ×3, first 2 shown]
	v_mul_f32_e32 v14, v15, v15
	v_lshrrev_b32_e32 v41, 16, v24
	s_waitcnt vmcnt(3)
	v_lshrrev_b32_e32 v42, 16, v25
	v_lshrrev_b32_e32 v43, 16, v26
	;; [unrolled: 1-line block ×3, first 2 shown]
	v_fma_mix_f32 v14, v17, v17, v14 op_sel_hi:[1,1,0]
	v_cvt_f32_f16_e32 v17, v17
	v_cvt_f32_f16_e32 v37, v30
	v_cvt_f32_f16_e32 v35, v31
	v_cvt_f32_f16_e32 v36, v32
	v_fma_mix_f32 v14, v18, v18, v14 op_sel_hi:[1,1,0]
	v_cvt_f32_f16_e32 v34, v34
	v_cvt_f32_f16_e32 v31, v41
	;; [unrolled: 1-line block ×4, first 2 shown]
	v_fma_mix_f32 v14, v18, v18, v14 op_sel:[1,1,0] op_sel_hi:[1,1,0]
	v_cvt_f32_f16_e32 v18, v19
	s_delay_alu instid0(VALU_DEP_2) | instskip(NEXT) | instid1(VALU_DEP_1)
	v_fma_mix_f32 v14, v19, v19, v14 op_sel_hi:[1,1,0]
	v_fma_mix_f32 v14, v19, v19, v14 op_sel:[1,1,0] op_sel_hi:[1,1,0]
	v_cvt_f32_f16_e32 v19, v20
	s_delay_alu instid0(VALU_DEP_2) | instskip(NEXT) | instid1(VALU_DEP_1)
	v_fma_mix_f32 v14, v20, v20, v14 op_sel_hi:[1,1,0]
	;; [unrolled: 4-line block ×10, first 2 shown]
	v_fma_mix_f32 v14, v28, v28, v14 op_sel:[1,1,0] op_sel_hi:[1,1,0]
	v_lshrrev_b32_e32 v28, 16, v28
	s_delay_alu instid0(VALU_DEP_2) | instskip(NEXT) | instid1(VALU_DEP_2)
	v_mov_b32_dpp v33, v14 quad_perm:[1,0,3,2] row_mask:0xf bank_mask:0xf
	v_cvt_f32_f16_e32 v28, v28
	s_delay_alu instid0(VALU_DEP_2) | instskip(NEXT) | instid1(VALU_DEP_1)
	v_add_f32_e32 v14, v14, v33
	v_mov_b32_dpp v33, v14 quad_perm:[2,3,0,1] row_mask:0xf bank_mask:0xf
	s_delay_alu instid0(VALU_DEP_1) | instskip(SKIP_1) | instid1(VALU_DEP_2)
	v_add_f32_e32 v14, v14, v33
	v_cvt_f32_f16_e32 v33, v39
	v_mov_b32_dpp v29, v14 row_xmask:7 row_mask:0xf bank_mask:0xf
	s_delay_alu instid0(VALU_DEP_1) | instskip(SKIP_1) | instid1(VALU_DEP_2)
	v_add_f32_e32 v14, v14, v29
	v_cvt_f32_f16_e32 v29, v44
	v_mov_b32_dpp v39, v14 row_xmask:15 row_mask:0xf bank_mask:0xf
	s_and_saveexec_b32 s3, s2
	s_cbranch_execz .LBB105_3
; %bb.2:
	s_delay_alu instid0(VALU_DEP_1) | instskip(SKIP_2) | instid1(VALU_DEP_2)
	v_add_f32_e32 v14, v14, v39
	s_mov_b32 s6, 0x76543210
	v_lshrrev_b32_e32 v39, 3, v0
	v_permlanex16_b32 v40, v14, s6, 0xfedcba98 op_sel:[1,1]
	s_delay_alu instid0(VALU_DEP_1)
	v_dual_add_f32 v14, v14, v40 :: v_dual_and_b32 v39, 0x7c, v39
	ds_store_b32 v39, v14 offset:32
.LBB105_3:
	s_or_b32 exec_lo, exec_lo, s3
	v_and_b32_e32 v14, 7, v0
	s_waitcnt vmcnt(0) lgkmcnt(0)
	s_barrier
	buffer_gl0_inv
	v_cvt_f32_i32_e32 v41, s5
	v_lshlrev_b32_e32 v14, 2, v14
	v_cvt_f32_f16_e32 v46, v7
	v_lshrrev_b32_e32 v7, 16, v7
	v_cvt_f32_f16_e32 v48, v8
	v_lshrrev_b32_e32 v8, 16, v8
	ds_load_b32 v39, v14 offset:32
	v_cvt_f32_f16_e32 v49, v2
	v_cvt_f32_f16_e32 v7, v7
	;; [unrolled: 1-line block ×3, first 2 shown]
	v_lshrrev_b32_e32 v3, 16, v3
	v_lshrrev_b32_e32 v2, 16, v2
	v_cvt_f32_f16_e32 v8, v8
	s_clause 0x1
	s_load_b64 s[6:7], s[0:1], 0x4c
	s_load_b32 s10, s[0:1], 0x54
	v_cvt_f32_f16_e32 v51, v4
	v_cvt_f32_f16_e32 v3, v3
	;; [unrolled: 1-line block ×3, first 2 shown]
	v_lshrrev_b32_e32 v4, 16, v4
	v_mov_b32_e32 v52, 0x2edbe6ff
	s_delay_alu instid0(VALU_DEP_2) | instskip(SKIP_2) | instid1(VALU_DEP_1)
	v_cvt_f32_f16_e32 v4, v4
	s_waitcnt lgkmcnt(0)
	v_mov_b32_dpp v40, v39 quad_perm:[1,0,3,2] row_mask:0xf bank_mask:0xf
	v_add_f32_e32 v39, v39, v40
	s_cmp_lg_u32 s7, 0
	s_delay_alu instid0(VALU_DEP_1) | instskip(NEXT) | instid1(VALU_DEP_1)
	v_mov_b32_dpp v40, v39 quad_perm:[2,3,0,1] row_mask:0xf bank_mask:0xf
	v_add_f32_e32 v39, v39, v40
	s_delay_alu instid0(VALU_DEP_1) | instskip(NEXT) | instid1(VALU_DEP_1)
	v_mov_b32_dpp v40, v39 row_xmask:7 row_mask:0xf bank_mask:0xf
	v_add_f32_e32 v39, v39, v40
	s_delay_alu instid0(VALU_DEP_1) | instskip(SKIP_1) | instid1(VALU_DEP_2)
	v_div_scale_f32 v40, null, v41, v41, v39
	v_div_scale_f32 v44, vcc_lo, v39, v41, v39
	v_rcp_f32_e32 v42, v40
	s_waitcnt_depctr 0xfff
	v_fma_f32 v43, -v40, v42, 1.0
	s_delay_alu instid0(VALU_DEP_1) | instskip(NEXT) | instid1(VALU_DEP_1)
	v_fmac_f32_e32 v42, v43, v42
	v_mul_f32_e32 v43, v44, v42
	s_delay_alu instid0(VALU_DEP_1) | instskip(NEXT) | instid1(VALU_DEP_1)
	v_fma_f32 v45, -v40, v43, v44
	v_fmac_f32_e32 v43, v45, v42
	v_cvt_f32_f16_e32 v45, v6
	v_lshrrev_b32_e32 v6, 16, v6
	s_delay_alu instid0(VALU_DEP_3) | instskip(SKIP_2) | instid1(VALU_DEP_4)
	v_fma_f32 v40, -v40, v43, v44
	v_cvt_f32_f16_e32 v44, v5
	v_lshrrev_b32_e32 v5, 16, v5
	v_cvt_f32_f16_e32 v6, v6
	s_delay_alu instid0(VALU_DEP_4)
	v_div_fmas_f32 v40, v40, v42, v43
	v_cvt_f32_f16_e32 v42, v11
	v_lshrrev_b32_e32 v11, 16, v11
	v_cvt_f32_f16_e32 v43, v12
	v_cvt_f32_f16_e32 v5, v5
	v_div_fixup_f32 v39, v40, v41, v39
	v_cvt_f32_f16_e32 v41, v10
	v_cvt_f32_f16_e32 v11, v11
	v_lshrrev_b32_e32 v10, 16, v10
	v_lshrrev_b32_e32 v12, 16, v12
	v_cvt_f64_f32_e32 v[39:40], v39
	s_delay_alu instid0(VALU_DEP_3) | instskip(NEXT) | instid1(VALU_DEP_3)
	v_cvt_f32_f16_e32 v10, v10
	v_cvt_f32_f16_e32 v12, v12
	s_delay_alu instid0(VALU_DEP_3) | instskip(NEXT) | instid1(VALU_DEP_1)
	v_add_f64 v[39:40], v[39:40], s[18:19]
	v_cvt_f32_f64_e32 v39, v[39:40]
	v_cvt_f32_f16_e32 v40, v9
	v_lshrrev_b32_e32 v9, 16, v9
	s_delay_alu instid0(VALU_DEP_1) | instskip(NEXT) | instid1(VALU_DEP_4)
	v_cvt_f32_f16_e32 v9, v9
	v_mul_f32_e32 v47, 0x4b800000, v39
	v_cmp_gt_f32_e32 vcc_lo, 0x800000, v39
	s_delay_alu instid0(VALU_DEP_2) | instskip(SKIP_2) | instid1(VALU_DEP_3)
	v_cndmask_b32_e32 v39, v39, v47, vcc_lo
	v_cvt_f32_f16_e32 v47, v1
	v_lshrrev_b32_e32 v1, 16, v1
	v_rsq_f32_e32 v39, v39
	s_delay_alu instid0(VALU_DEP_1) | instskip(SKIP_2) | instid1(VALU_DEP_1)
	v_cvt_f32_f16_e32 v1, v1
	s_waitcnt_depctr 0xfff
	v_mul_f32_e32 v53, 0x45800000, v39
	v_cndmask_b32_e32 v39, v39, v53, vcc_lo
	s_delay_alu instid0(VALU_DEP_1) | instskip(SKIP_1) | instid1(VALU_DEP_2)
	v_mul_f32_e32 v37, v39, v37
	v_mul_f32_e32 v56, v39, v24
	;; [unrolled: 1-line block ×10, first 2 shown]
	v_dual_mul_f32 v18, v39, v18 :: v_dual_mul_f32 v25, v16, v41
	v_mul_f32_e32 v31, v39, v31
	v_mul_f32_e32 v58, v39, v26
	;; [unrolled: 1-line block ×3, first 2 shown]
	v_dual_mul_f32 v53, v39, v21 :: v_dual_mul_f32 v26, v38, v10
	v_dual_mul_f32 v11, v34, v6 :: v_dual_mul_f32 v10, v32, v1
	v_mul_f32_e32 v21, v19, v43
	v_dual_mul_f32 v19, v36, v5 :: v_dual_mul_f32 v20, v39, v20
	v_mul_f32_e32 v55, v39, v23
	v_mul_f32_e32 v30, v39, v30
	;; [unrolled: 1-line block ×4, first 2 shown]
	v_dual_mul_f32 v17, v39, v17 :: v_dual_mul_f32 v20, v20, v44
	v_and_b32_e32 v32, 0x7fffffff, v24
	s_delay_alu instid0(VALU_DEP_3)
	v_dual_mul_f32 v16, v31, v8 :: v_dual_and_b32 v31, 0x7fffffff, v23
	v_and_b32_e32 v36, 0x7fffffff, v19
	v_mul_f32_e32 v6, v29, v3
	v_mul_f32_e32 v15, v39, v15
	;; [unrolled: 1-line block ×3, first 2 shown]
	v_dual_mul_f32 v59, v39, v27 :: v_dual_mul_f32 v8, v30, v2
	v_dual_mul_f32 v22, v35, v12 :: v_dual_and_b32 v29, 0x7fffffff, v25
	v_dual_mul_f32 v5, v58, v50 :: v_dual_mul_f32 v12, v53, v45
	v_dual_mul_f32 v27, v15, v9 :: v_dual_and_b32 v42, 0x7fffffff, v16
	v_mul_f32_e32 v33, v39, v33
	v_dual_mul_f32 v39, v39, v28 :: v_dual_and_b32 v38, 0x7fffffff, v11
	v_mul_f32_e32 v28, v17, v40
	s_delay_alu instid0(VALU_DEP_4) | instskip(NEXT) | instid1(VALU_DEP_4)
	v_and_b32_e32 v2, 0x7fffffff, v27
	v_mul_f32_e32 v18, v33, v7
	v_mul_f32_e32 v9, v56, v47
	;; [unrolled: 1-line block ×3, first 2 shown]
	v_and_b32_e32 v1, 0x7fffffff, v28
	;;#ASMSTART
	v_max3_f32 v1, v52, v1, v2

	;;#ASMEND
	v_and_b32_e32 v30, 0x7fffffff, v26
	;;#ASMSTART
	v_max3_f32 v1, v1, v29, v30

	;;#ASMEND
	v_dual_mul_f32 v15, v55, v48 :: v_dual_and_b32 v48, 0x7fffffff, v6
	;;#ASMSTART
	v_max3_f32 v1, v1, v31, v32

	;;#ASMEND
	v_and_b32_e32 v34, 0x7fffffff, v22
	v_and_b32_e32 v44, 0x7fffffff, v10
	v_dual_mul_f32 v4, v39, v4 :: v_dual_and_b32 v33, 0x7fffffff, v21
	;;#ASMSTART
	v_max3_f32 v1, v1, v33, v34

	;;#ASMEND
	v_mul_f32_e32 v7, v57, v49
	v_and_b32_e32 v35, 0x7fffffff, v20
	;;#ASMSTART
	v_max3_f32 v1, v1, v35, v36

	;;#ASMEND
	v_and_b32_e32 v37, 0x7fffffff, v12
	v_dual_mul_f32 v3, v59, v51 :: v_dual_and_b32 v40, 0x7fffffff, v18
	v_and_b32_e32 v46, 0x7fffffff, v8
	;;#ASMSTART
	v_max3_f32 v1, v1, v37, v38

	;;#ASMEND
	v_and_b32_e32 v39, 0x7fffffff, v17
	;;#ASMSTART
	v_max3_f32 v1, v1, v39, v40

	;;#ASMEND
	;; [unrolled: 5-line block ×5, first 2 shown]
	v_and_b32_e32 v47, 0x7fffffff, v5
	v_and_b32_e32 v49, 0x7fffffff, v3
	;; [unrolled: 1-line block ×3, first 2 shown]
	;;#ASMSTART
	v_max3_f32 v1, v1, v47, v48

	;;#ASMEND
	;;#ASMSTART
	v_max3_f32 v29, v1, v49, v50

	;;#ASMEND
	s_cbranch_scc0 .LBB105_10
; %bb.4:
	s_mul_hi_i32 s3, s7, 0x2aaaaaab
	s_delay_alu instid0(SALU_CYCLE_1) | instskip(SKIP_1) | instid1(SALU_CYCLE_1)
	s_lshr_b32 s11, s3, 31
	s_ashr_i32 s3, s3, 2
	s_add_i32 s3, s3, s11
	s_delay_alu instid0(SALU_CYCLE_1)
	s_cmp_lt_i32 s3, 8
	s_cbranch_scc1 .LBB105_11
; %bb.5:
	s_cmp_lt_i32 s3, 16
	s_cbranch_scc1 .LBB105_12
; %bb.6:
	;; [unrolled: 3-line block ×3, first 2 shown]
	v_mov_b32_e32 v1, v29
	s_cmp_eq_u32 s3, 32
	s_cbranch_scc0 .LBB105_9
; %bb.8:
	s_delay_alu instid0(VALU_DEP_1) | instskip(SKIP_1) | instid1(VALU_DEP_1)
	v_mov_b32_dpp v1, v29 quad_perm:[1,0,3,2] row_mask:0xf bank_mask:0xf
	s_mov_b32 s11, 0x76543210
	v_cmp_gt_f32_e32 vcc_lo, v29, v1
	v_cndmask_b32_e32 v1, v1, v29, vcc_lo
	s_delay_alu instid0(VALU_DEP_1) | instskip(NEXT) | instid1(VALU_DEP_1)
	v_mov_b32_dpp v2, v1 quad_perm:[2,3,0,1] row_mask:0xf bank_mask:0xf
	v_cmp_gt_f32_e32 vcc_lo, v1, v2
	v_cndmask_b32_e32 v1, v2, v1, vcc_lo
	s_delay_alu instid0(VALU_DEP_1) | instskip(NEXT) | instid1(VALU_DEP_1)
	v_mov_b32_dpp v2, v1 row_xmask:7 row_mask:0xf bank_mask:0xf
	v_cmp_gt_f32_e32 vcc_lo, v1, v2
	v_cndmask_b32_e32 v1, v2, v1, vcc_lo
	s_delay_alu instid0(VALU_DEP_1) | instskip(NEXT) | instid1(VALU_DEP_1)
	v_mov_b32_dpp v2, v1 row_xmask:15 row_mask:0xf bank_mask:0xf
	v_cmp_gt_f32_e32 vcc_lo, v1, v2
	v_cndmask_b32_e32 v1, v2, v1, vcc_lo
	s_delay_alu instid0(VALU_DEP_1) | instskip(NEXT) | instid1(VALU_DEP_1)
	v_permlanex16_b32 v2, v1, s11, 0xfedcba98 op_sel:[1,1]
	v_cmp_gt_f32_e32 vcc_lo, v1, v2
	v_cndmask_b32_e32 v1, v2, v1, vcc_lo
.LBB105_9:
	s_mov_b32 s11, 0
	s_branch .LBB105_14
.LBB105_10:
	s_mov_b32 s3, 0
                                        ; implicit-def: $vgpr30
                                        ; implicit-def: $vgpr1_vgpr2
	s_and_b32 vcc_lo, exec_lo, s15
	s_cbranch_vccnz .LBB105_38
	s_branch .LBB105_41
.LBB105_11:
                                        ; implicit-def: $vgpr1
	s_branch .LBB105_21
.LBB105_12:
                                        ; implicit-def: $vgpr1
	s_branch .LBB105_18
.LBB105_13:
	s_mov_b32 s11, -1
                                        ; implicit-def: $vgpr1
.LBB105_14:
	s_delay_alu instid0(SALU_CYCLE_1)
	s_and_not1_b32 vcc_lo, exec_lo, s11
	s_cbranch_vccnz .LBB105_17
; %bb.15:
	v_mov_b32_e32 v1, v29
	s_cmp_eq_u32 s3, 16
	s_cbranch_scc0 .LBB105_17
; %bb.16:
	s_delay_alu instid0(VALU_DEP_1) | instskip(NEXT) | instid1(VALU_DEP_1)
	v_mov_b32_dpp v1, v29 quad_perm:[1,0,3,2] row_mask:0xf bank_mask:0xf
	v_cmp_gt_f32_e32 vcc_lo, v29, v1
	v_cndmask_b32_e32 v1, v1, v29, vcc_lo
	s_delay_alu instid0(VALU_DEP_1) | instskip(NEXT) | instid1(VALU_DEP_1)
	v_mov_b32_dpp v2, v1 quad_perm:[2,3,0,1] row_mask:0xf bank_mask:0xf
	v_cmp_gt_f32_e32 vcc_lo, v1, v2
	v_cndmask_b32_e32 v1, v2, v1, vcc_lo
	s_delay_alu instid0(VALU_DEP_1) | instskip(NEXT) | instid1(VALU_DEP_1)
	v_mov_b32_dpp v2, v1 row_half_mirror row_mask:0xf bank_mask:0xf
	v_cmp_gt_f32_e32 vcc_lo, v1, v2
	v_cndmask_b32_e32 v1, v2, v1, vcc_lo
	s_delay_alu instid0(VALU_DEP_1) | instskip(NEXT) | instid1(VALU_DEP_1)
	v_mov_b32_dpp v2, v1 row_mirror row_mask:0xf bank_mask:0xf
	v_cmp_gt_f32_e32 vcc_lo, v1, v2
	v_cndmask_b32_e32 v1, v2, v1, vcc_lo
.LBB105_17:
	s_cbranch_execnz .LBB105_20
.LBB105_18:
	v_mov_b32_e32 v1, v29
	s_cmp_eq_u32 s3, 8
	s_cbranch_scc0 .LBB105_20
; %bb.19:
	s_delay_alu instid0(VALU_DEP_1) | instskip(NEXT) | instid1(VALU_DEP_1)
	v_mov_b32_dpp v1, v29 quad_perm:[1,0,3,2] row_mask:0xf bank_mask:0xf
	v_cmp_gt_f32_e32 vcc_lo, v29, v1
	v_cndmask_b32_e32 v1, v1, v29, vcc_lo
	s_delay_alu instid0(VALU_DEP_1) | instskip(NEXT) | instid1(VALU_DEP_1)
	v_mov_b32_dpp v2, v1 quad_perm:[2,3,0,1] row_mask:0xf bank_mask:0xf
	v_cmp_gt_f32_e32 vcc_lo, v1, v2
	v_cndmask_b32_e32 v1, v2, v1, vcc_lo
	s_delay_alu instid0(VALU_DEP_1) | instskip(NEXT) | instid1(VALU_DEP_1)
	v_mov_b32_dpp v2, v1 row_half_mirror row_mask:0xf bank_mask:0xf
	v_cmp_gt_f32_e32 vcc_lo, v1, v2
	v_cndmask_b32_e32 v1, v2, v1, vcc_lo
.LBB105_20:
	s_cbranch_execnz .LBB105_28
.LBB105_21:
	s_cmp_lt_i32 s3, 4
	s_cbranch_scc1 .LBB105_24
; %bb.22:
	v_mov_b32_e32 v1, v29
	s_cmp_eq_u32 s3, 4
	s_cbranch_scc0 .LBB105_25
; %bb.23:
	s_delay_alu instid0(VALU_DEP_1) | instskip(NEXT) | instid1(VALU_DEP_1)
	v_mov_b32_dpp v1, v29 quad_perm:[1,0,3,2] row_mask:0xf bank_mask:0xf
	v_cmp_gt_f32_e32 vcc_lo, v29, v1
	v_cndmask_b32_e32 v1, v1, v29, vcc_lo
	s_delay_alu instid0(VALU_DEP_1) | instskip(NEXT) | instid1(VALU_DEP_1)
	v_mov_b32_dpp v2, v1 quad_perm:[2,3,0,1] row_mask:0xf bank_mask:0xf
	v_cmp_gt_f32_e32 vcc_lo, v1, v2
	v_cndmask_b32_e32 v1, v2, v1, vcc_lo
	s_cbranch_execz .LBB105_26
	s_branch .LBB105_28
.LBB105_24:
                                        ; implicit-def: $vgpr1
	s_branch .LBB105_26
.LBB105_25:
	s_cbranch_execnz .LBB105_28
.LBB105_26:
	v_mov_b32_e32 v1, v29
	s_cmp_lg_u32 s3, 2
	s_cbranch_scc1 .LBB105_28
; %bb.27:
	s_delay_alu instid0(VALU_DEP_1) | instskip(NEXT) | instid1(VALU_DEP_1)
	v_mov_b32_dpp v1, v29 quad_perm:[1,0,3,2] row_mask:0xf bank_mask:0xf
	v_cmp_gt_f32_e32 vcc_lo, v29, v1
	v_cndmask_b32_e32 v1, v1, v29, vcc_lo
.LBB105_28:
	v_cvt_f32_u32_e32 v2, s3
	s_sub_i32 s11, 0, s3
	s_mov_b32 s15, 0
	s_delay_alu instid0(VALU_DEP_1) | instskip(SKIP_2) | instid1(VALU_DEP_1)
	v_rcp_iflag_f32_e32 v2, v2
	s_waitcnt_depctr 0xfff
	v_mul_f32_e32 v2, 0x4f7ffffe, v2
	v_cvt_u32_f32_e32 v2, v2
	s_delay_alu instid0(VALU_DEP_1) | instskip(NEXT) | instid1(VALU_DEP_1)
	v_mul_lo_u32 v30, s11, v2
	v_mul_hi_u32 v30, v2, v30
	s_delay_alu instid0(VALU_DEP_1) | instskip(NEXT) | instid1(VALU_DEP_1)
	v_add_nc_u32_e32 v2, v2, v30
	v_mul_hi_u32 v2, v0, v2
	s_delay_alu instid0(VALU_DEP_1) | instskip(NEXT) | instid1(VALU_DEP_1)
	v_mul_lo_u32 v30, v2, s3
	v_sub_nc_u32_e32 v30, v0, v30
	s_delay_alu instid0(VALU_DEP_1) | instskip(SKIP_1) | instid1(VALU_DEP_2)
	v_subrev_nc_u32_e32 v32, s3, v30
	v_cmp_le_u32_e32 vcc_lo, s3, v30
	v_dual_cndmask_b32 v30, v30, v32 :: v_dual_add_nc_u32 v31, 1, v2
	s_delay_alu instid0(VALU_DEP_1) | instskip(NEXT) | instid1(VALU_DEP_2)
	v_cndmask_b32_e32 v2, v2, v31, vcc_lo
	v_cmp_le_u32_e32 vcc_lo, s3, v30
	s_delay_alu instid0(VALU_DEP_2) | instskip(SKIP_1) | instid1(VALU_DEP_2)
	v_add_nc_u32_e32 v31, 1, v2
	v_mul_u32_u24_e32 v30, 24, v0
	v_cndmask_b32_e32 v31, v2, v31, vcc_lo
	s_delay_alu instid0(VALU_DEP_2) | instskip(SKIP_1) | instid1(VALU_DEP_3)
	v_cmp_gt_u32_e32 vcc_lo, s5, v30
	v_mul_f32_e32 v30, 0x3c010204, v1
	v_mul_lo_u32 v2, v31, s3
	s_delay_alu instid0(VALU_DEP_1) | instskip(NEXT) | instid1(VALU_DEP_1)
	v_sub_nc_u32_e32 v2, v0, v2
	v_cmp_eq_u32_e64 s3, 0, v2
                                        ; implicit-def: $vgpr1_vgpr2
	s_delay_alu instid0(VALU_DEP_1) | instskip(SKIP_2) | instid1(SALU_CYCLE_1)
	s_and_b32 s11, s3, vcc_lo
	s_mov_b32 s3, 0
	s_and_saveexec_b32 s12, s11
	s_xor_b32 s14, exec_lo, s12
	s_cbranch_execz .LBB105_37
; %bb.29:
	s_bitcmp0_b32 s10, 0
	s_mov_b32 s16, 0
	s_cbranch_scc0 .LBB105_34
; %bb.30:
	s_ashr_i32 s3, s5, 31
	s_mul_hi_u32 s10, s5, s20
	s_mul_i32 s3, s3, s20
	s_mul_i32 s12, s5, s20
	s_add_i32 s13, s10, s3
	s_ashr_i32 s11, s7, 31
	s_mov_b32 s10, s7
	s_delay_alu instid0(SALU_CYCLE_1) | instskip(NEXT) | instid1(SALU_CYCLE_1)
	s_or_b64 s[18:19], s[12:13], s[10:11]
	s_mov_b32 s17, s19
	s_delay_alu instid0(SALU_CYCLE_1)
	s_cmp_lg_u64 s[16:17], 0
	s_cbranch_scc0 .LBB105_45
; %bb.31:
	s_add_u32 s18, s10, s11
	s_mov_b32 s16, s11
	s_mov_b32 s17, s11
	s_addc_u32 s19, s11, s11
	s_delay_alu instid0(SALU_CYCLE_1) | instskip(NEXT) | instid1(SALU_CYCLE_1)
	s_xor_b64 s[18:19], s[18:19], s[16:17]
	v_cvt_f32_u32_e32 v1, s18
	v_cvt_f32_u32_e32 v2, s19
	s_sub_u32 s11, 0, s18
	s_subb_u32 s22, 0, s19
	s_delay_alu instid0(VALU_DEP_1) | instskip(NEXT) | instid1(VALU_DEP_1)
	v_fmamk_f32 v1, v2, 0x4f800000, v1
	v_rcp_f32_e32 v1, v1
	s_waitcnt_depctr 0xfff
	v_mul_f32_e32 v1, 0x5f7ffffc, v1
	s_delay_alu instid0(VALU_DEP_1) | instskip(NEXT) | instid1(VALU_DEP_1)
	v_mul_f32_e32 v2, 0x2f800000, v1
	v_trunc_f32_e32 v2, v2
	s_delay_alu instid0(VALU_DEP_1) | instskip(SKIP_1) | instid1(VALU_DEP_2)
	v_fmamk_f32 v1, v2, 0xcf800000, v1
	v_cvt_u32_f32_e32 v2, v2
	v_cvt_u32_f32_e32 v1, v1
	s_delay_alu instid0(VALU_DEP_2) | instskip(NEXT) | instid1(VALU_DEP_2)
	v_readfirstlane_b32 s3, v2
	v_readfirstlane_b32 s7, v1
	s_delay_alu instid0(VALU_DEP_2) | instskip(NEXT) | instid1(VALU_DEP_1)
	s_mul_i32 s23, s11, s3
	s_mul_hi_u32 s25, s11, s7
	s_mul_i32 s24, s22, s7
	s_add_i32 s23, s25, s23
	s_mul_i32 s26, s11, s7
	s_add_i32 s23, s23, s24
	s_mul_hi_u32 s25, s7, s26
	s_mul_hi_u32 s27, s3, s26
	s_mul_i32 s24, s3, s26
	s_mul_hi_u32 s26, s7, s23
	s_mul_i32 s7, s7, s23
	s_mul_hi_u32 s28, s3, s23
	s_add_u32 s7, s25, s7
	s_addc_u32 s25, 0, s26
	s_add_u32 s7, s7, s24
	s_mul_i32 s23, s3, s23
	s_addc_u32 s7, s25, s27
	s_addc_u32 s24, s28, 0
	s_add_u32 s7, s7, s23
	s_addc_u32 s23, 0, s24
	v_add_co_u32 v1, s7, v1, s7
	s_delay_alu instid0(VALU_DEP_1) | instskip(SKIP_1) | instid1(VALU_DEP_1)
	s_cmp_lg_u32 s7, 0
	s_addc_u32 s3, s3, s23
	v_readfirstlane_b32 s7, v1
	s_mul_i32 s23, s11, s3
	s_delay_alu instid0(VALU_DEP_1)
	s_mul_hi_u32 s24, s11, s7
	s_mul_i32 s22, s22, s7
	s_add_i32 s23, s24, s23
	s_mul_i32 s11, s11, s7
	s_add_i32 s23, s23, s22
	s_mul_hi_u32 s24, s3, s11
	s_mul_i32 s25, s3, s11
	s_mul_hi_u32 s11, s7, s11
	s_mul_hi_u32 s26, s7, s23
	s_mul_i32 s7, s7, s23
	s_mul_hi_u32 s22, s3, s23
	s_add_u32 s7, s11, s7
	s_addc_u32 s11, 0, s26
	s_add_u32 s7, s7, s25
	s_mul_i32 s23, s3, s23
	s_addc_u32 s7, s11, s24
	s_addc_u32 s11, s22, 0
	s_add_u32 s7, s7, s23
	s_addc_u32 s11, 0, s11
	v_add_co_u32 v1, s7, v1, s7
	s_delay_alu instid0(VALU_DEP_1) | instskip(SKIP_2) | instid1(VALU_DEP_1)
	s_cmp_lg_u32 s7, 0
	s_addc_u32 s3, s3, s11
	s_ashr_i32 s22, s13, 31
	v_readfirstlane_b32 s7, v1
	s_add_u32 s24, s12, s22
	s_mov_b32 s23, s22
	s_addc_u32 s25, s13, s22
	s_delay_alu instid0(SALU_CYCLE_1) | instskip(NEXT) | instid1(SALU_CYCLE_1)
	s_xor_b64 s[24:25], s[24:25], s[22:23]
	s_mul_i32 s13, s24, s3
	s_mul_hi_u32 s26, s24, s7
	s_mul_hi_u32 s11, s24, s3
	;; [unrolled: 1-line block ×3, first 2 shown]
	s_mul_i32 s7, s25, s7
	s_add_u32 s13, s26, s13
	s_addc_u32 s11, 0, s11
	s_mul_hi_u32 s27, s25, s3
	s_add_u32 s7, s13, s7
	s_mul_i32 s3, s25, s3
	s_addc_u32 s7, s11, s28
	s_addc_u32 s11, s27, 0
	s_add_u32 s7, s7, s3
	s_addc_u32 s11, 0, s11
	s_mul_i32 s27, s18, s7
	s_mul_hi_u32 s3, s18, s7
	s_mul_i32 s26, s18, s11
	v_sub_co_u32 v1, s24, s24, s27
	s_mul_i32 s13, s19, s7
	s_add_i32 s3, s3, s26
	s_delay_alu instid0(SALU_CYCLE_1) | instskip(NEXT) | instid1(VALU_DEP_1)
	s_add_i32 s3, s3, s13
	v_sub_co_u32 v2, s26, v1, s18
	s_sub_i32 s13, s25, s3
	s_cmp_lg_u32 s24, 0
	s_subb_u32 s13, s13, s19
	s_cmp_lg_u32 s26, 0
	v_cmp_le_u32_e32 vcc_lo, s18, v2
	s_subb_u32 s13, s13, 0
	s_delay_alu instid0(SALU_CYCLE_1)
	s_cmp_ge_u32 s13, s19
	v_cndmask_b32_e64 v2, 0, -1, vcc_lo
	s_cselect_b32 s26, -1, 0
	s_cmp_eq_u32 s13, s19
	s_cselect_b32 vcc_lo, -1, 0
	s_add_u32 s13, s7, 1
	v_cndmask_b32_e32 v2, s26, v2, vcc_lo
	s_addc_u32 s26, s11, 0
	s_add_u32 s27, s7, 2
	s_addc_u32 s28, s11, 0
	s_cmp_lg_u32 s24, 0
	v_cmp_le_u32_e32 vcc_lo, s18, v1
	s_subb_u32 s3, s25, s3
	v_mov_b32_e32 v32, s27
	s_cmp_ge_u32 s3, s19
	v_cndmask_b32_e64 v1, 0, -1, vcc_lo
	s_cselect_b32 s18, -1, 0
	s_cmp_eq_u32 s3, s19
	v_cmp_ne_u32_e32 vcc_lo, 0, v2
	v_mov_b32_e32 v2, s28
	s_cselect_b32 s3, -1, 0
	s_xor_b64 s[16:17], s[22:23], s[16:17]
	v_cndmask_b32_e64 v1, s18, v1, s3
	v_cndmask_b32_e32 v32, s13, v32, vcc_lo
	v_cndmask_b32_e32 v2, s26, v2, vcc_lo
	s_delay_alu instid0(VALU_DEP_3) | instskip(NEXT) | instid1(VALU_DEP_2)
	v_cmp_ne_u32_e32 vcc_lo, 0, v1
	v_cndmask_b32_e32 v1, s11, v2, vcc_lo
	s_delay_alu instid0(VALU_DEP_4) | instskip(NEXT) | instid1(VALU_DEP_2)
	v_cndmask_b32_e32 v2, s7, v32, vcc_lo
	v_xor_b32_e32 v32, s17, v1
	s_delay_alu instid0(VALU_DEP_2) | instskip(NEXT) | instid1(VALU_DEP_1)
	v_xor_b32_e32 v2, s16, v2
	v_sub_co_u32 v1, vcc_lo, v2, s16
	s_delay_alu instid0(VALU_DEP_3)
	v_subrev_co_ci_u32_e32 v2, vcc_lo, s17, v32, vcc_lo
	s_cbranch_execnz .LBB105_33
.LBB105_32:
	v_cvt_f32_u32_e32 v1, s10
	s_sub_i32 s7, 0, s10
	s_delay_alu instid0(VALU_DEP_1) | instskip(SKIP_2) | instid1(VALU_DEP_1)
	v_rcp_iflag_f32_e32 v1, v1
	s_waitcnt_depctr 0xfff
	v_mul_f32_e32 v1, 0x4f7ffffe, v1
	v_cvt_u32_f32_e32 v1, v1
	s_delay_alu instid0(VALU_DEP_1) | instskip(NEXT) | instid1(VALU_DEP_1)
	v_readfirstlane_b32 s3, v1
	s_mul_i32 s7, s7, s3
	s_delay_alu instid0(SALU_CYCLE_1) | instskip(NEXT) | instid1(SALU_CYCLE_1)
	s_mul_hi_u32 s7, s3, s7
	s_add_i32 s3, s3, s7
	s_delay_alu instid0(SALU_CYCLE_1) | instskip(NEXT) | instid1(SALU_CYCLE_1)
	s_mul_hi_u32 s3, s12, s3
	s_mul_i32 s7, s3, s10
	s_add_i32 s11, s3, 1
	s_sub_i32 s7, s12, s7
	s_delay_alu instid0(SALU_CYCLE_1)
	s_sub_i32 s12, s7, s10
	s_cmp_ge_u32 s7, s10
	s_cselect_b32 s3, s11, s3
	s_cselect_b32 s7, s12, s7
	s_add_i32 s12, s3, 1
	s_cmp_ge_u32 s7, s10
	s_mov_b32 s11, 0
	s_cselect_b32 s10, s12, s3
	s_delay_alu instid0(SALU_CYCLE_1)
	v_dual_mov_b32 v1, s10 :: v_dual_mov_b32 v2, s11
.LBB105_33:
	s_delay_alu instid0(VALU_DEP_1) | instskip(NEXT) | instid1(VALU_DEP_2)
	v_add_co_u32 v1, vcc_lo, v1, v31
	v_add_co_ci_u32_e32 v2, vcc_lo, 0, v2, vcc_lo
	s_branch .LBB105_36
.LBB105_34:
                                        ; implicit-def: $vgpr1_vgpr2
	s_cbranch_execz .LBB105_36
; %bb.35:
	v_mul_lo_u32 v1, v31, s4
	s_delay_alu instid0(VALU_DEP_1) | instskip(SKIP_1) | instid1(VALU_DEP_2)
	v_ashrrev_i32_e32 v2, 31, v1
	v_add_co_u32 v1, vcc_lo, v1, s20
	v_add_co_ci_u32_e32 v2, vcc_lo, 0, v2, vcc_lo
.LBB105_36:
	s_mov_b32 s3, exec_lo
.LBB105_37:
	s_or_b32 exec_lo, exec_lo, s14
	s_delay_alu instid0(SALU_CYCLE_1)
	s_and_b32 vcc_lo, exec_lo, s15
	s_cbranch_vccz .LBB105_41
.LBB105_38:
	v_mov_b32_dpp v1, v29 quad_perm:[1,0,3,2] row_mask:0xf bank_mask:0xf
	s_delay_alu instid0(VALU_DEP_1) | instskip(SKIP_1) | instid1(VALU_DEP_1)
	v_cmp_gt_f32_e32 vcc_lo, v29, v1
	v_cndmask_b32_e32 v1, v1, v29, vcc_lo
	v_mov_b32_dpp v2, v1 quad_perm:[2,3,0,1] row_mask:0xf bank_mask:0xf
	s_delay_alu instid0(VALU_DEP_1) | instskip(SKIP_1) | instid1(VALU_DEP_1)
	v_cmp_gt_f32_e32 vcc_lo, v1, v2
	v_cndmask_b32_e32 v1, v2, v1, vcc_lo
	v_mov_b32_dpp v2, v1 row_xmask:7 row_mask:0xf bank_mask:0xf
	s_delay_alu instid0(VALU_DEP_1) | instskip(SKIP_1) | instid1(VALU_DEP_1)
	v_cmp_gt_f32_e32 vcc_lo, v1, v2
	v_cndmask_b32_e32 v1, v2, v1, vcc_lo
	v_mov_b32_dpp v2, v1 row_xmask:15 row_mask:0xf bank_mask:0xf
	s_delay_alu instid0(VALU_DEP_1)
	v_cmp_gt_f32_e32 vcc_lo, v1, v2
	s_and_saveexec_b32 s3, s2
	s_cbranch_execz .LBB105_40
; %bb.39:
	v_cndmask_b32_e32 v1, v2, v1, vcc_lo
	v_lshrrev_b32_e32 v2, 3, v0
	s_mov_b32 s2, 0x76543210
	s_delay_alu instid0(VALU_DEP_1) | instskip(NEXT) | instid1(VALU_DEP_3)
	v_and_b32_e32 v2, 0x7c, v2
	v_permlanex16_b32 v29, v1, s2, 0xfedcba98 op_sel:[1,1]
	s_delay_alu instid0(VALU_DEP_1)
	v_cmp_gt_f32_e32 vcc_lo, v1, v29
	v_cndmask_b32_e32 v1, v29, v1, vcc_lo
	ds_store_b32 v2, v1
.LBB105_40:
	s_or_b32 exec_lo, exec_lo, s3
	s_waitcnt lgkmcnt(0)
	s_barrier
	buffer_gl0_inv
	ds_load_b32 v1, v14
	v_cmp_eq_u32_e64 s3, 0, v0
	s_waitcnt lgkmcnt(0)
	v_mov_b32_dpp v2, v1 quad_perm:[1,0,3,2] row_mask:0xf bank_mask:0xf
	s_delay_alu instid0(VALU_DEP_1) | instskip(SKIP_1) | instid1(VALU_DEP_1)
	v_cmp_gt_f32_e32 vcc_lo, v1, v2
	v_cndmask_b32_e32 v1, v2, v1, vcc_lo
	v_mov_b32_dpp v2, v1 quad_perm:[2,3,0,1] row_mask:0xf bank_mask:0xf
	s_delay_alu instid0(VALU_DEP_1) | instskip(SKIP_1) | instid1(VALU_DEP_1)
	v_cmp_gt_f32_e32 vcc_lo, v1, v2
	v_cndmask_b32_e32 v1, v2, v1, vcc_lo
	v_mov_b32_dpp v2, v1 row_xmask:7 row_mask:0xf bank_mask:0xf
	s_delay_alu instid0(VALU_DEP_1) | instskip(SKIP_1) | instid1(VALU_DEP_1)
	v_cmp_gt_f32_e32 vcc_lo, v1, v2
	v_cndmask_b32_e32 v1, v2, v1, vcc_lo
	v_dual_mul_f32 v30, 0x3c010204, v1 :: v_dual_mov_b32 v1, s20
	v_mov_b32_e32 v2, s21
.LBB105_41:
	s_and_saveexec_b32 s2, s3
	s_cbranch_execz .LBB105_43
; %bb.42:
	s_delay_alu instid0(VALU_DEP_1) | instskip(NEXT) | instid1(VALU_DEP_1)
	v_lshlrev_b64 v[0:1], 2, v[1:2]
	v_add_co_u32 v0, vcc_lo, s8, v0
	s_delay_alu instid0(VALU_DEP_2)
	v_add_co_ci_u32_e32 v1, vcc_lo, s9, v1, vcc_lo
	global_store_b32 v[0:1], v30, off
.LBB105_43:
	s_or_b32 exec_lo, exec_lo, s2
	;;#ASMSTART
	v_rcp_f32 v2, v30
	;;#ASMEND
	v_mul_f32_e32 v17, v17, v2
	v_mul_f32_e32 v21, v21, v2
	;; [unrolled: 1-line block ×3, first 2 shown]
	s_load_b64 s[0:1], s[0:1], 0x0
	s_add_i32 s2, s5, 3
	v_cvt_i32_f32_e32 v17, v17
	v_mul_f32_e32 v22, v22, v2
	v_cvt_i32_f32_e32 v21, v21
	v_mul_f32_e32 v14, v25, v2
	v_cvt_i32_f32_e32 v23, v23
	v_and_b32_e32 v17, 0xff, v17
	v_cvt_i32_f32_e32 v22, v22
	v_dual_mul_f32 v0, v28, v2 :: v_dual_and_b32 v21, 0xff, v21
	s_delay_alu instid0(VALU_DEP_4) | instskip(SKIP_1) | instid1(VALU_DEP_4)
	v_and_b32_e32 v23, 0xff, v23
	v_cvt_i32_f32_e32 v14, v14
	v_lshlrev_b16 v22, 8, v22
	s_ashr_i32 s3, s2, 31
	v_cvt_i32_f32_e32 v0, v0
	v_mul_f32_e32 v1, v27, v2
	v_and_b32_e32 v14, 0xff, v14
	v_or_b32_e32 v21, v21, v22
	v_mul_f32_e32 v24, v24, v2
	v_and_b32_e32 v0, 0xff, v0
	v_cvt_i32_f32_e32 v1, v1
	s_lshr_b32 s3, s3, 30
	v_lshlrev_b32_e32 v21, 16, v21
	v_cvt_i32_f32_e32 v24, v24
	s_add_i32 s2, s2, s3
	v_lshlrev_b16 v1, 8, v1
	s_ashr_i32 s3, s6, 31
	v_mul_f32_e32 v15, v15, v2
	v_lshlrev_b16 v24, 8, v24
	v_mul_f32_e32 v6, v6, v2
	v_or_b32_e32 v0, v0, v1
	v_mul_f32_e32 v5, v5, v2
	s_mul_hi_u32 s4, s6, s20
	v_or_b32_e32 v23, v23, v24
	s_delay_alu instid0(VALU_DEP_3) | instskip(SKIP_3) | instid1(VALU_DEP_1)
	v_dual_mul_f32 v25, v26, v2 :: v_dual_and_b32 v0, 0xffff, v0
	s_mul_i32 s3, s3, s20
	s_mul_i32 s5, s6, s20
	s_and_b32 s2, s2, -4
	v_cvt_i32_f32_e32 v25, v25
	s_add_i32 s4, s4, s3
	s_waitcnt lgkmcnt(0)
	s_add_u32 s0, s0, s5
	v_cvt_i32_f32_e32 v15, v15
	v_cvt_i32_f32_e32 v6, v6
	v_lshlrev_b16 v25, 8, v25
	v_cvt_i32_f32_e32 v5, v5
	s_addc_u32 s1, s1, s4
	s_mov_b32 s3, -1
	s_and_b32 s1, s1, 0xffff
	v_or_b32_e32 v1, v14, v25
	v_and_b32_e32 v14, 0xffff, v23
	v_and_b32_e32 v15, 0xff, v15
	v_mul_f32_e32 v9, v9, v2
	s_delay_alu instid0(VALU_DEP_4) | instskip(NEXT) | instid1(VALU_DEP_4)
	v_dual_mul_f32 v7, v7, v2 :: v_dual_lshlrev_b32 v22, 16, v1
	v_or_b32_e32 v1, v14, v21
	v_mul_f32_e32 v14, v20, v2
	v_lshlrev_b16 v6, 8, v6
	v_mul_f32_e32 v12, v12, v2
	v_or_b32_e32 v0, v0, v22
	v_and_b32_e32 v5, 0xff, v5
	v_mul_f32_e32 v11, v11, v2
	v_cvt_i32_f32_e32 v9, v9
	v_mul_f32_e32 v16, v16, v2
	buffer_store_b64 v[0:1], v13, s[0:3], 0 offen
	v_cvt_i32_f32_e32 v1, v14
	v_mul_f32_e32 v14, v18, v2
	v_mul_f32_e32 v0, v19, v2
	;; [unrolled: 1-line block ×4, first 2 shown]
	v_or_b32_e32 v5, v5, v6
	v_mul_f32_e32 v10, v10, v2
	v_mul_f32_e32 v2, v3, v2
	v_cvt_i32_f32_e32 v3, v7
	v_cvt_i32_f32_e32 v14, v14
	v_and_b32_e32 v5, 0xffff, v5
	v_and_b32_e32 v1, 0xff, v1
	v_cvt_i32_f32_e32 v0, v0
	v_and_b32_e32 v3, 0xff, v3
	v_cvt_i32_f32_e32 v12, v12
	;; [unrolled: 2-line block ×3, first 2 shown]
	v_cvt_i32_f32_e32 v10, v10
	v_cvt_i32_f32_e32 v4, v4
	v_and_b32_e32 v12, 0xff, v12
	v_cvt_i32_f32_e32 v11, v11
	v_cvt_i32_f32_e32 v2, v2
	;; [unrolled: 1-line block ×3, first 2 shown]
	v_lshlrev_b16 v14, 8, v14
	v_lshlrev_b16 v16, 8, v16
	;; [unrolled: 1-line block ×5, first 2 shown]
	v_and_b32_e32 v2, 0xff, v2
	v_lshlrev_b16 v8, 8, v10
	v_lshlrev_b16 v7, 8, v7
	v_or_b32_e32 v14, v17, v14
	v_or_b32_e32 v15, v15, v16
	;; [unrolled: 1-line block ×7, first 2 shown]
	v_and_b32_e32 v1, 0xffff, v14
	v_lshlrev_b32_e32 v14, 16, v15
	v_and_b32_e32 v0, 0xffff, v0
	v_lshlrev_b32_e32 v6, 16, v10
	v_lshlrev_b32_e32 v2, 16, v2
	v_and_b32_e32 v4, 0xffff, v4
	v_lshlrev_b32_e32 v7, 16, v3
	v_or_b32_e32 v1, v1, v14
	v_or_b32_e32 v0, v0, v6
	;; [unrolled: 1-line block ×3, first 2 shown]
	s_movk_i32 s4, 0x100
	v_or_b32_e32 v2, v4, v7
	;;#ASMSTART
	s_nop 0
	;;#ASMEND
	buffer_store_b64 v[0:1], v13, s[0:3], s4 offen
	s_movk_i32 s4, 0x200
	;;#ASMSTART
	s_nop 0
	;;#ASMEND
	buffer_store_b64 v[2:3], v13, s[0:3], s4 offen
	;;#ASMSTART
	s_nop 0
	;;#ASMEND
.LBB105_44:
	s_nop 0
	s_sendmsg sendmsg(MSG_DEALLOC_VGPRS)
	s_endpgm
.LBB105_45:
                                        ; implicit-def: $vgpr1_vgpr2
	s_branch .LBB105_32
	.section	.rodata,"a",@progbits
	.p2align	6, 0x0
	.amdhsa_kernel _ZN5aiter24add_rmsnorm_quant_kernelIDF16_aLi256ELi24ELb0ELb1ELb1ELi1EEEvPT0_PT_PfS4_S4_S4_diiiiiiib
		.amdhsa_group_segment_fixed_size 64
		.amdhsa_private_segment_fixed_size 0
		.amdhsa_kernarg_size 88
		.amdhsa_user_sgpr_count 15
		.amdhsa_user_sgpr_dispatch_ptr 0
		.amdhsa_user_sgpr_queue_ptr 0
		.amdhsa_user_sgpr_kernarg_segment_ptr 1
		.amdhsa_user_sgpr_dispatch_id 0
		.amdhsa_user_sgpr_private_segment_size 0
		.amdhsa_wavefront_size32 1
		.amdhsa_uses_dynamic_stack 0
		.amdhsa_enable_private_segment 0
		.amdhsa_system_sgpr_workgroup_id_x 1
		.amdhsa_system_sgpr_workgroup_id_y 0
		.amdhsa_system_sgpr_workgroup_id_z 0
		.amdhsa_system_sgpr_workgroup_info 0
		.amdhsa_system_vgpr_workitem_id 0
		.amdhsa_next_free_vgpr 60
		.amdhsa_next_free_sgpr 29
		.amdhsa_reserve_vcc 1
		.amdhsa_float_round_mode_32 0
		.amdhsa_float_round_mode_16_64 0
		.amdhsa_float_denorm_mode_32 3
		.amdhsa_float_denorm_mode_16_64 3
		.amdhsa_dx10_clamp 1
		.amdhsa_ieee_mode 1
		.amdhsa_fp16_overflow 0
		.amdhsa_workgroup_processor_mode 1
		.amdhsa_memory_ordered 1
		.amdhsa_forward_progress 0
		.amdhsa_shared_vgpr_count 0
		.amdhsa_exception_fp_ieee_invalid_op 0
		.amdhsa_exception_fp_denorm_src 0
		.amdhsa_exception_fp_ieee_div_zero 0
		.amdhsa_exception_fp_ieee_overflow 0
		.amdhsa_exception_fp_ieee_underflow 0
		.amdhsa_exception_fp_ieee_inexact 0
		.amdhsa_exception_int_div_zero 0
	.end_amdhsa_kernel
	.section	.text._ZN5aiter24add_rmsnorm_quant_kernelIDF16_aLi256ELi24ELb0ELb1ELb1ELi1EEEvPT0_PT_PfS4_S4_S4_diiiiiiib,"axG",@progbits,_ZN5aiter24add_rmsnorm_quant_kernelIDF16_aLi256ELi24ELb0ELb1ELb1ELi1EEEvPT0_PT_PfS4_S4_S4_diiiiiiib,comdat
.Lfunc_end105:
	.size	_ZN5aiter24add_rmsnorm_quant_kernelIDF16_aLi256ELi24ELb0ELb1ELb1ELi1EEEvPT0_PT_PfS4_S4_S4_diiiiiiib, .Lfunc_end105-_ZN5aiter24add_rmsnorm_quant_kernelIDF16_aLi256ELi24ELb0ELb1ELb1ELi1EEEvPT0_PT_PfS4_S4_S4_diiiiiiib
                                        ; -- End function
	.section	.AMDGPU.csdata,"",@progbits
; Kernel info:
; codeLenInByte = 4516
; NumSgprs: 31
; NumVgprs: 60
; ScratchSize: 0
; MemoryBound: 0
; FloatMode: 240
; IeeeMode: 1
; LDSByteSize: 64 bytes/workgroup (compile time only)
; SGPRBlocks: 3
; VGPRBlocks: 7
; NumSGPRsForWavesPerEU: 31
; NumVGPRsForWavesPerEU: 60
; Occupancy: 16
; WaveLimiterHint : 0
; COMPUTE_PGM_RSRC2:SCRATCH_EN: 0
; COMPUTE_PGM_RSRC2:USER_SGPR: 15
; COMPUTE_PGM_RSRC2:TRAP_HANDLER: 0
; COMPUTE_PGM_RSRC2:TGID_X_EN: 1
; COMPUTE_PGM_RSRC2:TGID_Y_EN: 0
; COMPUTE_PGM_RSRC2:TGID_Z_EN: 0
; COMPUTE_PGM_RSRC2:TIDIG_COMP_CNT: 0
	.section	.text._ZN5aiter24add_rmsnorm_quant_kernelItaLi256ELi24ELb0ELb1ELb1ELi1EEEvPT0_PT_PfS4_S4_S4_diiiiiiib,"axG",@progbits,_ZN5aiter24add_rmsnorm_quant_kernelItaLi256ELi24ELb0ELb1ELb1ELi1EEEvPT0_PT_PfS4_S4_S4_diiiiiiib,comdat
	.protected	_ZN5aiter24add_rmsnorm_quant_kernelItaLi256ELi24ELb0ELb1ELb1ELi1EEEvPT0_PT_PfS4_S4_S4_diiiiiiib ; -- Begin function _ZN5aiter24add_rmsnorm_quant_kernelItaLi256ELi24ELb0ELb1ELb1ELi1EEEvPT0_PT_PfS4_S4_S4_diiiiiiib
	.globl	_ZN5aiter24add_rmsnorm_quant_kernelItaLi256ELi24ELb0ELb1ELb1ELi1EEEvPT0_PT_PfS4_S4_S4_diiiiiiib
	.p2align	8
	.type	_ZN5aiter24add_rmsnorm_quant_kernelItaLi256ELi24ELb0ELb1ELb1ELi1EEEvPT0_PT_PfS4_S4_S4_diiiiiiib,@function
_ZN5aiter24add_rmsnorm_quant_kernelItaLi256ELi24ELb0ELb1ELb1ELi1EEEvPT0_PT_PfS4_S4_S4_diiiiiiib: ; @_ZN5aiter24add_rmsnorm_quant_kernelItaLi256ELi24ELb0ELb1ELb1ELi1EEEvPT0_PT_PfS4_S4_S4_diiiiiiib
; %bb.0:
	s_load_b128 s[4:7], s[0:1], 0x38
	s_mov_b32 s20, s15
	s_mov_b32 s21, 0
	s_waitcnt lgkmcnt(0)
	s_ashr_i32 s3, s4, 31
	s_mov_b32 s2, s4
	s_delay_alu instid0(SALU_CYCLE_1) | instskip(NEXT) | instid1(VALU_DEP_1)
	v_cmp_ge_i64_e64 s2, s[20:21], s[2:3]
	s_and_b32 vcc_lo, exec_lo, s2
	s_cbranch_vccnz .LBB106_44
; %bb.1:
	s_clause 0x1
	s_load_b128 s[8:11], s[0:1], 0x10
	s_load_b128 s[16:19], s[0:1], 0x28
	v_and_b32_e32 v1, 0x3e0, v0
	s_ashr_i32 s2, s6, 31
	s_mul_hi_u32 s3, s6, s20
	s_mul_i32 s7, s2, s20
	v_lshlrev_b32_e32 v2, 3, v0
	v_mul_u32_u24_e32 v1, 24, v1
	s_mul_i32 s2, s6, s20
	s_add_i32 s3, s3, s7
	s_mov_b32 s15, -1
	s_lshl_b64 s[2:3], s[2:3], 1
	v_and_or_b32 v13, 0xf8, v2, v1
	s_mov_b32 s27, s15
	v_and_b32_e32 v40, 31, v0
	s_delay_alu instid0(VALU_DEP_2)
	v_lshlrev_b32_e32 v1, 1, v13
	s_waitcnt lgkmcnt(0)
	s_add_u32 s12, s10, s2
	s_addc_u32 s2, s11, s3
	s_add_i32 s3, s5, 1
	s_and_b32 s13, s2, 0xffff
	s_lshr_b32 s6, s3, 31
	s_movk_i32 s2, 0x200
	s_add_i32 s3, s3, s6
	s_mov_b32 s24, s16
	s_lshl_b32 s3, s3, 1
	s_and_b32 s25, s17, 0xffff
	s_and_b32 s14, s3, -4
	s_movk_i32 s3, 0x400
	s_clause 0x2
	buffer_load_b128 v[18:21], v1, s[12:15], 0 offen glc slc
	buffer_load_b128 v[26:29], v1, s[12:15], s2 offen glc slc
	;; [unrolled: 1-line block ×3, first 2 shown]
	s_mov_b32 s26, s14
	s_waitcnt vmcnt(2)
	v_lshrrev_b32_e32 v14, 16, v18
	v_lshrrev_b32_e32 v22, 16, v21
	s_waitcnt vmcnt(1)
	v_lshrrev_b32_e32 v24, 16, v26
	v_lshrrev_b32_e32 v30, 16, v29
	s_waitcnt vmcnt(0)
	v_lshrrev_b32_e32 v32, 16, v34
	v_cvt_f32_u32_e32 v15, v14
	v_cvt_f32_u32_e32 v22, v22
	;; [unrolled: 1-line block ×5, first 2 shown]
	v_mul_f32_e32 v39, v15, v15
	v_and_b32_e32 v14, 0xffff, v19
	v_lshrrev_b32_e32 v38, 16, v37
	s_delay_alu instid0(VALU_DEP_2) | instskip(SKIP_2) | instid1(VALU_DEP_4)
	v_cvt_f32_u32_e32 v17, v14
	v_and_b32_e32 v16, 0xffff, v18
	v_lshrrev_b32_e32 v18, 16, v19
	v_cvt_f32_u32_e32 v38, v38
	s_delay_alu instid0(VALU_DEP_3) | instskip(NEXT) | instid1(VALU_DEP_3)
	v_cvt_f32_u32_e32 v16, v16
	v_cvt_f32_u32_e32 v18, v18
	s_delay_alu instid0(VALU_DEP_2) | instskip(NEXT) | instid1(VALU_DEP_1)
	v_fmac_f32_e32 v39, v16, v16
	v_dual_fmac_f32 v39, v17, v17 :: v_dual_and_b32 v14, 0xffff, v20
	v_lshrrev_b32_e32 v20, 16, v20
	s_delay_alu instid0(VALU_DEP_2) | instskip(NEXT) | instid1(VALU_DEP_3)
	v_fmac_f32_e32 v39, v18, v18
	v_cvt_f32_u32_e32 v19, v14
	v_and_b32_e32 v14, 0xffff, v21
	s_delay_alu instid0(VALU_DEP_4) | instskip(NEXT) | instid1(VALU_DEP_3)
	v_cvt_f32_u32_e32 v20, v20
	v_fmac_f32_e32 v39, v19, v19
	s_delay_alu instid0(VALU_DEP_3) | instskip(SKIP_2) | instid1(VALU_DEP_4)
	v_cvt_f32_u32_e32 v21, v14
	v_and_b32_e32 v14, 0xffff, v26
	v_lshrrev_b32_e32 v26, 16, v27
	v_fmac_f32_e32 v39, v20, v20
	s_delay_alu instid0(VALU_DEP_3) | instskip(SKIP_1) | instid1(VALU_DEP_4)
	v_cvt_f32_u32_e32 v23, v14
	v_and_b32_e32 v14, 0xffff, v27
	v_cvt_f32_u32_e32 v26, v26
	s_delay_alu instid0(VALU_DEP_4) | instskip(NEXT) | instid1(VALU_DEP_3)
	v_fmac_f32_e32 v39, v21, v21
	v_cvt_f32_u32_e32 v25, v14
	s_delay_alu instid0(VALU_DEP_2) | instskip(SKIP_1) | instid1(VALU_DEP_2)
	v_dual_fmac_f32 v39, v22, v22 :: v_dual_and_b32 v14, 0xffff, v28
	v_lshrrev_b32_e32 v28, 16, v28
	v_cvt_f32_u32_e32 v27, v14
	s_delay_alu instid0(VALU_DEP_3) | instskip(NEXT) | instid1(VALU_DEP_3)
	v_dual_fmac_f32 v39, v23, v23 :: v_dual_and_b32 v14, 0xffff, v29
	v_cvt_f32_u32_e32 v28, v28
	s_delay_alu instid0(VALU_DEP_2) | instskip(NEXT) | instid1(VALU_DEP_3)
	v_fmac_f32_e32 v39, v24, v24
	v_cvt_f32_u32_e32 v29, v14
	v_and_b32_e32 v14, 0xffff, v34
	v_lshrrev_b32_e32 v34, 16, v35
	s_delay_alu instid0(VALU_DEP_4) | instskip(NEXT) | instid1(VALU_DEP_3)
	v_fmac_f32_e32 v39, v25, v25
	v_cvt_f32_u32_e32 v31, v14
	v_and_b32_e32 v14, 0xffff, v35
	s_delay_alu instid0(VALU_DEP_4) | instskip(NEXT) | instid1(VALU_DEP_4)
	v_cvt_f32_u32_e32 v34, v34
	v_fmac_f32_e32 v39, v26, v26
	s_delay_alu instid0(VALU_DEP_3) | instskip(NEXT) | instid1(VALU_DEP_2)
	v_cvt_f32_u32_e32 v33, v14
	v_dual_fmac_f32 v39, v27, v27 :: v_dual_and_b32 v14, 0xffff, v36
	v_lshrrev_b32_e32 v36, 16, v36
	s_delay_alu instid0(VALU_DEP_2) | instskip(NEXT) | instid1(VALU_DEP_3)
	v_cvt_f32_u32_e32 v35, v14
	v_dual_fmac_f32 v39, v28, v28 :: v_dual_and_b32 v14, 0xffff, v37
	s_delay_alu instid0(VALU_DEP_3) | instskip(NEXT) | instid1(VALU_DEP_2)
	v_cvt_f32_u32_e32 v36, v36
	v_cvt_f32_u32_e32 v37, v14
	s_delay_alu instid0(VALU_DEP_3) | instskip(NEXT) | instid1(VALU_DEP_1)
	v_fmac_f32_e32 v39, v29, v29
	v_fmac_f32_e32 v39, v30, v30
	s_delay_alu instid0(VALU_DEP_1) | instskip(NEXT) | instid1(VALU_DEP_1)
	v_fmac_f32_e32 v39, v31, v31
	v_fmac_f32_e32 v39, v32, v32
	s_delay_alu instid0(VALU_DEP_1) | instskip(NEXT) | instid1(VALU_DEP_1)
	;; [unrolled: 3-line block ×5, first 2 shown]
	v_mov_b32_dpp v14, v39 quad_perm:[1,0,3,2] row_mask:0xf bank_mask:0xf
	v_add_f32_e32 v14, v39, v14
	s_delay_alu instid0(VALU_DEP_1) | instskip(NEXT) | instid1(VALU_DEP_1)
	v_mov_b32_dpp v39, v14 quad_perm:[2,3,0,1] row_mask:0xf bank_mask:0xf
	v_add_f32_e32 v14, v14, v39
	s_clause 0x2
	buffer_load_b128 v[9:12], v1, s[24:27], 0 offen
	buffer_load_b128 v[5:8], v1, s[24:27], s2 offen
	buffer_load_b128 v[1:4], v1, s[24:27], s3 offen
	v_cmp_eq_u32_e64 s2, 31, v40
	v_mov_b32_dpp v39, v14 row_xmask:7 row_mask:0xf bank_mask:0xf
	s_delay_alu instid0(VALU_DEP_1) | instskip(NEXT) | instid1(VALU_DEP_1)
	v_add_f32_e32 v14, v14, v39
	v_mov_b32_dpp v39, v14 row_xmask:15 row_mask:0xf bank_mask:0xf
	s_delay_alu instid0(VALU_DEP_4)
	s_and_saveexec_b32 s3, s2
	s_cbranch_execz .LBB106_3
; %bb.2:
	s_delay_alu instid0(VALU_DEP_1) | instskip(SKIP_2) | instid1(VALU_DEP_2)
	v_add_f32_e32 v14, v14, v39
	s_mov_b32 s6, 0x76543210
	v_lshrrev_b32_e32 v39, 3, v0
	v_permlanex16_b32 v40, v14, s6, 0xfedcba98 op_sel:[1,1]
	s_delay_alu instid0(VALU_DEP_1)
	v_dual_add_f32 v14, v14, v40 :: v_dual_and_b32 v39, 0x7c, v39
	ds_store_b32 v39, v14 offset:32
.LBB106_3:
	s_or_b32 exec_lo, exec_lo, s3
	v_and_b32_e32 v14, 7, v0
	s_waitcnt vmcnt(0) lgkmcnt(0)
	s_barrier
	buffer_gl0_inv
	v_cvt_f32_i32_e32 v41, s5
	v_lshlrev_b32_e32 v14, 2, v14
	ds_load_b32 v39, v14 offset:32
	s_clause 0x1
	s_load_b64 s[6:7], s[0:1], 0x4c
	s_load_b32 s10, s[0:1], 0x54
	s_waitcnt lgkmcnt(0)
	s_cmp_lg_u32 s7, 0
	v_mov_b32_dpp v40, v39 quad_perm:[1,0,3,2] row_mask:0xf bank_mask:0xf
	s_delay_alu instid0(VALU_DEP_1) | instskip(NEXT) | instid1(VALU_DEP_1)
	v_add_f32_e32 v39, v39, v40
	v_mov_b32_dpp v40, v39 quad_perm:[2,3,0,1] row_mask:0xf bank_mask:0xf
	s_delay_alu instid0(VALU_DEP_1) | instskip(NEXT) | instid1(VALU_DEP_1)
	v_add_f32_e32 v39, v39, v40
	v_mov_b32_dpp v40, v39 row_xmask:7 row_mask:0xf bank_mask:0xf
	s_delay_alu instid0(VALU_DEP_1) | instskip(NEXT) | instid1(VALU_DEP_1)
	v_add_f32_e32 v39, v39, v40
	v_div_scale_f32 v40, null, v41, v41, v39
	v_div_scale_f32 v44, vcc_lo, v39, v41, v39
	s_delay_alu instid0(VALU_DEP_2) | instskip(SKIP_2) | instid1(VALU_DEP_1)
	v_rcp_f32_e32 v42, v40
	s_waitcnt_depctr 0xfff
	v_fma_f32 v43, -v40, v42, 1.0
	v_fmac_f32_e32 v42, v43, v42
	s_delay_alu instid0(VALU_DEP_1) | instskip(NEXT) | instid1(VALU_DEP_1)
	v_mul_f32_e32 v43, v44, v42
	v_fma_f32 v45, -v40, v43, v44
	s_delay_alu instid0(VALU_DEP_1) | instskip(NEXT) | instid1(VALU_DEP_1)
	v_fmac_f32_e32 v43, v45, v42
	v_fma_f32 v40, -v40, v43, v44
	v_and_b32_e32 v44, 0xffff, v5
	v_lshrrev_b32_e32 v5, 16, v5
	s_delay_alu instid0(VALU_DEP_3)
	v_div_fmas_f32 v40, v40, v42, v43
	v_and_b32_e32 v42, 0xffff, v11
	v_and_b32_e32 v43, 0xffff, v12
	v_lshrrev_b32_e32 v12, 16, v12
	v_lshrrev_b32_e32 v11, 16, v11
	v_div_fixup_f32 v39, v40, v41, v39
	v_cvt_f32_u32_e32 v42, v42
	v_cvt_f32_u32_e32 v5, v5
	;; [unrolled: 1-line block ×4, first 2 shown]
	v_cvt_f64_f32_e32 v[39:40], v39
	v_cvt_f32_u32_e32 v43, v43
	v_cvt_f32_u32_e32 v44, v44
	s_delay_alu instid0(VALU_DEP_3) | instskip(NEXT) | instid1(VALU_DEP_1)
	v_add_f64 v[39:40], v[39:40], s[18:19]
	v_cvt_f32_f64_e32 v39, v[39:40]
	v_and_b32_e32 v40, 0xffff, v9
	v_lshrrev_b32_e32 v9, 16, v9
	s_delay_alu instid0(VALU_DEP_2) | instskip(NEXT) | instid1(VALU_DEP_2)
	v_cvt_f32_u32_e32 v40, v40
	v_cvt_f32_u32_e32 v9, v9
	v_mul_f32_e32 v53, 0x4b800000, v39
	v_cmp_gt_f32_e32 vcc_lo, 0x800000, v39
	v_and_b32_e32 v46, 0xffff, v7
	v_lshrrev_b32_e32 v7, 16, v7
	s_delay_alu instid0(VALU_DEP_4) | instskip(NEXT) | instid1(VALU_DEP_3)
	v_cndmask_b32_e32 v39, v39, v53, vcc_lo
	v_cvt_f32_u32_e32 v46, v46
	s_delay_alu instid0(VALU_DEP_3) | instskip(NEXT) | instid1(VALU_DEP_3)
	v_cvt_f32_u32_e32 v7, v7
	v_rsq_f32_e32 v39, v39
	s_waitcnt_depctr 0xfff
	v_mul_f32_e32 v53, 0x45800000, v39
	v_and_b32_e32 v50, 0xffff, v3
	v_lshrrev_b32_e32 v3, 16, v3
	s_delay_alu instid0(VALU_DEP_3) | instskip(SKIP_3) | instid1(VALU_DEP_4)
	v_cndmask_b32_e32 v39, v39, v53, vcc_lo
	v_and_b32_e32 v41, 0xffff, v10
	v_lshrrev_b32_e32 v10, 16, v10
	v_and_b32_e32 v47, 0xffff, v8
	v_dual_mul_f32 v22, v39, v22 :: v_dual_and_b32 v51, 0xffff, v4
	v_lshrrev_b32_e32 v4, 16, v4
	s_delay_alu instid0(VALU_DEP_4)
	v_cvt_f32_u32_e32 v10, v10
	v_mul_f32_e32 v18, v39, v18
	v_mul_f32_e32 v58, v39, v28
	v_dual_mul_f32 v15, v39, v15 :: v_dual_and_b32 v48, 0xffff, v1
	v_lshrrev_b32_e32 v1, 16, v1
	v_dual_mul_f32 v16, v39, v16 :: v_dual_and_b32 v45, 0xffff, v6
	v_mul_f32_e32 v20, v39, v20
	v_lshrrev_b32_e32 v6, 16, v6
	v_lshrrev_b32_e32 v8, 16, v8
	v_dual_mul_f32 v54, v39, v24 :: v_dual_and_b32 v49, 0xffff, v2
	v_lshrrev_b32_e32 v2, 16, v2
	v_dual_mov_b32 v52, 0x2edbe6ff :: v_dual_mul_f32 v17, v39, v17
	v_cvt_f32_u32_e32 v41, v41
	v_cvt_f32_u32_e32 v47, v47
	;; [unrolled: 1-line block ×3, first 2 shown]
	v_dual_mul_f32 v19, v39, v19 :: v_dual_mul_f32 v28, v16, v40
	v_mul_f32_e32 v21, v39, v21
	v_mul_f32_e32 v56, v39, v26
	v_dual_mul_f32 v26, v18, v10 :: v_dual_mul_f32 v29, v39, v29
	v_mul_f32_e32 v18, v58, v7
	v_mul_f32_e32 v38, v39, v38
	v_cvt_f32_u32_e32 v1, v1
	v_dual_mul_f32 v53, v39, v23 :: v_dual_mul_f32 v22, v22, v12
	v_dual_mul_f32 v32, v39, v32 :: v_dual_mul_f32 v21, v21, v43
	v_cvt_f32_u32_e32 v45, v45
	v_cvt_f32_u32_e32 v6, v6
	;; [unrolled: 1-line block ×4, first 2 shown]
	v_dual_mul_f32 v55, v39, v25 :: v_dual_mul_f32 v24, v20, v11
	v_dual_mul_f32 v57, v39, v27 :: v_dual_mul_f32 v20, v53, v44
	;; [unrolled: 1-line block ×3, first 2 shown]
	v_mul_f32_e32 v34, v39, v34
	v_mul_f32_e32 v27, v15, v9
	v_cvt_f32_u32_e32 v48, v48
	s_delay_alu instid0(VALU_DEP_4)
	v_dual_mul_f32 v31, v39, v31 :: v_dual_mul_f32 v16, v30, v8
	v_cvt_f32_u32_e32 v49, v49
	v_dual_mul_f32 v15, v29, v47 :: v_dual_mul_f32 v4, v38, v4
	v_mul_f32_e32 v23, v19, v42
	v_mul_f32_e32 v19, v54, v5
	v_dual_mul_f32 v33, v39, v33 :: v_dual_mul_f32 v8, v34, v2
	v_cvt_f32_u32_e32 v3, v3
	v_cvt_f32_u32_e32 v51, v51
	v_dual_mul_f32 v36, v39, v36 :: v_dual_mul_f32 v11, v56, v6
	v_mul_f32_e32 v37, v39, v37
	v_cvt_f32_u32_e32 v50, v50
	v_dual_mul_f32 v35, v39, v35 :: v_dual_mul_f32 v10, v32, v1
	v_dual_mul_f32 v12, v55, v45 :: v_dual_and_b32 v1, 0x7fffffff, v28
	v_dual_mul_f32 v17, v57, v46 :: v_dual_and_b32 v2, 0x7fffffff, v27
	;;#ASMSTART
	v_max3_f32 v1, v52, v1, v2

	;;#ASMEND
	v_dual_mul_f32 v9, v31, v48 :: v_dual_and_b32 v30, 0x7fffffff, v26
	v_and_b32_e32 v29, 0x7fffffff, v25
	;;#ASMSTART
	v_max3_f32 v1, v1, v29, v30

	;;#ASMEND
	v_dual_mul_f32 v7, v33, v49 :: v_dual_and_b32 v32, 0x7fffffff, v24
	v_and_b32_e32 v31, 0x7fffffff, v23
	;;#ASMSTART
	v_max3_f32 v1, v1, v31, v32

	;;#ASMEND
	v_mul_f32_e32 v6, v36, v3
	v_dual_mul_f32 v3, v37, v51 :: v_dual_and_b32 v34, 0x7fffffff, v22
	v_and_b32_e32 v33, 0x7fffffff, v21
	;;#ASMSTART
	v_max3_f32 v1, v1, v33, v34

	;;#ASMEND
	v_dual_mul_f32 v5, v35, v50 :: v_dual_and_b32 v36, 0x7fffffff, v19
	v_and_b32_e32 v35, 0x7fffffff, v20
	;;#ASMSTART
	v_max3_f32 v1, v1, v35, v36

	;;#ASMEND
	v_and_b32_e32 v37, 0x7fffffff, v12
	v_and_b32_e32 v38, 0x7fffffff, v11
	;;#ASMSTART
	v_max3_f32 v1, v1, v37, v38

	;;#ASMEND
	v_and_b32_e32 v39, 0x7fffffff, v17
	;; [unrolled: 6-line block ×6, first 2 shown]
	v_and_b32_e32 v48, 0x7fffffff, v6
	v_and_b32_e32 v49, 0x7fffffff, v3
	;; [unrolled: 1-line block ×3, first 2 shown]
	;;#ASMSTART
	v_max3_f32 v1, v1, v47, v48

	;;#ASMEND
	;;#ASMSTART
	v_max3_f32 v29, v1, v49, v50

	;;#ASMEND
	s_cbranch_scc0 .LBB106_10
; %bb.4:
	s_mul_hi_i32 s3, s7, 0x2aaaaaab
	s_delay_alu instid0(SALU_CYCLE_1) | instskip(SKIP_1) | instid1(SALU_CYCLE_1)
	s_lshr_b32 s11, s3, 31
	s_ashr_i32 s3, s3, 2
	s_add_i32 s3, s3, s11
	s_delay_alu instid0(SALU_CYCLE_1)
	s_cmp_lt_i32 s3, 8
	s_cbranch_scc1 .LBB106_11
; %bb.5:
	s_cmp_lt_i32 s3, 16
	s_cbranch_scc1 .LBB106_12
; %bb.6:
	;; [unrolled: 3-line block ×3, first 2 shown]
	v_mov_b32_e32 v1, v29
	s_cmp_eq_u32 s3, 32
	s_cbranch_scc0 .LBB106_9
; %bb.8:
	s_delay_alu instid0(VALU_DEP_1) | instskip(SKIP_1) | instid1(VALU_DEP_1)
	v_mov_b32_dpp v1, v29 quad_perm:[1,0,3,2] row_mask:0xf bank_mask:0xf
	s_mov_b32 s11, 0x76543210
	v_cmp_gt_f32_e32 vcc_lo, v29, v1
	v_cndmask_b32_e32 v1, v1, v29, vcc_lo
	s_delay_alu instid0(VALU_DEP_1) | instskip(NEXT) | instid1(VALU_DEP_1)
	v_mov_b32_dpp v2, v1 quad_perm:[2,3,0,1] row_mask:0xf bank_mask:0xf
	v_cmp_gt_f32_e32 vcc_lo, v1, v2
	v_cndmask_b32_e32 v1, v2, v1, vcc_lo
	s_delay_alu instid0(VALU_DEP_1) | instskip(NEXT) | instid1(VALU_DEP_1)
	v_mov_b32_dpp v2, v1 row_xmask:7 row_mask:0xf bank_mask:0xf
	v_cmp_gt_f32_e32 vcc_lo, v1, v2
	v_cndmask_b32_e32 v1, v2, v1, vcc_lo
	s_delay_alu instid0(VALU_DEP_1) | instskip(NEXT) | instid1(VALU_DEP_1)
	v_mov_b32_dpp v2, v1 row_xmask:15 row_mask:0xf bank_mask:0xf
	v_cmp_gt_f32_e32 vcc_lo, v1, v2
	v_cndmask_b32_e32 v1, v2, v1, vcc_lo
	s_delay_alu instid0(VALU_DEP_1) | instskip(NEXT) | instid1(VALU_DEP_1)
	v_permlanex16_b32 v2, v1, s11, 0xfedcba98 op_sel:[1,1]
	v_cmp_gt_f32_e32 vcc_lo, v1, v2
	v_cndmask_b32_e32 v1, v2, v1, vcc_lo
.LBB106_9:
	s_mov_b32 s11, 0
	s_branch .LBB106_14
.LBB106_10:
	s_mov_b32 s3, 0
                                        ; implicit-def: $vgpr30
                                        ; implicit-def: $vgpr1_vgpr2
	s_and_b32 vcc_lo, exec_lo, s15
	s_cbranch_vccnz .LBB106_38
	s_branch .LBB106_41
.LBB106_11:
                                        ; implicit-def: $vgpr1
	s_branch .LBB106_21
.LBB106_12:
                                        ; implicit-def: $vgpr1
	s_branch .LBB106_18
.LBB106_13:
	s_mov_b32 s11, -1
                                        ; implicit-def: $vgpr1
.LBB106_14:
	s_delay_alu instid0(SALU_CYCLE_1)
	s_and_not1_b32 vcc_lo, exec_lo, s11
	s_cbranch_vccnz .LBB106_17
; %bb.15:
	v_mov_b32_e32 v1, v29
	s_cmp_eq_u32 s3, 16
	s_cbranch_scc0 .LBB106_17
; %bb.16:
	s_delay_alu instid0(VALU_DEP_1) | instskip(NEXT) | instid1(VALU_DEP_1)
	v_mov_b32_dpp v1, v29 quad_perm:[1,0,3,2] row_mask:0xf bank_mask:0xf
	v_cmp_gt_f32_e32 vcc_lo, v29, v1
	v_cndmask_b32_e32 v1, v1, v29, vcc_lo
	s_delay_alu instid0(VALU_DEP_1) | instskip(NEXT) | instid1(VALU_DEP_1)
	v_mov_b32_dpp v2, v1 quad_perm:[2,3,0,1] row_mask:0xf bank_mask:0xf
	v_cmp_gt_f32_e32 vcc_lo, v1, v2
	v_cndmask_b32_e32 v1, v2, v1, vcc_lo
	s_delay_alu instid0(VALU_DEP_1) | instskip(NEXT) | instid1(VALU_DEP_1)
	v_mov_b32_dpp v2, v1 row_half_mirror row_mask:0xf bank_mask:0xf
	v_cmp_gt_f32_e32 vcc_lo, v1, v2
	v_cndmask_b32_e32 v1, v2, v1, vcc_lo
	s_delay_alu instid0(VALU_DEP_1) | instskip(NEXT) | instid1(VALU_DEP_1)
	v_mov_b32_dpp v2, v1 row_mirror row_mask:0xf bank_mask:0xf
	v_cmp_gt_f32_e32 vcc_lo, v1, v2
	v_cndmask_b32_e32 v1, v2, v1, vcc_lo
.LBB106_17:
	s_cbranch_execnz .LBB106_20
.LBB106_18:
	v_mov_b32_e32 v1, v29
	s_cmp_eq_u32 s3, 8
	s_cbranch_scc0 .LBB106_20
; %bb.19:
	s_delay_alu instid0(VALU_DEP_1) | instskip(NEXT) | instid1(VALU_DEP_1)
	v_mov_b32_dpp v1, v29 quad_perm:[1,0,3,2] row_mask:0xf bank_mask:0xf
	v_cmp_gt_f32_e32 vcc_lo, v29, v1
	v_cndmask_b32_e32 v1, v1, v29, vcc_lo
	s_delay_alu instid0(VALU_DEP_1) | instskip(NEXT) | instid1(VALU_DEP_1)
	v_mov_b32_dpp v2, v1 quad_perm:[2,3,0,1] row_mask:0xf bank_mask:0xf
	v_cmp_gt_f32_e32 vcc_lo, v1, v2
	v_cndmask_b32_e32 v1, v2, v1, vcc_lo
	s_delay_alu instid0(VALU_DEP_1) | instskip(NEXT) | instid1(VALU_DEP_1)
	v_mov_b32_dpp v2, v1 row_half_mirror row_mask:0xf bank_mask:0xf
	v_cmp_gt_f32_e32 vcc_lo, v1, v2
	v_cndmask_b32_e32 v1, v2, v1, vcc_lo
.LBB106_20:
	s_cbranch_execnz .LBB106_28
.LBB106_21:
	s_cmp_lt_i32 s3, 4
	s_cbranch_scc1 .LBB106_24
; %bb.22:
	v_mov_b32_e32 v1, v29
	s_cmp_eq_u32 s3, 4
	s_cbranch_scc0 .LBB106_25
; %bb.23:
	s_delay_alu instid0(VALU_DEP_1) | instskip(NEXT) | instid1(VALU_DEP_1)
	v_mov_b32_dpp v1, v29 quad_perm:[1,0,3,2] row_mask:0xf bank_mask:0xf
	v_cmp_gt_f32_e32 vcc_lo, v29, v1
	v_cndmask_b32_e32 v1, v1, v29, vcc_lo
	s_delay_alu instid0(VALU_DEP_1) | instskip(NEXT) | instid1(VALU_DEP_1)
	v_mov_b32_dpp v2, v1 quad_perm:[2,3,0,1] row_mask:0xf bank_mask:0xf
	v_cmp_gt_f32_e32 vcc_lo, v1, v2
	v_cndmask_b32_e32 v1, v2, v1, vcc_lo
	s_cbranch_execz .LBB106_26
	s_branch .LBB106_28
.LBB106_24:
                                        ; implicit-def: $vgpr1
	s_branch .LBB106_26
.LBB106_25:
	s_cbranch_execnz .LBB106_28
.LBB106_26:
	v_mov_b32_e32 v1, v29
	s_cmp_lg_u32 s3, 2
	s_cbranch_scc1 .LBB106_28
; %bb.27:
	s_delay_alu instid0(VALU_DEP_1) | instskip(NEXT) | instid1(VALU_DEP_1)
	v_mov_b32_dpp v1, v29 quad_perm:[1,0,3,2] row_mask:0xf bank_mask:0xf
	v_cmp_gt_f32_e32 vcc_lo, v29, v1
	v_cndmask_b32_e32 v1, v1, v29, vcc_lo
.LBB106_28:
	v_cvt_f32_u32_e32 v2, s3
	s_sub_i32 s11, 0, s3
	s_mov_b32 s15, 0
	s_delay_alu instid0(VALU_DEP_1) | instskip(SKIP_2) | instid1(VALU_DEP_1)
	v_rcp_iflag_f32_e32 v2, v2
	s_waitcnt_depctr 0xfff
	v_mul_f32_e32 v2, 0x4f7ffffe, v2
	v_cvt_u32_f32_e32 v2, v2
	s_delay_alu instid0(VALU_DEP_1) | instskip(NEXT) | instid1(VALU_DEP_1)
	v_mul_lo_u32 v30, s11, v2
	v_mul_hi_u32 v30, v2, v30
	s_delay_alu instid0(VALU_DEP_1) | instskip(NEXT) | instid1(VALU_DEP_1)
	v_add_nc_u32_e32 v2, v2, v30
	v_mul_hi_u32 v2, v0, v2
	s_delay_alu instid0(VALU_DEP_1) | instskip(NEXT) | instid1(VALU_DEP_1)
	v_mul_lo_u32 v30, v2, s3
	v_sub_nc_u32_e32 v30, v0, v30
	s_delay_alu instid0(VALU_DEP_1) | instskip(SKIP_1) | instid1(VALU_DEP_2)
	v_subrev_nc_u32_e32 v32, s3, v30
	v_cmp_le_u32_e32 vcc_lo, s3, v30
	v_dual_cndmask_b32 v30, v30, v32 :: v_dual_add_nc_u32 v31, 1, v2
	s_delay_alu instid0(VALU_DEP_1) | instskip(NEXT) | instid1(VALU_DEP_2)
	v_cndmask_b32_e32 v2, v2, v31, vcc_lo
	v_cmp_le_u32_e32 vcc_lo, s3, v30
	s_delay_alu instid0(VALU_DEP_2) | instskip(SKIP_1) | instid1(VALU_DEP_2)
	v_add_nc_u32_e32 v31, 1, v2
	v_mul_u32_u24_e32 v30, 24, v0
	v_cndmask_b32_e32 v31, v2, v31, vcc_lo
	s_delay_alu instid0(VALU_DEP_2) | instskip(SKIP_1) | instid1(VALU_DEP_3)
	v_cmp_gt_u32_e32 vcc_lo, s5, v30
	v_mul_f32_e32 v30, 0x3c010204, v1
	v_mul_lo_u32 v2, v31, s3
	s_delay_alu instid0(VALU_DEP_1) | instskip(NEXT) | instid1(VALU_DEP_1)
	v_sub_nc_u32_e32 v2, v0, v2
	v_cmp_eq_u32_e64 s3, 0, v2
                                        ; implicit-def: $vgpr1_vgpr2
	s_delay_alu instid0(VALU_DEP_1) | instskip(SKIP_2) | instid1(SALU_CYCLE_1)
	s_and_b32 s11, s3, vcc_lo
	s_mov_b32 s3, 0
	s_and_saveexec_b32 s12, s11
	s_xor_b32 s14, exec_lo, s12
	s_cbranch_execz .LBB106_37
; %bb.29:
	s_bitcmp0_b32 s10, 0
	s_mov_b32 s16, 0
	s_cbranch_scc0 .LBB106_34
; %bb.30:
	s_ashr_i32 s3, s5, 31
	s_mul_hi_u32 s10, s5, s20
	s_mul_i32 s3, s3, s20
	s_mul_i32 s12, s5, s20
	s_add_i32 s13, s10, s3
	s_ashr_i32 s11, s7, 31
	s_mov_b32 s10, s7
	s_delay_alu instid0(SALU_CYCLE_1) | instskip(NEXT) | instid1(SALU_CYCLE_1)
	s_or_b64 s[18:19], s[12:13], s[10:11]
	s_mov_b32 s17, s19
	s_delay_alu instid0(SALU_CYCLE_1)
	s_cmp_lg_u64 s[16:17], 0
	s_cbranch_scc0 .LBB106_45
; %bb.31:
	s_add_u32 s18, s10, s11
	s_mov_b32 s16, s11
	s_mov_b32 s17, s11
	s_addc_u32 s19, s11, s11
	s_delay_alu instid0(SALU_CYCLE_1) | instskip(NEXT) | instid1(SALU_CYCLE_1)
	s_xor_b64 s[18:19], s[18:19], s[16:17]
	v_cvt_f32_u32_e32 v1, s18
	v_cvt_f32_u32_e32 v2, s19
	s_sub_u32 s11, 0, s18
	s_subb_u32 s22, 0, s19
	s_delay_alu instid0(VALU_DEP_1) | instskip(NEXT) | instid1(VALU_DEP_1)
	v_fmamk_f32 v1, v2, 0x4f800000, v1
	v_rcp_f32_e32 v1, v1
	s_waitcnt_depctr 0xfff
	v_mul_f32_e32 v1, 0x5f7ffffc, v1
	s_delay_alu instid0(VALU_DEP_1) | instskip(NEXT) | instid1(VALU_DEP_1)
	v_mul_f32_e32 v2, 0x2f800000, v1
	v_trunc_f32_e32 v2, v2
	s_delay_alu instid0(VALU_DEP_1) | instskip(SKIP_1) | instid1(VALU_DEP_2)
	v_fmamk_f32 v1, v2, 0xcf800000, v1
	v_cvt_u32_f32_e32 v2, v2
	v_cvt_u32_f32_e32 v1, v1
	s_delay_alu instid0(VALU_DEP_2) | instskip(NEXT) | instid1(VALU_DEP_2)
	v_readfirstlane_b32 s3, v2
	v_readfirstlane_b32 s7, v1
	s_delay_alu instid0(VALU_DEP_2) | instskip(NEXT) | instid1(VALU_DEP_1)
	s_mul_i32 s23, s11, s3
	s_mul_hi_u32 s25, s11, s7
	s_mul_i32 s24, s22, s7
	s_add_i32 s23, s25, s23
	s_mul_i32 s26, s11, s7
	s_add_i32 s23, s23, s24
	s_mul_hi_u32 s25, s7, s26
	s_mul_hi_u32 s27, s3, s26
	s_mul_i32 s24, s3, s26
	s_mul_hi_u32 s26, s7, s23
	s_mul_i32 s7, s7, s23
	s_mul_hi_u32 s28, s3, s23
	s_add_u32 s7, s25, s7
	s_addc_u32 s25, 0, s26
	s_add_u32 s7, s7, s24
	s_mul_i32 s23, s3, s23
	s_addc_u32 s7, s25, s27
	s_addc_u32 s24, s28, 0
	s_add_u32 s7, s7, s23
	s_addc_u32 s23, 0, s24
	v_add_co_u32 v1, s7, v1, s7
	s_delay_alu instid0(VALU_DEP_1) | instskip(SKIP_1) | instid1(VALU_DEP_1)
	s_cmp_lg_u32 s7, 0
	s_addc_u32 s3, s3, s23
	v_readfirstlane_b32 s7, v1
	s_mul_i32 s23, s11, s3
	s_delay_alu instid0(VALU_DEP_1)
	s_mul_hi_u32 s24, s11, s7
	s_mul_i32 s22, s22, s7
	s_add_i32 s23, s24, s23
	s_mul_i32 s11, s11, s7
	s_add_i32 s23, s23, s22
	s_mul_hi_u32 s24, s3, s11
	s_mul_i32 s25, s3, s11
	s_mul_hi_u32 s11, s7, s11
	s_mul_hi_u32 s26, s7, s23
	s_mul_i32 s7, s7, s23
	s_mul_hi_u32 s22, s3, s23
	s_add_u32 s7, s11, s7
	s_addc_u32 s11, 0, s26
	s_add_u32 s7, s7, s25
	s_mul_i32 s23, s3, s23
	s_addc_u32 s7, s11, s24
	s_addc_u32 s11, s22, 0
	s_add_u32 s7, s7, s23
	s_addc_u32 s11, 0, s11
	v_add_co_u32 v1, s7, v1, s7
	s_delay_alu instid0(VALU_DEP_1) | instskip(SKIP_2) | instid1(VALU_DEP_1)
	s_cmp_lg_u32 s7, 0
	s_addc_u32 s3, s3, s11
	s_ashr_i32 s22, s13, 31
	v_readfirstlane_b32 s7, v1
	s_add_u32 s24, s12, s22
	s_mov_b32 s23, s22
	s_addc_u32 s25, s13, s22
	s_delay_alu instid0(SALU_CYCLE_1) | instskip(NEXT) | instid1(SALU_CYCLE_1)
	s_xor_b64 s[24:25], s[24:25], s[22:23]
	s_mul_i32 s13, s24, s3
	s_mul_hi_u32 s26, s24, s7
	s_mul_hi_u32 s11, s24, s3
	;; [unrolled: 1-line block ×3, first 2 shown]
	s_mul_i32 s7, s25, s7
	s_add_u32 s13, s26, s13
	s_addc_u32 s11, 0, s11
	s_mul_hi_u32 s27, s25, s3
	s_add_u32 s7, s13, s7
	s_mul_i32 s3, s25, s3
	s_addc_u32 s7, s11, s28
	s_addc_u32 s11, s27, 0
	s_add_u32 s7, s7, s3
	s_addc_u32 s11, 0, s11
	s_mul_i32 s27, s18, s7
	s_mul_hi_u32 s3, s18, s7
	s_mul_i32 s26, s18, s11
	v_sub_co_u32 v1, s24, s24, s27
	s_mul_i32 s13, s19, s7
	s_add_i32 s3, s3, s26
	s_delay_alu instid0(SALU_CYCLE_1) | instskip(NEXT) | instid1(VALU_DEP_1)
	s_add_i32 s3, s3, s13
	v_sub_co_u32 v2, s26, v1, s18
	s_sub_i32 s13, s25, s3
	s_cmp_lg_u32 s24, 0
	s_subb_u32 s13, s13, s19
	s_cmp_lg_u32 s26, 0
	v_cmp_le_u32_e32 vcc_lo, s18, v2
	s_subb_u32 s13, s13, 0
	s_delay_alu instid0(SALU_CYCLE_1)
	s_cmp_ge_u32 s13, s19
	v_cndmask_b32_e64 v2, 0, -1, vcc_lo
	s_cselect_b32 s26, -1, 0
	s_cmp_eq_u32 s13, s19
	s_cselect_b32 vcc_lo, -1, 0
	s_add_u32 s13, s7, 1
	v_cndmask_b32_e32 v2, s26, v2, vcc_lo
	s_addc_u32 s26, s11, 0
	s_add_u32 s27, s7, 2
	s_addc_u32 s28, s11, 0
	s_cmp_lg_u32 s24, 0
	v_cmp_le_u32_e32 vcc_lo, s18, v1
	s_subb_u32 s3, s25, s3
	v_mov_b32_e32 v32, s27
	s_cmp_ge_u32 s3, s19
	v_cndmask_b32_e64 v1, 0, -1, vcc_lo
	s_cselect_b32 s18, -1, 0
	s_cmp_eq_u32 s3, s19
	v_cmp_ne_u32_e32 vcc_lo, 0, v2
	v_mov_b32_e32 v2, s28
	s_cselect_b32 s3, -1, 0
	s_xor_b64 s[16:17], s[22:23], s[16:17]
	v_cndmask_b32_e64 v1, s18, v1, s3
	v_cndmask_b32_e32 v32, s13, v32, vcc_lo
	v_cndmask_b32_e32 v2, s26, v2, vcc_lo
	s_delay_alu instid0(VALU_DEP_3) | instskip(NEXT) | instid1(VALU_DEP_2)
	v_cmp_ne_u32_e32 vcc_lo, 0, v1
	v_cndmask_b32_e32 v1, s11, v2, vcc_lo
	s_delay_alu instid0(VALU_DEP_4) | instskip(NEXT) | instid1(VALU_DEP_2)
	v_cndmask_b32_e32 v2, s7, v32, vcc_lo
	v_xor_b32_e32 v32, s17, v1
	s_delay_alu instid0(VALU_DEP_2) | instskip(NEXT) | instid1(VALU_DEP_1)
	v_xor_b32_e32 v2, s16, v2
	v_sub_co_u32 v1, vcc_lo, v2, s16
	s_delay_alu instid0(VALU_DEP_3)
	v_subrev_co_ci_u32_e32 v2, vcc_lo, s17, v32, vcc_lo
	s_cbranch_execnz .LBB106_33
.LBB106_32:
	v_cvt_f32_u32_e32 v1, s10
	s_sub_i32 s7, 0, s10
	s_delay_alu instid0(VALU_DEP_1) | instskip(SKIP_2) | instid1(VALU_DEP_1)
	v_rcp_iflag_f32_e32 v1, v1
	s_waitcnt_depctr 0xfff
	v_mul_f32_e32 v1, 0x4f7ffffe, v1
	v_cvt_u32_f32_e32 v1, v1
	s_delay_alu instid0(VALU_DEP_1) | instskip(NEXT) | instid1(VALU_DEP_1)
	v_readfirstlane_b32 s3, v1
	s_mul_i32 s7, s7, s3
	s_delay_alu instid0(SALU_CYCLE_1) | instskip(NEXT) | instid1(SALU_CYCLE_1)
	s_mul_hi_u32 s7, s3, s7
	s_add_i32 s3, s3, s7
	s_delay_alu instid0(SALU_CYCLE_1) | instskip(NEXT) | instid1(SALU_CYCLE_1)
	s_mul_hi_u32 s3, s12, s3
	s_mul_i32 s7, s3, s10
	s_add_i32 s11, s3, 1
	s_sub_i32 s7, s12, s7
	s_delay_alu instid0(SALU_CYCLE_1)
	s_sub_i32 s12, s7, s10
	s_cmp_ge_u32 s7, s10
	s_cselect_b32 s3, s11, s3
	s_cselect_b32 s7, s12, s7
	s_add_i32 s12, s3, 1
	s_cmp_ge_u32 s7, s10
	s_mov_b32 s11, 0
	s_cselect_b32 s10, s12, s3
	s_delay_alu instid0(SALU_CYCLE_1)
	v_dual_mov_b32 v1, s10 :: v_dual_mov_b32 v2, s11
.LBB106_33:
	s_delay_alu instid0(VALU_DEP_1) | instskip(NEXT) | instid1(VALU_DEP_2)
	v_add_co_u32 v1, vcc_lo, v1, v31
	v_add_co_ci_u32_e32 v2, vcc_lo, 0, v2, vcc_lo
	s_branch .LBB106_36
.LBB106_34:
                                        ; implicit-def: $vgpr1_vgpr2
	s_cbranch_execz .LBB106_36
; %bb.35:
	v_mul_lo_u32 v1, v31, s4
	s_delay_alu instid0(VALU_DEP_1) | instskip(SKIP_1) | instid1(VALU_DEP_2)
	v_ashrrev_i32_e32 v2, 31, v1
	v_add_co_u32 v1, vcc_lo, v1, s20
	v_add_co_ci_u32_e32 v2, vcc_lo, 0, v2, vcc_lo
.LBB106_36:
	s_mov_b32 s3, exec_lo
.LBB106_37:
	s_or_b32 exec_lo, exec_lo, s14
	s_delay_alu instid0(SALU_CYCLE_1)
	s_and_b32 vcc_lo, exec_lo, s15
	s_cbranch_vccz .LBB106_41
.LBB106_38:
	v_mov_b32_dpp v1, v29 quad_perm:[1,0,3,2] row_mask:0xf bank_mask:0xf
	s_delay_alu instid0(VALU_DEP_1) | instskip(SKIP_1) | instid1(VALU_DEP_1)
	v_cmp_gt_f32_e32 vcc_lo, v29, v1
	v_cndmask_b32_e32 v1, v1, v29, vcc_lo
	v_mov_b32_dpp v2, v1 quad_perm:[2,3,0,1] row_mask:0xf bank_mask:0xf
	s_delay_alu instid0(VALU_DEP_1) | instskip(SKIP_1) | instid1(VALU_DEP_1)
	v_cmp_gt_f32_e32 vcc_lo, v1, v2
	v_cndmask_b32_e32 v1, v2, v1, vcc_lo
	v_mov_b32_dpp v2, v1 row_xmask:7 row_mask:0xf bank_mask:0xf
	s_delay_alu instid0(VALU_DEP_1) | instskip(SKIP_1) | instid1(VALU_DEP_1)
	v_cmp_gt_f32_e32 vcc_lo, v1, v2
	v_cndmask_b32_e32 v1, v2, v1, vcc_lo
	v_mov_b32_dpp v2, v1 row_xmask:15 row_mask:0xf bank_mask:0xf
	s_delay_alu instid0(VALU_DEP_1)
	v_cmp_gt_f32_e32 vcc_lo, v1, v2
	s_and_saveexec_b32 s3, s2
	s_cbranch_execz .LBB106_40
; %bb.39:
	v_cndmask_b32_e32 v1, v2, v1, vcc_lo
	v_lshrrev_b32_e32 v2, 3, v0
	s_mov_b32 s2, 0x76543210
	s_delay_alu instid0(VALU_DEP_1) | instskip(NEXT) | instid1(VALU_DEP_3)
	v_and_b32_e32 v2, 0x7c, v2
	v_permlanex16_b32 v29, v1, s2, 0xfedcba98 op_sel:[1,1]
	s_delay_alu instid0(VALU_DEP_1)
	v_cmp_gt_f32_e32 vcc_lo, v1, v29
	v_cndmask_b32_e32 v1, v29, v1, vcc_lo
	ds_store_b32 v2, v1
.LBB106_40:
	s_or_b32 exec_lo, exec_lo, s3
	s_waitcnt lgkmcnt(0)
	s_barrier
	buffer_gl0_inv
	ds_load_b32 v1, v14
	v_cmp_eq_u32_e64 s3, 0, v0
	s_waitcnt lgkmcnt(0)
	v_mov_b32_dpp v2, v1 quad_perm:[1,0,3,2] row_mask:0xf bank_mask:0xf
	s_delay_alu instid0(VALU_DEP_1) | instskip(SKIP_1) | instid1(VALU_DEP_1)
	v_cmp_gt_f32_e32 vcc_lo, v1, v2
	v_cndmask_b32_e32 v1, v2, v1, vcc_lo
	v_mov_b32_dpp v2, v1 quad_perm:[2,3,0,1] row_mask:0xf bank_mask:0xf
	s_delay_alu instid0(VALU_DEP_1) | instskip(SKIP_1) | instid1(VALU_DEP_1)
	v_cmp_gt_f32_e32 vcc_lo, v1, v2
	v_cndmask_b32_e32 v1, v2, v1, vcc_lo
	v_mov_b32_dpp v2, v1 row_xmask:7 row_mask:0xf bank_mask:0xf
	s_delay_alu instid0(VALU_DEP_1) | instskip(SKIP_1) | instid1(VALU_DEP_1)
	v_cmp_gt_f32_e32 vcc_lo, v1, v2
	v_cndmask_b32_e32 v1, v2, v1, vcc_lo
	v_dual_mul_f32 v30, 0x3c010204, v1 :: v_dual_mov_b32 v1, s20
	v_mov_b32_e32 v2, s21
.LBB106_41:
	s_and_saveexec_b32 s2, s3
	s_cbranch_execz .LBB106_43
; %bb.42:
	s_delay_alu instid0(VALU_DEP_1) | instskip(NEXT) | instid1(VALU_DEP_1)
	v_lshlrev_b64 v[0:1], 2, v[1:2]
	v_add_co_u32 v0, vcc_lo, s8, v0
	s_delay_alu instid0(VALU_DEP_2)
	v_add_co_ci_u32_e32 v1, vcc_lo, s9, v1, vcc_lo
	global_store_b32 v[0:1], v30, off
.LBB106_43:
	s_or_b32 exec_lo, exec_lo, s2
	;;#ASMSTART
	v_rcp_f32 v2, v30
	;;#ASMEND
	v_mul_f32_e32 v17, v17, v2
	v_mul_f32_e32 v21, v21, v2
	;; [unrolled: 1-line block ×3, first 2 shown]
	s_load_b64 s[0:1], s[0:1], 0x0
	s_add_i32 s2, s5, 3
	v_cvt_i32_f32_e32 v17, v17
	v_mul_f32_e32 v22, v22, v2
	v_cvt_i32_f32_e32 v21, v21
	v_mul_f32_e32 v14, v25, v2
	v_cvt_i32_f32_e32 v23, v23
	v_and_b32_e32 v17, 0xff, v17
	v_cvt_i32_f32_e32 v22, v22
	v_dual_mul_f32 v0, v28, v2 :: v_dual_and_b32 v21, 0xff, v21
	s_delay_alu instid0(VALU_DEP_4) | instskip(SKIP_1) | instid1(VALU_DEP_4)
	v_and_b32_e32 v23, 0xff, v23
	v_cvt_i32_f32_e32 v14, v14
	v_lshlrev_b16 v22, 8, v22
	s_ashr_i32 s3, s2, 31
	v_cvt_i32_f32_e32 v0, v0
	v_mul_f32_e32 v1, v27, v2
	v_and_b32_e32 v14, 0xff, v14
	v_or_b32_e32 v21, v21, v22
	v_mul_f32_e32 v24, v24, v2
	v_and_b32_e32 v0, 0xff, v0
	v_cvt_i32_f32_e32 v1, v1
	s_lshr_b32 s3, s3, 30
	v_lshlrev_b32_e32 v21, 16, v21
	v_cvt_i32_f32_e32 v24, v24
	s_add_i32 s2, s2, s3
	v_lshlrev_b16 v1, 8, v1
	s_ashr_i32 s3, s6, 31
	v_mul_f32_e32 v15, v15, v2
	v_lshlrev_b16 v24, 8, v24
	v_mul_f32_e32 v6, v6, v2
	v_or_b32_e32 v0, v0, v1
	v_mul_f32_e32 v5, v5, v2
	s_mul_hi_u32 s4, s6, s20
	v_or_b32_e32 v23, v23, v24
	s_delay_alu instid0(VALU_DEP_3) | instskip(SKIP_3) | instid1(VALU_DEP_1)
	v_dual_mul_f32 v25, v26, v2 :: v_dual_and_b32 v0, 0xffff, v0
	s_mul_i32 s3, s3, s20
	s_mul_i32 s5, s6, s20
	s_and_b32 s2, s2, -4
	v_cvt_i32_f32_e32 v25, v25
	s_add_i32 s4, s4, s3
	s_waitcnt lgkmcnt(0)
	s_add_u32 s0, s0, s5
	v_cvt_i32_f32_e32 v15, v15
	v_cvt_i32_f32_e32 v6, v6
	v_lshlrev_b16 v25, 8, v25
	v_cvt_i32_f32_e32 v5, v5
	s_addc_u32 s1, s1, s4
	s_mov_b32 s3, -1
	s_and_b32 s1, s1, 0xffff
	v_or_b32_e32 v1, v14, v25
	v_and_b32_e32 v14, 0xffff, v23
	v_and_b32_e32 v15, 0xff, v15
	v_mul_f32_e32 v9, v9, v2
	s_delay_alu instid0(VALU_DEP_4) | instskip(NEXT) | instid1(VALU_DEP_4)
	v_dual_mul_f32 v7, v7, v2 :: v_dual_lshlrev_b32 v22, 16, v1
	v_or_b32_e32 v1, v14, v21
	v_mul_f32_e32 v14, v20, v2
	v_lshlrev_b16 v6, 8, v6
	v_mul_f32_e32 v12, v12, v2
	v_or_b32_e32 v0, v0, v22
	v_and_b32_e32 v5, 0xff, v5
	v_mul_f32_e32 v11, v11, v2
	v_cvt_i32_f32_e32 v9, v9
	v_mul_f32_e32 v16, v16, v2
	buffer_store_b64 v[0:1], v13, s[0:3], 0 offen
	v_cvt_i32_f32_e32 v1, v14
	v_mul_f32_e32 v14, v18, v2
	v_mul_f32_e32 v0, v19, v2
	v_mul_f32_e32 v8, v8, v2
	v_mul_f32_e32 v4, v4, v2
	v_or_b32_e32 v5, v5, v6
	v_mul_f32_e32 v10, v10, v2
	v_mul_f32_e32 v2, v3, v2
	v_cvt_i32_f32_e32 v3, v7
	v_cvt_i32_f32_e32 v14, v14
	v_and_b32_e32 v5, 0xffff, v5
	v_and_b32_e32 v1, 0xff, v1
	v_cvt_i32_f32_e32 v0, v0
	v_and_b32_e32 v3, 0xff, v3
	v_cvt_i32_f32_e32 v12, v12
	;; [unrolled: 2-line block ×3, first 2 shown]
	v_cvt_i32_f32_e32 v10, v10
	v_cvt_i32_f32_e32 v4, v4
	v_and_b32_e32 v12, 0xff, v12
	v_cvt_i32_f32_e32 v11, v11
	v_cvt_i32_f32_e32 v2, v2
	;; [unrolled: 1-line block ×3, first 2 shown]
	v_lshlrev_b16 v14, 8, v14
	v_lshlrev_b16 v16, 8, v16
	;; [unrolled: 1-line block ×5, first 2 shown]
	v_and_b32_e32 v2, 0xff, v2
	v_lshlrev_b16 v8, 8, v10
	v_lshlrev_b16 v7, 8, v7
	v_or_b32_e32 v14, v17, v14
	v_or_b32_e32 v15, v15, v16
	;; [unrolled: 1-line block ×7, first 2 shown]
	v_and_b32_e32 v1, 0xffff, v14
	v_lshlrev_b32_e32 v14, 16, v15
	v_and_b32_e32 v0, 0xffff, v0
	v_lshlrev_b32_e32 v6, 16, v10
	v_lshlrev_b32_e32 v2, 16, v2
	v_and_b32_e32 v4, 0xffff, v4
	v_lshlrev_b32_e32 v7, 16, v3
	v_or_b32_e32 v1, v1, v14
	v_or_b32_e32 v0, v0, v6
	;; [unrolled: 1-line block ×3, first 2 shown]
	s_movk_i32 s4, 0x100
	v_or_b32_e32 v2, v4, v7
	;;#ASMSTART
	s_nop 0
	;;#ASMEND
	buffer_store_b64 v[0:1], v13, s[0:3], s4 offen
	s_movk_i32 s4, 0x200
	;;#ASMSTART
	s_nop 0
	;;#ASMEND
	buffer_store_b64 v[2:3], v13, s[0:3], s4 offen
	;;#ASMSTART
	s_nop 0
	;;#ASMEND
.LBB106_44:
	s_nop 0
	s_sendmsg sendmsg(MSG_DEALLOC_VGPRS)
	s_endpgm
.LBB106_45:
                                        ; implicit-def: $vgpr1_vgpr2
	s_branch .LBB106_32
	.section	.rodata,"a",@progbits
	.p2align	6, 0x0
	.amdhsa_kernel _ZN5aiter24add_rmsnorm_quant_kernelItaLi256ELi24ELb0ELb1ELb1ELi1EEEvPT0_PT_PfS4_S4_S4_diiiiiiib
		.amdhsa_group_segment_fixed_size 64
		.amdhsa_private_segment_fixed_size 0
		.amdhsa_kernarg_size 88
		.amdhsa_user_sgpr_count 15
		.amdhsa_user_sgpr_dispatch_ptr 0
		.amdhsa_user_sgpr_queue_ptr 0
		.amdhsa_user_sgpr_kernarg_segment_ptr 1
		.amdhsa_user_sgpr_dispatch_id 0
		.amdhsa_user_sgpr_private_segment_size 0
		.amdhsa_wavefront_size32 1
		.amdhsa_uses_dynamic_stack 0
		.amdhsa_enable_private_segment 0
		.amdhsa_system_sgpr_workgroup_id_x 1
		.amdhsa_system_sgpr_workgroup_id_y 0
		.amdhsa_system_sgpr_workgroup_id_z 0
		.amdhsa_system_sgpr_workgroup_info 0
		.amdhsa_system_vgpr_workitem_id 0
		.amdhsa_next_free_vgpr 59
		.amdhsa_next_free_sgpr 29
		.amdhsa_reserve_vcc 1
		.amdhsa_float_round_mode_32 0
		.amdhsa_float_round_mode_16_64 0
		.amdhsa_float_denorm_mode_32 3
		.amdhsa_float_denorm_mode_16_64 3
		.amdhsa_dx10_clamp 1
		.amdhsa_ieee_mode 1
		.amdhsa_fp16_overflow 0
		.amdhsa_workgroup_processor_mode 1
		.amdhsa_memory_ordered 1
		.amdhsa_forward_progress 0
		.amdhsa_shared_vgpr_count 0
		.amdhsa_exception_fp_ieee_invalid_op 0
		.amdhsa_exception_fp_denorm_src 0
		.amdhsa_exception_fp_ieee_div_zero 0
		.amdhsa_exception_fp_ieee_overflow 0
		.amdhsa_exception_fp_ieee_underflow 0
		.amdhsa_exception_fp_ieee_inexact 0
		.amdhsa_exception_int_div_zero 0
	.end_amdhsa_kernel
	.section	.text._ZN5aiter24add_rmsnorm_quant_kernelItaLi256ELi24ELb0ELb1ELb1ELi1EEEvPT0_PT_PfS4_S4_S4_diiiiiiib,"axG",@progbits,_ZN5aiter24add_rmsnorm_quant_kernelItaLi256ELi24ELb0ELb1ELb1ELi1EEEvPT0_PT_PfS4_S4_S4_diiiiiiib,comdat
.Lfunc_end106:
	.size	_ZN5aiter24add_rmsnorm_quant_kernelItaLi256ELi24ELb0ELb1ELb1ELi1EEEvPT0_PT_PfS4_S4_S4_diiiiiiib, .Lfunc_end106-_ZN5aiter24add_rmsnorm_quant_kernelItaLi256ELi24ELb0ELb1ELb1ELi1EEEvPT0_PT_PfS4_S4_S4_diiiiiiib
                                        ; -- End function
	.section	.AMDGPU.csdata,"",@progbits
; Kernel info:
; codeLenInByte = 4652
; NumSgprs: 31
; NumVgprs: 59
; ScratchSize: 0
; MemoryBound: 0
; FloatMode: 240
; IeeeMode: 1
; LDSByteSize: 64 bytes/workgroup (compile time only)
; SGPRBlocks: 3
; VGPRBlocks: 7
; NumSGPRsForWavesPerEU: 31
; NumVGPRsForWavesPerEU: 59
; Occupancy: 16
; WaveLimiterHint : 0
; COMPUTE_PGM_RSRC2:SCRATCH_EN: 0
; COMPUTE_PGM_RSRC2:USER_SGPR: 15
; COMPUTE_PGM_RSRC2:TRAP_HANDLER: 0
; COMPUTE_PGM_RSRC2:TGID_X_EN: 1
; COMPUTE_PGM_RSRC2:TGID_Y_EN: 0
; COMPUTE_PGM_RSRC2:TGID_Z_EN: 0
; COMPUTE_PGM_RSRC2:TIDIG_COMP_CNT: 0
	.section	.text._ZN5aiter24add_rmsnorm_quant_kernelIDF16_aLi256ELi24ELb0ELb1ELb0ELi1EEEvPT0_PT_PfS4_S4_S4_diiiiiiib,"axG",@progbits,_ZN5aiter24add_rmsnorm_quant_kernelIDF16_aLi256ELi24ELb0ELb1ELb0ELi1EEEvPT0_PT_PfS4_S4_S4_diiiiiiib,comdat
	.protected	_ZN5aiter24add_rmsnorm_quant_kernelIDF16_aLi256ELi24ELb0ELb1ELb0ELi1EEEvPT0_PT_PfS4_S4_S4_diiiiiiib ; -- Begin function _ZN5aiter24add_rmsnorm_quant_kernelIDF16_aLi256ELi24ELb0ELb1ELb0ELi1EEEvPT0_PT_PfS4_S4_S4_diiiiiiib
	.globl	_ZN5aiter24add_rmsnorm_quant_kernelIDF16_aLi256ELi24ELb0ELb1ELb0ELi1EEEvPT0_PT_PfS4_S4_S4_diiiiiiib
	.p2align	8
	.type	_ZN5aiter24add_rmsnorm_quant_kernelIDF16_aLi256ELi24ELb0ELb1ELb0ELi1EEEvPT0_PT_PfS4_S4_S4_diiiiiiib,@function
_ZN5aiter24add_rmsnorm_quant_kernelIDF16_aLi256ELi24ELb0ELb1ELb0ELi1EEEvPT0_PT_PfS4_S4_S4_diiiiiiib: ; @_ZN5aiter24add_rmsnorm_quant_kernelIDF16_aLi256ELi24ELb0ELb1ELb0ELi1EEEvPT0_PT_PfS4_S4_S4_diiiiiiib
; %bb.0:
	s_load_b128 s[4:7], s[0:1], 0x38
	s_mov_b32 s20, s15
	s_mov_b32 s21, 0
	s_waitcnt lgkmcnt(0)
	s_ashr_i32 s3, s4, 31
	s_mov_b32 s2, s4
	s_delay_alu instid0(SALU_CYCLE_1) | instskip(NEXT) | instid1(VALU_DEP_1)
	v_cmp_ge_i64_e64 s2, s[20:21], s[2:3]
	s_and_b32 vcc_lo, exec_lo, s2
	s_cbranch_vccnz .LBB107_44
; %bb.1:
	s_clause 0x1
	s_load_b128 s[8:11], s[0:1], 0x10
	s_load_b128 s[16:19], s[0:1], 0x28
	s_ashr_i32 s2, s6, 31
	s_mul_hi_u32 s3, s6, s20
	s_mul_i32 s7, s2, s20
	s_mul_i32 s2, s6, s20
	s_add_i32 s3, s3, s7
	v_mul_u32_u24_e32 v1, 48, v0
	s_lshl_b64 s[2:3], s[2:3], 1
	s_mov_b32 s15, -1
	v_and_b32_e32 v39, 31, v0
	s_mov_b32 s27, s15
	s_waitcnt lgkmcnt(0)
	s_add_u32 s12, s10, s2
	s_addc_u32 s2, s11, s3
	s_add_i32 s3, s5, 1
	s_and_b32 s13, s2, 0xffff
	s_lshr_b32 s6, s3, 31
	s_mov_b32 s24, s16
	s_add_i32 s3, s3, s6
	s_and_b32 s25, s17, 0xffff
	s_lshl_b32 s3, s3, 1
	v_cmp_eq_u32_e64 s2, 31, v39
	s_and_b32 s14, s3, -4
	s_clause 0x2
	buffer_load_b128 v[17:20], v1, s[12:15], 0 offen
	buffer_load_b128 v[21:24], v1, s[12:15], 16 offen
	;; [unrolled: 1-line block ×3, first 2 shown]
	s_mov_b32 s26, s14
	s_clause 0x2
	buffer_load_b128 v[9:12], v1, s[24:27], 0 offen
	buffer_load_b128 v[5:8], v1, s[24:27], 16 offen
	;; [unrolled: 1-line block ×3, first 2 shown]
	s_waitcnt vmcnt(5)
	v_lshrrev_b32_e32 v13, 16, v17
	v_lshrrev_b32_e32 v14, 16, v18
	v_cvt_f32_f16_e32 v16, v18
	v_lshrrev_b32_e32 v29, 16, v19
	v_lshrrev_b32_e32 v30, 16, v20
	v_cvt_f32_f16_e32 v15, v13
	v_cvt_f32_f16_e32 v38, v14
	s_waitcnt vmcnt(4)
	v_lshrrev_b32_e32 v31, 16, v21
	v_lshrrev_b32_e32 v33, 16, v22
	;; [unrolled: 1-line block ×3, first 2 shown]
	v_mul_f32_e32 v13, v15, v15
	s_waitcnt vmcnt(3)
	v_lshrrev_b32_e32 v41, 16, v25
	v_lshrrev_b32_e32 v42, 16, v26
	;; [unrolled: 1-line block ×3, first 2 shown]
	v_cvt_f32_f16_e32 v37, v29
	v_fma_mix_f32 v13, v17, v17, v13 op_sel_hi:[1,1,0]
	v_cvt_f32_f16_e32 v17, v17
	v_cvt_f32_f16_e32 v35, v30
	v_cvt_f32_f16_e32 v36, v31
	v_cvt_f32_f16_e32 v30, v42
	v_fma_mix_f32 v13, v18, v18, v13 op_sel_hi:[1,1,0]
	v_cvt_f32_f16_e32 v29, v43
	s_delay_alu instid0(VALU_DEP_2) | instskip(SKIP_1) | instid1(VALU_DEP_2)
	v_fma_mix_f32 v13, v18, v18, v13 op_sel:[1,1,0] op_sel_hi:[1,1,0]
	v_cvt_f32_f16_e32 v18, v19
	v_fma_mix_f32 v13, v19, v19, v13 op_sel_hi:[1,1,0]
	s_delay_alu instid0(VALU_DEP_1) | instskip(SKIP_1) | instid1(VALU_DEP_2)
	v_fma_mix_f32 v13, v19, v19, v13 op_sel:[1,1,0] op_sel_hi:[1,1,0]
	v_cvt_f32_f16_e32 v19, v20
	v_fma_mix_f32 v13, v20, v20, v13 op_sel_hi:[1,1,0]
	s_delay_alu instid0(VALU_DEP_1) | instskip(SKIP_1) | instid1(VALU_DEP_2)
	;; [unrolled: 4-line block ×5, first 2 shown]
	v_fma_mix_f32 v13, v23, v23, v13 op_sel:[1,1,0] op_sel_hi:[1,1,0]
	v_cvt_f32_f16_e32 v23, v24
	v_fma_mix_f32 v13, v24, v24, v13 op_sel_hi:[1,1,0]
	s_delay_alu instid0(VALU_DEP_1) | instskip(NEXT) | instid1(VALU_DEP_1)
	v_fma_mix_f32 v13, v24, v24, v13 op_sel:[1,1,0] op_sel_hi:[1,1,0]
	v_fma_mix_f32 v13, v25, v25, v13 op_sel_hi:[1,1,0]
	s_delay_alu instid0(VALU_DEP_1) | instskip(NEXT) | instid1(VALU_DEP_1)
	v_fma_mix_f32 v13, v25, v25, v13 op_sel:[1,1,0] op_sel_hi:[1,1,0]
	;; [unrolled: 3-line block ×5, first 2 shown]
	v_mov_b32_dpp v32, v13 quad_perm:[1,0,3,2] row_mask:0xf bank_mask:0xf
	s_delay_alu instid0(VALU_DEP_1)
	v_add_f32_e32 v13, v13, v32
	v_lshrrev_b32_e32 v32, 16, v24
	v_cvt_f32_f16_e32 v24, v25
	v_cvt_f32_f16_e32 v25, v26
	;; [unrolled: 1-line block ×3, first 2 shown]
	v_mov_b32_dpp v34, v13 quad_perm:[2,3,0,1] row_mask:0xf bank_mask:0xf
	v_cvt_f32_f16_e32 v27, v28
	v_lshrrev_b32_e32 v28, 16, v28
	v_cvt_f32_f16_e32 v31, v32
	v_cvt_f32_f16_e32 v32, v41
	v_add_f32_e32 v13, v13, v34
	v_cvt_f32_f16_e32 v34, v33
	v_cvt_f32_f16_e32 v33, v40
	v_cvt_f32_f16_e32 v28, v28
	s_delay_alu instid0(VALU_DEP_4) | instskip(NEXT) | instid1(VALU_DEP_1)
	v_mov_b32_dpp v14, v13 row_xmask:7 row_mask:0xf bank_mask:0xf
	v_add_f32_e32 v13, v13, v14
	s_delay_alu instid0(VALU_DEP_1)
	v_mov_b32_dpp v14, v13 row_xmask:15 row_mask:0xf bank_mask:0xf
	s_and_saveexec_b32 s3, s2
	s_cbranch_execz .LBB107_3
; %bb.2:
	s_delay_alu instid0(VALU_DEP_1) | instskip(SKIP_2) | instid1(VALU_DEP_2)
	v_add_f32_e32 v13, v13, v14
	s_mov_b32 s6, 0x76543210
	v_lshrrev_b32_e32 v14, 3, v0
	v_permlanex16_b32 v39, v13, s6, 0xfedcba98 op_sel:[1,1]
	s_delay_alu instid0(VALU_DEP_1)
	v_dual_add_f32 v13, v13, v39 :: v_dual_and_b32 v14, 0x7c, v14
	ds_store_b32 v14, v13 offset:32
.LBB107_3:
	s_or_b32 exec_lo, exec_lo, s3
	v_and_b32_e32 v13, 7, v0
	s_waitcnt vmcnt(0) lgkmcnt(0)
	s_barrier
	buffer_gl0_inv
	v_cvt_f32_i32_e32 v40, s5
	v_lshlrev_b32_e32 v14, 2, v13
	v_cvt_f32_f16_e32 v45, v6
	v_lshrrev_b32_e32 v6, 16, v6
	v_cvt_f32_f16_e32 v46, v7
	v_lshrrev_b32_e32 v7, 16, v7
	ds_load_b32 v13, v14 offset:32
	v_cvt_f32_f16_e32 v50, v3
	v_lshrrev_b32_e32 v3, 16, v3
	v_cvt_f32_f16_e32 v6, v6
	v_cvt_f32_f16_e32 v7, v7
	;; [unrolled: 1-line block ×3, first 2 shown]
	v_lshrrev_b32_e32 v8, 16, v8
	v_cvt_f32_f16_e32 v49, v2
	v_lshrrev_b32_e32 v2, 16, v2
	v_cvt_f32_f16_e32 v3, v3
	s_clause 0x1
	s_load_b64 s[6:7], s[0:1], 0x4c
	s_load_b32 s10, s[0:1], 0x54
	v_cvt_f32_f16_e32 v8, v8
	v_cvt_f32_f16_e32 v51, v4
	;; [unrolled: 1-line block ×3, first 2 shown]
	v_lshrrev_b32_e32 v4, 16, v4
	v_mov_b32_e32 v52, 0x2edbe6ff
	s_delay_alu instid0(VALU_DEP_2) | instskip(SKIP_2) | instid1(VALU_DEP_1)
	v_cvt_f32_f16_e32 v4, v4
	s_waitcnt lgkmcnt(0)
	v_mov_b32_dpp v39, v13 quad_perm:[1,0,3,2] row_mask:0xf bank_mask:0xf
	v_add_f32_e32 v13, v13, v39
	s_cmp_lg_u32 s7, 0
	s_delay_alu instid0(VALU_DEP_1) | instskip(NEXT) | instid1(VALU_DEP_1)
	v_mov_b32_dpp v39, v13 quad_perm:[2,3,0,1] row_mask:0xf bank_mask:0xf
	v_add_f32_e32 v13, v13, v39
	s_delay_alu instid0(VALU_DEP_1) | instskip(NEXT) | instid1(VALU_DEP_1)
	v_mov_b32_dpp v39, v13 row_xmask:7 row_mask:0xf bank_mask:0xf
	v_add_f32_e32 v13, v13, v39
	s_delay_alu instid0(VALU_DEP_1) | instskip(SKIP_1) | instid1(VALU_DEP_2)
	v_div_scale_f32 v39, null, v40, v40, v13
	v_div_scale_f32 v43, vcc_lo, v13, v40, v13
	v_rcp_f32_e32 v41, v39
	s_waitcnt_depctr 0xfff
	v_fma_f32 v42, -v39, v41, 1.0
	s_delay_alu instid0(VALU_DEP_1) | instskip(NEXT) | instid1(VALU_DEP_1)
	v_fmac_f32_e32 v41, v42, v41
	v_mul_f32_e32 v42, v43, v41
	s_delay_alu instid0(VALU_DEP_1) | instskip(NEXT) | instid1(VALU_DEP_1)
	v_fma_f32 v44, -v39, v42, v43
	v_fmac_f32_e32 v42, v44, v41
	v_cvt_f32_f16_e32 v44, v5
	v_lshrrev_b32_e32 v5, 16, v5
	s_delay_alu instid0(VALU_DEP_3) | instskip(SKIP_2) | instid1(VALU_DEP_4)
	v_fma_f32 v39, -v39, v42, v43
	v_cvt_f32_f16_e32 v43, v12
	v_lshrrev_b32_e32 v12, 16, v12
	v_cvt_f32_f16_e32 v5, v5
	s_delay_alu instid0(VALU_DEP_4)
	v_div_fmas_f32 v39, v39, v41, v42
	v_cvt_f32_f16_e32 v41, v10
	v_cvt_f32_f16_e32 v42, v11
	v_lshrrev_b32_e32 v10, 16, v10
	v_lshrrev_b32_e32 v11, 16, v11
	v_div_fixup_f32 v13, v39, v40, v13
	v_cvt_f32_f16_e32 v12, v12
	s_delay_alu instid0(VALU_DEP_4) | instskip(NEXT) | instid1(VALU_DEP_4)
	v_cvt_f32_f16_e32 v10, v10
	v_cvt_f32_f16_e32 v11, v11
	s_delay_alu instid0(VALU_DEP_4) | instskip(SKIP_1) | instid1(VALU_DEP_2)
	v_cvt_f64_f32_e32 v[39:40], v13
	v_mul_u32_u24_e32 v13, 24, v0
	v_add_f64 v[39:40], v[39:40], s[18:19]
	s_delay_alu instid0(VALU_DEP_1) | instskip(SKIP_2) | instid1(VALU_DEP_1)
	v_cvt_f32_f64_e32 v39, v[39:40]
	v_cvt_f32_f16_e32 v40, v9
	v_lshrrev_b32_e32 v9, 16, v9
	v_cvt_f32_f16_e32 v9, v9
	s_delay_alu instid0(VALU_DEP_4) | instskip(SKIP_1) | instid1(VALU_DEP_2)
	v_mul_f32_e32 v47, 0x4b800000, v39
	v_cmp_gt_f32_e32 vcc_lo, 0x800000, v39
	v_cndmask_b32_e32 v39, v39, v47, vcc_lo
	v_cvt_f32_f16_e32 v47, v1
	v_lshrrev_b32_e32 v1, 16, v1
	s_delay_alu instid0(VALU_DEP_3) | instskip(NEXT) | instid1(VALU_DEP_1)
	v_rsq_f32_e32 v39, v39
	v_cvt_f32_f16_e32 v1, v1
	s_waitcnt_depctr 0xfff
	v_mul_f32_e32 v53, 0x45800000, v39
	s_delay_alu instid0(VALU_DEP_1) | instskip(NEXT) | instid1(VALU_DEP_1)
	v_cndmask_b32_e32 v39, v39, v53, vcc_lo
	v_mul_f32_e32 v18, v39, v18
	v_mul_f32_e32 v56, v39, v24
	s_delay_alu instid0(VALU_DEP_2)
	v_mul_f32_e32 v24, v18, v42
	v_mul_f32_e32 v38, v39, v38
	;; [unrolled: 1-line block ×10, first 2 shown]
	v_dual_mul_f32 v17, v39, v17 :: v_dual_mul_f32 v20, v20, v44
	v_mul_f32_e32 v34, v39, v34
	v_mul_f32_e32 v18, v33, v7
	v_dual_mul_f32 v36, v39, v36 :: v_dual_mul_f32 v25, v37, v11
	v_mul_f32_e32 v54, v39, v22
	v_mul_f32_e32 v32, v39, v32
	;; [unrolled: 1-line block ×6, first 2 shown]
	v_dual_mul_f32 v27, v17, v40 :: v_dual_and_b32 v40, 0x7fffffff, v18
	v_dual_mul_f32 v26, v16, v41 :: v_dual_mul_f32 v11, v34, v6
	v_mul_f32_e32 v30, v39, v30
	v_dual_mul_f32 v35, v39, v35 :: v_dual_mul_f32 v10, v32, v1
	v_dual_mul_f32 v22, v19, v43 :: v_dual_mul_f32 v19, v36, v5
	v_dual_mul_f32 v55, v39, v23 :: v_dual_and_b32 v32, 0x7fffffff, v25
	v_dual_mul_f32 v16, v31, v8 :: v_dual_and_b32 v1, 0x7fffffff, v27
	s_delay_alu instid0(VALU_DEP_4)
	v_dual_mul_f32 v8, v30, v2 :: v_dual_mul_f32 v23, v35, v12
	v_and_b32_e32 v44, 0x7fffffff, v10
	v_and_b32_e32 v36, 0x7fffffff, v19
	v_mul_f32_e32 v6, v29, v3
	v_dual_mul_f32 v15, v39, v15 :: v_dual_mul_f32 v12, v53, v45
	v_dual_mul_f32 v39, v39, v28 :: v_dual_and_b32 v38, 0x7fffffff, v11
	v_dual_mul_f32 v7, v57, v49 :: v_dual_and_b32 v34, 0x7fffffff, v23
	s_delay_alu instid0(VALU_DEP_3) | instskip(SKIP_3) | instid1(VALU_DEP_4)
	v_dual_mul_f32 v28, v15, v9 :: v_dual_mul_f32 v5, v58, v50
	v_mul_f32_e32 v17, v54, v46
	v_and_b32_e32 v29, 0x7fffffff, v26
	v_and_b32_e32 v30, 0x7fffffff, v21
	;; [unrolled: 1-line block ×3, first 2 shown]
	;;#ASMSTART
	v_max3_f32 v1, v52, v1, v2

	;;#ASMEND
	;;#ASMSTART
	v_max3_f32 v1, v1, v29, v30

	;;#ASMEND
	v_dual_mul_f32 v15, v55, v48 :: v_dual_and_b32 v48, 0x7fffffff, v6
	v_and_b32_e32 v31, 0x7fffffff, v24
	;;#ASMSTART
	v_max3_f32 v1, v1, v31, v32

	;;#ASMEND
	v_dual_mul_f32 v9, v56, v47 :: v_dual_mul_f32 v4, v39, v4
	v_and_b32_e32 v33, 0x7fffffff, v22
	;;#ASMSTART
	v_max3_f32 v1, v1, v33, v34

	;;#ASMEND
	v_and_b32_e32 v35, 0x7fffffff, v20
	;;#ASMSTART
	v_max3_f32 v1, v1, v35, v36

	;;#ASMEND
	v_dual_mul_f32 v3, v59, v51 :: v_dual_and_b32 v42, 0x7fffffff, v16
	v_and_b32_e32 v37, 0x7fffffff, v12
	;;#ASMSTART
	v_max3_f32 v1, v1, v37, v38

	;;#ASMEND
	v_and_b32_e32 v39, 0x7fffffff, v17
	;;#ASMSTART
	v_max3_f32 v1, v1, v39, v40

	;;#ASMEND
	;; [unrolled: 5-line block ×4, first 2 shown]
	v_and_b32_e32 v45, 0x7fffffff, v7
	v_and_b32_e32 v46, 0x7fffffff, v8
	;;#ASMSTART
	v_max3_f32 v1, v1, v45, v46

	;;#ASMEND
	v_and_b32_e32 v47, 0x7fffffff, v5
	v_and_b32_e32 v49, 0x7fffffff, v3
	;; [unrolled: 1-line block ×3, first 2 shown]
	;;#ASMSTART
	v_max3_f32 v1, v1, v47, v48

	;;#ASMEND
	;;#ASMSTART
	v_max3_f32 v29, v1, v49, v50

	;;#ASMEND
	s_cbranch_scc0 .LBB107_10
; %bb.4:
	s_mul_hi_i32 s3, s7, 0x2aaaaaab
	s_delay_alu instid0(SALU_CYCLE_1) | instskip(SKIP_1) | instid1(SALU_CYCLE_1)
	s_lshr_b32 s11, s3, 31
	s_ashr_i32 s3, s3, 2
	s_add_i32 s3, s3, s11
	s_delay_alu instid0(SALU_CYCLE_1)
	s_cmp_lt_i32 s3, 8
	s_cbranch_scc1 .LBB107_11
; %bb.5:
	s_cmp_lt_i32 s3, 16
	s_cbranch_scc1 .LBB107_12
; %bb.6:
	s_cmp_lt_i32 s3, 32
	s_cbranch_scc1 .LBB107_13
; %bb.7:
	v_mov_b32_e32 v1, v29
	s_cmp_eq_u32 s3, 32
	s_cbranch_scc0 .LBB107_9
; %bb.8:
	s_delay_alu instid0(VALU_DEP_1) | instskip(SKIP_1) | instid1(VALU_DEP_1)
	v_mov_b32_dpp v1, v29 quad_perm:[1,0,3,2] row_mask:0xf bank_mask:0xf
	s_mov_b32 s11, 0x76543210
	v_cmp_gt_f32_e32 vcc_lo, v29, v1
	v_cndmask_b32_e32 v1, v1, v29, vcc_lo
	s_delay_alu instid0(VALU_DEP_1) | instskip(NEXT) | instid1(VALU_DEP_1)
	v_mov_b32_dpp v2, v1 quad_perm:[2,3,0,1] row_mask:0xf bank_mask:0xf
	v_cmp_gt_f32_e32 vcc_lo, v1, v2
	v_cndmask_b32_e32 v1, v2, v1, vcc_lo
	s_delay_alu instid0(VALU_DEP_1) | instskip(NEXT) | instid1(VALU_DEP_1)
	v_mov_b32_dpp v2, v1 row_xmask:7 row_mask:0xf bank_mask:0xf
	v_cmp_gt_f32_e32 vcc_lo, v1, v2
	v_cndmask_b32_e32 v1, v2, v1, vcc_lo
	s_delay_alu instid0(VALU_DEP_1) | instskip(NEXT) | instid1(VALU_DEP_1)
	v_mov_b32_dpp v2, v1 row_xmask:15 row_mask:0xf bank_mask:0xf
	v_cmp_gt_f32_e32 vcc_lo, v1, v2
	v_cndmask_b32_e32 v1, v2, v1, vcc_lo
	s_delay_alu instid0(VALU_DEP_1) | instskip(NEXT) | instid1(VALU_DEP_1)
	v_permlanex16_b32 v2, v1, s11, 0xfedcba98 op_sel:[1,1]
	v_cmp_gt_f32_e32 vcc_lo, v1, v2
	v_cndmask_b32_e32 v1, v2, v1, vcc_lo
.LBB107_9:
	s_mov_b32 s11, 0
	s_branch .LBB107_14
.LBB107_10:
	s_mov_b32 s3, 0
                                        ; implicit-def: $vgpr30
                                        ; implicit-def: $vgpr1_vgpr2
	s_and_b32 vcc_lo, exec_lo, s15
	s_cbranch_vccnz .LBB107_38
	s_branch .LBB107_41
.LBB107_11:
                                        ; implicit-def: $vgpr1
	s_branch .LBB107_21
.LBB107_12:
                                        ; implicit-def: $vgpr1
	s_branch .LBB107_18
.LBB107_13:
	s_mov_b32 s11, -1
                                        ; implicit-def: $vgpr1
.LBB107_14:
	s_delay_alu instid0(SALU_CYCLE_1)
	s_and_not1_b32 vcc_lo, exec_lo, s11
	s_cbranch_vccnz .LBB107_17
; %bb.15:
	v_mov_b32_e32 v1, v29
	s_cmp_eq_u32 s3, 16
	s_cbranch_scc0 .LBB107_17
; %bb.16:
	s_delay_alu instid0(VALU_DEP_1) | instskip(NEXT) | instid1(VALU_DEP_1)
	v_mov_b32_dpp v1, v29 quad_perm:[1,0,3,2] row_mask:0xf bank_mask:0xf
	v_cmp_gt_f32_e32 vcc_lo, v29, v1
	v_cndmask_b32_e32 v1, v1, v29, vcc_lo
	s_delay_alu instid0(VALU_DEP_1) | instskip(NEXT) | instid1(VALU_DEP_1)
	v_mov_b32_dpp v2, v1 quad_perm:[2,3,0,1] row_mask:0xf bank_mask:0xf
	v_cmp_gt_f32_e32 vcc_lo, v1, v2
	v_cndmask_b32_e32 v1, v2, v1, vcc_lo
	s_delay_alu instid0(VALU_DEP_1) | instskip(NEXT) | instid1(VALU_DEP_1)
	v_mov_b32_dpp v2, v1 row_half_mirror row_mask:0xf bank_mask:0xf
	v_cmp_gt_f32_e32 vcc_lo, v1, v2
	v_cndmask_b32_e32 v1, v2, v1, vcc_lo
	s_delay_alu instid0(VALU_DEP_1) | instskip(NEXT) | instid1(VALU_DEP_1)
	v_mov_b32_dpp v2, v1 row_mirror row_mask:0xf bank_mask:0xf
	v_cmp_gt_f32_e32 vcc_lo, v1, v2
	v_cndmask_b32_e32 v1, v2, v1, vcc_lo
.LBB107_17:
	s_cbranch_execnz .LBB107_20
.LBB107_18:
	v_mov_b32_e32 v1, v29
	s_cmp_eq_u32 s3, 8
	s_cbranch_scc0 .LBB107_20
; %bb.19:
	s_delay_alu instid0(VALU_DEP_1) | instskip(NEXT) | instid1(VALU_DEP_1)
	v_mov_b32_dpp v1, v29 quad_perm:[1,0,3,2] row_mask:0xf bank_mask:0xf
	v_cmp_gt_f32_e32 vcc_lo, v29, v1
	v_cndmask_b32_e32 v1, v1, v29, vcc_lo
	s_delay_alu instid0(VALU_DEP_1) | instskip(NEXT) | instid1(VALU_DEP_1)
	v_mov_b32_dpp v2, v1 quad_perm:[2,3,0,1] row_mask:0xf bank_mask:0xf
	v_cmp_gt_f32_e32 vcc_lo, v1, v2
	v_cndmask_b32_e32 v1, v2, v1, vcc_lo
	s_delay_alu instid0(VALU_DEP_1) | instskip(NEXT) | instid1(VALU_DEP_1)
	v_mov_b32_dpp v2, v1 row_half_mirror row_mask:0xf bank_mask:0xf
	v_cmp_gt_f32_e32 vcc_lo, v1, v2
	v_cndmask_b32_e32 v1, v2, v1, vcc_lo
.LBB107_20:
	s_cbranch_execnz .LBB107_28
.LBB107_21:
	s_cmp_lt_i32 s3, 4
	s_cbranch_scc1 .LBB107_24
; %bb.22:
	v_mov_b32_e32 v1, v29
	s_cmp_eq_u32 s3, 4
	s_cbranch_scc0 .LBB107_25
; %bb.23:
	s_delay_alu instid0(VALU_DEP_1) | instskip(NEXT) | instid1(VALU_DEP_1)
	v_mov_b32_dpp v1, v29 quad_perm:[1,0,3,2] row_mask:0xf bank_mask:0xf
	v_cmp_gt_f32_e32 vcc_lo, v29, v1
	v_cndmask_b32_e32 v1, v1, v29, vcc_lo
	s_delay_alu instid0(VALU_DEP_1) | instskip(NEXT) | instid1(VALU_DEP_1)
	v_mov_b32_dpp v2, v1 quad_perm:[2,3,0,1] row_mask:0xf bank_mask:0xf
	v_cmp_gt_f32_e32 vcc_lo, v1, v2
	v_cndmask_b32_e32 v1, v2, v1, vcc_lo
	s_cbranch_execz .LBB107_26
	s_branch .LBB107_28
.LBB107_24:
                                        ; implicit-def: $vgpr1
	s_branch .LBB107_26
.LBB107_25:
	s_cbranch_execnz .LBB107_28
.LBB107_26:
	v_mov_b32_e32 v1, v29
	s_cmp_lg_u32 s3, 2
	s_cbranch_scc1 .LBB107_28
; %bb.27:
	s_delay_alu instid0(VALU_DEP_1) | instskip(NEXT) | instid1(VALU_DEP_1)
	v_mov_b32_dpp v1, v29 quad_perm:[1,0,3,2] row_mask:0xf bank_mask:0xf
	v_cmp_gt_f32_e32 vcc_lo, v29, v1
	v_cndmask_b32_e32 v1, v1, v29, vcc_lo
.LBB107_28:
	v_cvt_f32_u32_e32 v2, s3
	s_sub_i32 s11, 0, s3
	s_mov_b32 s15, 0
	s_delay_alu instid0(VALU_DEP_1) | instskip(SKIP_2) | instid1(VALU_DEP_1)
	v_rcp_iflag_f32_e32 v2, v2
	s_waitcnt_depctr 0xfff
	v_mul_f32_e32 v2, 0x4f7ffffe, v2
	v_cvt_u32_f32_e32 v2, v2
	s_delay_alu instid0(VALU_DEP_1) | instskip(NEXT) | instid1(VALU_DEP_1)
	v_mul_lo_u32 v30, s11, v2
	v_mul_hi_u32 v30, v2, v30
	s_delay_alu instid0(VALU_DEP_1) | instskip(NEXT) | instid1(VALU_DEP_1)
	v_add_nc_u32_e32 v2, v2, v30
	v_mul_hi_u32 v2, v0, v2
	s_delay_alu instid0(VALU_DEP_1) | instskip(NEXT) | instid1(VALU_DEP_1)
	v_mul_lo_u32 v30, v2, s3
	v_sub_nc_u32_e32 v30, v0, v30
	s_delay_alu instid0(VALU_DEP_1) | instskip(SKIP_1) | instid1(VALU_DEP_2)
	v_subrev_nc_u32_e32 v32, s3, v30
	v_cmp_le_u32_e32 vcc_lo, s3, v30
	v_dual_cndmask_b32 v30, v30, v32 :: v_dual_add_nc_u32 v31, 1, v2
	s_delay_alu instid0(VALU_DEP_1) | instskip(NEXT) | instid1(VALU_DEP_2)
	v_cndmask_b32_e32 v2, v2, v31, vcc_lo
	v_cmp_le_u32_e32 vcc_lo, s3, v30
	s_delay_alu instid0(VALU_DEP_2) | instskip(NEXT) | instid1(VALU_DEP_1)
	v_dual_mul_f32 v30, 0x3c010204, v1 :: v_dual_add_nc_u32 v31, 1, v2
	v_cndmask_b32_e32 v31, v2, v31, vcc_lo
	v_cmp_gt_u32_e32 vcc_lo, s5, v13
	s_delay_alu instid0(VALU_DEP_2) | instskip(NEXT) | instid1(VALU_DEP_1)
	v_mul_lo_u32 v2, v31, s3
	v_sub_nc_u32_e32 v2, v0, v2
	s_delay_alu instid0(VALU_DEP_1) | instskip(NEXT) | instid1(VALU_DEP_1)
	v_cmp_eq_u32_e64 s3, 0, v2
                                        ; implicit-def: $vgpr1_vgpr2
	s_and_b32 s11, s3, vcc_lo
	s_mov_b32 s3, 0
	s_and_saveexec_b32 s12, s11
	s_delay_alu instid0(SALU_CYCLE_1)
	s_xor_b32 s14, exec_lo, s12
	s_cbranch_execz .LBB107_37
; %bb.29:
	s_bitcmp0_b32 s10, 0
	s_mov_b32 s16, 0
	s_cbranch_scc0 .LBB107_34
; %bb.30:
	s_ashr_i32 s3, s5, 31
	s_mul_hi_u32 s10, s5, s20
	s_mul_i32 s3, s3, s20
	s_mul_i32 s12, s5, s20
	s_add_i32 s13, s10, s3
	s_ashr_i32 s11, s7, 31
	s_mov_b32 s10, s7
	s_delay_alu instid0(SALU_CYCLE_1) | instskip(NEXT) | instid1(SALU_CYCLE_1)
	s_or_b64 s[18:19], s[12:13], s[10:11]
	s_mov_b32 s17, s19
	s_delay_alu instid0(SALU_CYCLE_1)
	s_cmp_lg_u64 s[16:17], 0
	s_cbranch_scc0 .LBB107_45
; %bb.31:
	s_add_u32 s18, s10, s11
	s_mov_b32 s16, s11
	s_mov_b32 s17, s11
	s_addc_u32 s19, s11, s11
	s_delay_alu instid0(SALU_CYCLE_1) | instskip(NEXT) | instid1(SALU_CYCLE_1)
	s_xor_b64 s[18:19], s[18:19], s[16:17]
	v_cvt_f32_u32_e32 v1, s18
	v_cvt_f32_u32_e32 v2, s19
	s_sub_u32 s11, 0, s18
	s_subb_u32 s22, 0, s19
	s_delay_alu instid0(VALU_DEP_1) | instskip(NEXT) | instid1(VALU_DEP_1)
	v_fmamk_f32 v1, v2, 0x4f800000, v1
	v_rcp_f32_e32 v1, v1
	s_waitcnt_depctr 0xfff
	v_mul_f32_e32 v1, 0x5f7ffffc, v1
	s_delay_alu instid0(VALU_DEP_1) | instskip(NEXT) | instid1(VALU_DEP_1)
	v_mul_f32_e32 v2, 0x2f800000, v1
	v_trunc_f32_e32 v2, v2
	s_delay_alu instid0(VALU_DEP_1) | instskip(SKIP_1) | instid1(VALU_DEP_2)
	v_fmamk_f32 v1, v2, 0xcf800000, v1
	v_cvt_u32_f32_e32 v2, v2
	v_cvt_u32_f32_e32 v1, v1
	s_delay_alu instid0(VALU_DEP_2) | instskip(NEXT) | instid1(VALU_DEP_2)
	v_readfirstlane_b32 s3, v2
	v_readfirstlane_b32 s7, v1
	s_delay_alu instid0(VALU_DEP_2) | instskip(NEXT) | instid1(VALU_DEP_1)
	s_mul_i32 s23, s11, s3
	s_mul_hi_u32 s25, s11, s7
	s_mul_i32 s24, s22, s7
	s_add_i32 s23, s25, s23
	s_mul_i32 s26, s11, s7
	s_add_i32 s23, s23, s24
	s_mul_hi_u32 s25, s7, s26
	s_mul_hi_u32 s27, s3, s26
	s_mul_i32 s24, s3, s26
	s_mul_hi_u32 s26, s7, s23
	s_mul_i32 s7, s7, s23
	s_mul_hi_u32 s28, s3, s23
	s_add_u32 s7, s25, s7
	s_addc_u32 s25, 0, s26
	s_add_u32 s7, s7, s24
	s_mul_i32 s23, s3, s23
	s_addc_u32 s7, s25, s27
	s_addc_u32 s24, s28, 0
	s_add_u32 s7, s7, s23
	s_addc_u32 s23, 0, s24
	v_add_co_u32 v1, s7, v1, s7
	s_delay_alu instid0(VALU_DEP_1) | instskip(SKIP_1) | instid1(VALU_DEP_1)
	s_cmp_lg_u32 s7, 0
	s_addc_u32 s3, s3, s23
	v_readfirstlane_b32 s7, v1
	s_mul_i32 s23, s11, s3
	s_delay_alu instid0(VALU_DEP_1)
	s_mul_hi_u32 s24, s11, s7
	s_mul_i32 s22, s22, s7
	s_add_i32 s23, s24, s23
	s_mul_i32 s11, s11, s7
	s_add_i32 s23, s23, s22
	s_mul_hi_u32 s24, s3, s11
	s_mul_i32 s25, s3, s11
	s_mul_hi_u32 s11, s7, s11
	s_mul_hi_u32 s26, s7, s23
	s_mul_i32 s7, s7, s23
	s_mul_hi_u32 s22, s3, s23
	s_add_u32 s7, s11, s7
	s_addc_u32 s11, 0, s26
	s_add_u32 s7, s7, s25
	s_mul_i32 s23, s3, s23
	s_addc_u32 s7, s11, s24
	s_addc_u32 s11, s22, 0
	s_add_u32 s7, s7, s23
	s_addc_u32 s11, 0, s11
	v_add_co_u32 v1, s7, v1, s7
	s_delay_alu instid0(VALU_DEP_1) | instskip(SKIP_2) | instid1(VALU_DEP_1)
	s_cmp_lg_u32 s7, 0
	s_addc_u32 s3, s3, s11
	s_ashr_i32 s22, s13, 31
	v_readfirstlane_b32 s7, v1
	s_add_u32 s24, s12, s22
	s_mov_b32 s23, s22
	s_addc_u32 s25, s13, s22
	s_delay_alu instid0(SALU_CYCLE_1) | instskip(NEXT) | instid1(SALU_CYCLE_1)
	s_xor_b64 s[24:25], s[24:25], s[22:23]
	s_mul_i32 s13, s24, s3
	s_mul_hi_u32 s26, s24, s7
	s_mul_hi_u32 s11, s24, s3
	;; [unrolled: 1-line block ×3, first 2 shown]
	s_mul_i32 s7, s25, s7
	s_add_u32 s13, s26, s13
	s_addc_u32 s11, 0, s11
	s_mul_hi_u32 s27, s25, s3
	s_add_u32 s7, s13, s7
	s_mul_i32 s3, s25, s3
	s_addc_u32 s7, s11, s28
	s_addc_u32 s11, s27, 0
	s_add_u32 s7, s7, s3
	s_addc_u32 s11, 0, s11
	s_mul_i32 s27, s18, s7
	s_mul_hi_u32 s3, s18, s7
	s_mul_i32 s26, s18, s11
	v_sub_co_u32 v1, s24, s24, s27
	s_mul_i32 s13, s19, s7
	s_add_i32 s3, s3, s26
	s_delay_alu instid0(SALU_CYCLE_1) | instskip(NEXT) | instid1(VALU_DEP_1)
	s_add_i32 s3, s3, s13
	v_sub_co_u32 v2, s26, v1, s18
	s_sub_i32 s13, s25, s3
	s_cmp_lg_u32 s24, 0
	s_subb_u32 s13, s13, s19
	s_cmp_lg_u32 s26, 0
	v_cmp_le_u32_e32 vcc_lo, s18, v2
	s_subb_u32 s13, s13, 0
	s_delay_alu instid0(SALU_CYCLE_1)
	s_cmp_ge_u32 s13, s19
	v_cndmask_b32_e64 v2, 0, -1, vcc_lo
	s_cselect_b32 s26, -1, 0
	s_cmp_eq_u32 s13, s19
	s_cselect_b32 vcc_lo, -1, 0
	s_add_u32 s13, s7, 1
	v_cndmask_b32_e32 v2, s26, v2, vcc_lo
	s_addc_u32 s26, s11, 0
	s_add_u32 s27, s7, 2
	s_addc_u32 s28, s11, 0
	s_cmp_lg_u32 s24, 0
	v_cmp_le_u32_e32 vcc_lo, s18, v1
	s_subb_u32 s3, s25, s3
	v_mov_b32_e32 v32, s27
	s_cmp_ge_u32 s3, s19
	v_cndmask_b32_e64 v1, 0, -1, vcc_lo
	s_cselect_b32 s18, -1, 0
	s_cmp_eq_u32 s3, s19
	v_cmp_ne_u32_e32 vcc_lo, 0, v2
	v_mov_b32_e32 v2, s28
	s_cselect_b32 s3, -1, 0
	s_xor_b64 s[16:17], s[22:23], s[16:17]
	v_cndmask_b32_e64 v1, s18, v1, s3
	v_cndmask_b32_e32 v32, s13, v32, vcc_lo
	v_cndmask_b32_e32 v2, s26, v2, vcc_lo
	s_delay_alu instid0(VALU_DEP_3) | instskip(NEXT) | instid1(VALU_DEP_2)
	v_cmp_ne_u32_e32 vcc_lo, 0, v1
	v_cndmask_b32_e32 v1, s11, v2, vcc_lo
	s_delay_alu instid0(VALU_DEP_4) | instskip(NEXT) | instid1(VALU_DEP_2)
	v_cndmask_b32_e32 v2, s7, v32, vcc_lo
	v_xor_b32_e32 v32, s17, v1
	s_delay_alu instid0(VALU_DEP_2) | instskip(NEXT) | instid1(VALU_DEP_1)
	v_xor_b32_e32 v2, s16, v2
	v_sub_co_u32 v1, vcc_lo, v2, s16
	s_delay_alu instid0(VALU_DEP_3)
	v_subrev_co_ci_u32_e32 v2, vcc_lo, s17, v32, vcc_lo
	s_cbranch_execnz .LBB107_33
.LBB107_32:
	v_cvt_f32_u32_e32 v1, s10
	s_sub_i32 s7, 0, s10
	s_delay_alu instid0(VALU_DEP_1) | instskip(SKIP_2) | instid1(VALU_DEP_1)
	v_rcp_iflag_f32_e32 v1, v1
	s_waitcnt_depctr 0xfff
	v_mul_f32_e32 v1, 0x4f7ffffe, v1
	v_cvt_u32_f32_e32 v1, v1
	s_delay_alu instid0(VALU_DEP_1) | instskip(NEXT) | instid1(VALU_DEP_1)
	v_readfirstlane_b32 s3, v1
	s_mul_i32 s7, s7, s3
	s_delay_alu instid0(SALU_CYCLE_1) | instskip(NEXT) | instid1(SALU_CYCLE_1)
	s_mul_hi_u32 s7, s3, s7
	s_add_i32 s3, s3, s7
	s_delay_alu instid0(SALU_CYCLE_1) | instskip(NEXT) | instid1(SALU_CYCLE_1)
	s_mul_hi_u32 s3, s12, s3
	s_mul_i32 s7, s3, s10
	s_add_i32 s11, s3, 1
	s_sub_i32 s7, s12, s7
	s_delay_alu instid0(SALU_CYCLE_1)
	s_sub_i32 s12, s7, s10
	s_cmp_ge_u32 s7, s10
	s_cselect_b32 s3, s11, s3
	s_cselect_b32 s7, s12, s7
	s_add_i32 s12, s3, 1
	s_cmp_ge_u32 s7, s10
	s_mov_b32 s11, 0
	s_cselect_b32 s10, s12, s3
	s_delay_alu instid0(SALU_CYCLE_1)
	v_dual_mov_b32 v1, s10 :: v_dual_mov_b32 v2, s11
.LBB107_33:
	s_delay_alu instid0(VALU_DEP_1) | instskip(NEXT) | instid1(VALU_DEP_2)
	v_add_co_u32 v1, vcc_lo, v1, v31
	v_add_co_ci_u32_e32 v2, vcc_lo, 0, v2, vcc_lo
	s_branch .LBB107_36
.LBB107_34:
                                        ; implicit-def: $vgpr1_vgpr2
	s_cbranch_execz .LBB107_36
; %bb.35:
	v_mul_lo_u32 v1, v31, s4
	s_delay_alu instid0(VALU_DEP_1) | instskip(SKIP_1) | instid1(VALU_DEP_2)
	v_ashrrev_i32_e32 v2, 31, v1
	v_add_co_u32 v1, vcc_lo, v1, s20
	v_add_co_ci_u32_e32 v2, vcc_lo, 0, v2, vcc_lo
.LBB107_36:
	s_mov_b32 s3, exec_lo
.LBB107_37:
	s_or_b32 exec_lo, exec_lo, s14
	s_delay_alu instid0(SALU_CYCLE_1)
	s_and_b32 vcc_lo, exec_lo, s15
	s_cbranch_vccz .LBB107_41
.LBB107_38:
	v_mov_b32_dpp v1, v29 quad_perm:[1,0,3,2] row_mask:0xf bank_mask:0xf
	s_delay_alu instid0(VALU_DEP_1) | instskip(SKIP_1) | instid1(VALU_DEP_1)
	v_cmp_gt_f32_e32 vcc_lo, v29, v1
	v_cndmask_b32_e32 v1, v1, v29, vcc_lo
	v_mov_b32_dpp v2, v1 quad_perm:[2,3,0,1] row_mask:0xf bank_mask:0xf
	s_delay_alu instid0(VALU_DEP_1) | instskip(SKIP_1) | instid1(VALU_DEP_1)
	v_cmp_gt_f32_e32 vcc_lo, v1, v2
	v_cndmask_b32_e32 v1, v2, v1, vcc_lo
	v_mov_b32_dpp v2, v1 row_xmask:7 row_mask:0xf bank_mask:0xf
	s_delay_alu instid0(VALU_DEP_1) | instskip(SKIP_1) | instid1(VALU_DEP_1)
	v_cmp_gt_f32_e32 vcc_lo, v1, v2
	v_cndmask_b32_e32 v1, v2, v1, vcc_lo
	v_mov_b32_dpp v2, v1 row_xmask:15 row_mask:0xf bank_mask:0xf
	s_delay_alu instid0(VALU_DEP_1)
	v_cmp_gt_f32_e32 vcc_lo, v1, v2
	s_and_saveexec_b32 s3, s2
	s_cbranch_execz .LBB107_40
; %bb.39:
	v_cndmask_b32_e32 v1, v2, v1, vcc_lo
	v_lshrrev_b32_e32 v2, 3, v0
	s_mov_b32 s2, 0x76543210
	s_delay_alu instid0(VALU_DEP_1) | instskip(NEXT) | instid1(VALU_DEP_3)
	v_and_b32_e32 v2, 0x7c, v2
	v_permlanex16_b32 v29, v1, s2, 0xfedcba98 op_sel:[1,1]
	s_delay_alu instid0(VALU_DEP_1)
	v_cmp_gt_f32_e32 vcc_lo, v1, v29
	v_cndmask_b32_e32 v1, v29, v1, vcc_lo
	ds_store_b32 v2, v1
.LBB107_40:
	s_or_b32 exec_lo, exec_lo, s3
	s_waitcnt lgkmcnt(0)
	s_barrier
	buffer_gl0_inv
	ds_load_b32 v1, v14
	v_cmp_eq_u32_e64 s3, 0, v0
	s_waitcnt lgkmcnt(0)
	v_mov_b32_dpp v2, v1 quad_perm:[1,0,3,2] row_mask:0xf bank_mask:0xf
	s_delay_alu instid0(VALU_DEP_1) | instskip(SKIP_1) | instid1(VALU_DEP_1)
	v_cmp_gt_f32_e32 vcc_lo, v1, v2
	v_cndmask_b32_e32 v1, v2, v1, vcc_lo
	v_mov_b32_dpp v2, v1 quad_perm:[2,3,0,1] row_mask:0xf bank_mask:0xf
	s_delay_alu instid0(VALU_DEP_1) | instskip(SKIP_1) | instid1(VALU_DEP_1)
	v_cmp_gt_f32_e32 vcc_lo, v1, v2
	v_cndmask_b32_e32 v1, v2, v1, vcc_lo
	v_mov_b32_dpp v2, v1 row_xmask:7 row_mask:0xf bank_mask:0xf
	s_delay_alu instid0(VALU_DEP_1) | instskip(SKIP_1) | instid1(VALU_DEP_1)
	v_cmp_gt_f32_e32 vcc_lo, v1, v2
	v_cndmask_b32_e32 v1, v2, v1, vcc_lo
	v_dual_mul_f32 v30, 0x3c010204, v1 :: v_dual_mov_b32 v1, s20
	v_mov_b32_e32 v2, s21
.LBB107_41:
	s_and_saveexec_b32 s2, s3
	s_cbranch_execz .LBB107_43
; %bb.42:
	s_delay_alu instid0(VALU_DEP_1) | instskip(NEXT) | instid1(VALU_DEP_1)
	v_lshlrev_b64 v[0:1], 2, v[1:2]
	v_add_co_u32 v0, vcc_lo, s8, v0
	s_delay_alu instid0(VALU_DEP_2)
	v_add_co_ci_u32_e32 v1, vcc_lo, s9, v1, vcc_lo
	global_store_b32 v[0:1], v30, off
.LBB107_43:
	s_or_b32 exec_lo, exec_lo, s2
	;;#ASMSTART
	v_rcp_f32 v0, v30
	;;#ASMEND
	v_mul_f32_e32 v5, v5, v0
	v_mul_f32_e32 v17, v17, v0
	;; [unrolled: 1-line block ×5, first 2 shown]
	v_cvt_i32_f32_e32 v5, v5
	v_mul_f32_e32 v18, v18, v0
	v_cvt_i32_f32_e32 v17, v17
	v_mul_f32_e32 v14, v26, v0
	v_cvt_i32_f32_e32 v9, v9
	v_and_b32_e32 v5, 0xff, v5
	v_cvt_i32_f32_e32 v18, v18
	v_and_b32_e32 v17, 0xff, v17
	v_cvt_i32_f32_e32 v14, v14
	v_dual_mul_f32 v16, v16, v0 :: v_dual_and_b32 v9, 0xff, v9
	s_delay_alu instid0(VALU_DEP_4) | instskip(NEXT) | instid1(VALU_DEP_3)
	v_lshlrev_b16 v18, 8, v18
	v_dual_mul_f32 v25, v25, v0 :: v_dual_and_b32 v14, 0xff, v14
	s_delay_alu instid0(VALU_DEP_3) | instskip(SKIP_1) | instid1(VALU_DEP_4)
	v_cvt_i32_f32_e32 v16, v16
	v_cvt_i32_f32_e32 v15, v15
	v_or_b32_e32 v17, v17, v18
	v_mul_f32_e32 v22, v22, v0
	v_cvt_i32_f32_e32 v6, v6
	s_delay_alu instid0(VALU_DEP_4) | instskip(NEXT) | instid1(VALU_DEP_4)
	v_dual_mul_f32 v24, v24, v0 :: v_dual_and_b32 v15, 0xff, v15
	v_and_b32_e32 v17, 0xffff, v17
	s_delay_alu instid0(VALU_DEP_4)
	v_cvt_i32_f32_e32 v22, v22
	v_mul_f32_e32 v1, v27, v0
	v_lshlrev_b16 v16, 8, v16
	v_mul_f32_e32 v7, v7, v0
	v_lshlrev_b16 v6, 8, v6
	v_and_b32_e32 v22, 0xff, v22
	v_cvt_i32_f32_e32 v1, v1
	v_mul_f32_e32 v2, v28, v0
	v_mul_f32_e32 v23, v23, v0
	;; [unrolled: 1-line block ×4, first 2 shown]
	v_and_b32_e32 v1, 0xff, v1
	v_cvt_i32_f32_e32 v2, v2
	v_or_b32_e32 v15, v15, v16
	v_mul_f32_e32 v20, v20, v0
	v_mul_f32_e32 v8, v8, v0
	;; [unrolled: 1-line block ×3, first 2 shown]
	v_lshlrev_b16 v2, 8, v2
	v_lshlrev_b32_e32 v15, 16, v15
	v_or_b32_e32 v5, v5, v6
	v_mul_f32_e32 v10, v10, v0
	s_load_b64 s[0:1], s[0:1], 0x0
	v_or_b32_e32 v2, v1, v2
	v_mul_f32_e32 v21, v21, v0
	v_cvt_i32_f32_e32 v25, v25
	v_cvt_i32_f32_e32 v24, v24
	;; [unrolled: 1-line block ×3, first 2 shown]
	v_and_b32_e32 v2, 0xffff, v2
	v_cvt_i32_f32_e32 v21, v21
	v_cvt_i32_f32_e32 v20, v20
	;; [unrolled: 1-line block ×4, first 2 shown]
	v_and_b32_e32 v5, 0xffff, v5
	v_lshlrev_b16 v21, 8, v21
	v_cvt_i32_f32_e32 v10, v10
	v_lshlrev_b16 v25, 8, v25
	v_and_b32_e32 v24, 0xff, v24
	v_mul_f32_e32 v19, v19, v0
	v_or_b32_e32 v14, v14, v21
	v_mul_f32_e32 v0, v3, v0
	v_cvt_i32_f32_e32 v3, v7
	v_cvt_i32_f32_e32 v7, v8
	;; [unrolled: 1-line block ×3, first 2 shown]
	v_lshlrev_b32_e32 v14, 16, v14
	v_cvt_i32_f32_e32 v0, v0
	v_and_b32_e32 v3, 0xff, v3
	v_cvt_i32_f32_e32 v12, v12
	v_lshlrev_b16 v23, 8, v23
	v_lshlrev_b16 v19, 8, v19
	v_and_b32_e32 v20, 0xff, v20
	v_lshlrev_b16 v11, 8, v11
	v_and_b32_e32 v12, 0xff, v12
	;; [unrolled: 2-line block ×3, first 2 shown]
	v_lshlrev_b16 v8, 8, v10
	v_lshlrev_b16 v7, 8, v7
	v_or_b32_e32 v24, v24, v25
	v_or_b32_e32 v22, v22, v23
	;; [unrolled: 1-line block ×7, first 2 shown]
	s_add_i32 s2, s5, 3
	s_ashr_i32 s3, s6, 31
	s_mul_hi_u32 s4, s6, s20
	s_mul_i32 s5, s6, s20
	s_ashr_i32 s6, s2, 31
	v_and_b32_e32 v23, 0xffff, v24
	s_lshr_b32 s6, s6, 30
	v_lshlrev_b32_e32 v22, 16, v22
	v_and_b32_e32 v16, 0xffff, v16
	v_lshlrev_b32_e32 v6, 16, v10
	v_lshlrev_b32_e32 v7, 16, v0
	v_and_b32_e32 v4, 0xffff, v4
	v_lshlrev_b32_e32 v8, 16, v3
	s_mul_i32 s3, s3, s20
	s_add_i32 s2, s2, s6
	s_add_i32 s4, s4, s3
	s_and_b32 s2, s2, -4
	s_waitcnt lgkmcnt(0)
	s_add_u32 s0, s0, s5
	v_or_b32_e32 v1, v23, v22
	v_or_b32_e32 v0, v2, v14
	;; [unrolled: 1-line block ×6, first 2 shown]
	s_addc_u32 s1, s1, s4
	s_mov_b32 s3, -1
	s_and_b32 s1, s1, 0xffff
	buffer_store_b64 v[0:1], v13, s[0:3], 0 offen
	;;#ASMSTART
	s_nop 0
	;;#ASMEND
	buffer_store_b64 v[2:3], v13, s[0:3], 8 offen
	;;#ASMSTART
	s_nop 0
	;;#ASMEND
	;; [unrolled: 4-line block ×3, first 2 shown]
.LBB107_44:
	s_nop 0
	s_sendmsg sendmsg(MSG_DEALLOC_VGPRS)
	s_endpgm
.LBB107_45:
                                        ; implicit-def: $vgpr1_vgpr2
	s_branch .LBB107_32
	.section	.rodata,"a",@progbits
	.p2align	6, 0x0
	.amdhsa_kernel _ZN5aiter24add_rmsnorm_quant_kernelIDF16_aLi256ELi24ELb0ELb1ELb0ELi1EEEvPT0_PT_PfS4_S4_S4_diiiiiiib
		.amdhsa_group_segment_fixed_size 64
		.amdhsa_private_segment_fixed_size 0
		.amdhsa_kernarg_size 88
		.amdhsa_user_sgpr_count 15
		.amdhsa_user_sgpr_dispatch_ptr 0
		.amdhsa_user_sgpr_queue_ptr 0
		.amdhsa_user_sgpr_kernarg_segment_ptr 1
		.amdhsa_user_sgpr_dispatch_id 0
		.amdhsa_user_sgpr_private_segment_size 0
		.amdhsa_wavefront_size32 1
		.amdhsa_uses_dynamic_stack 0
		.amdhsa_enable_private_segment 0
		.amdhsa_system_sgpr_workgroup_id_x 1
		.amdhsa_system_sgpr_workgroup_id_y 0
		.amdhsa_system_sgpr_workgroup_id_z 0
		.amdhsa_system_sgpr_workgroup_info 0
		.amdhsa_system_vgpr_workitem_id 0
		.amdhsa_next_free_vgpr 60
		.amdhsa_next_free_sgpr 29
		.amdhsa_reserve_vcc 1
		.amdhsa_float_round_mode_32 0
		.amdhsa_float_round_mode_16_64 0
		.amdhsa_float_denorm_mode_32 3
		.amdhsa_float_denorm_mode_16_64 3
		.amdhsa_dx10_clamp 1
		.amdhsa_ieee_mode 1
		.amdhsa_fp16_overflow 0
		.amdhsa_workgroup_processor_mode 1
		.amdhsa_memory_ordered 1
		.amdhsa_forward_progress 0
		.amdhsa_shared_vgpr_count 0
		.amdhsa_exception_fp_ieee_invalid_op 0
		.amdhsa_exception_fp_denorm_src 0
		.amdhsa_exception_fp_ieee_div_zero 0
		.amdhsa_exception_fp_ieee_overflow 0
		.amdhsa_exception_fp_ieee_underflow 0
		.amdhsa_exception_fp_ieee_inexact 0
		.amdhsa_exception_int_div_zero 0
	.end_amdhsa_kernel
	.section	.text._ZN5aiter24add_rmsnorm_quant_kernelIDF16_aLi256ELi24ELb0ELb1ELb0ELi1EEEvPT0_PT_PfS4_S4_S4_diiiiiiib,"axG",@progbits,_ZN5aiter24add_rmsnorm_quant_kernelIDF16_aLi256ELi24ELb0ELb1ELb0ELi1EEEvPT0_PT_PfS4_S4_S4_diiiiiiib,comdat
.Lfunc_end107:
	.size	_ZN5aiter24add_rmsnorm_quant_kernelIDF16_aLi256ELi24ELb0ELb1ELb0ELi1EEEvPT0_PT_PfS4_S4_S4_diiiiiiib, .Lfunc_end107-_ZN5aiter24add_rmsnorm_quant_kernelIDF16_aLi256ELi24ELb0ELb1ELb0ELi1EEEvPT0_PT_PfS4_S4_S4_diiiiiiib
                                        ; -- End function
	.section	.AMDGPU.csdata,"",@progbits
; Kernel info:
; codeLenInByte = 4476
; NumSgprs: 31
; NumVgprs: 60
; ScratchSize: 0
; MemoryBound: 0
; FloatMode: 240
; IeeeMode: 1
; LDSByteSize: 64 bytes/workgroup (compile time only)
; SGPRBlocks: 3
; VGPRBlocks: 7
; NumSGPRsForWavesPerEU: 31
; NumVGPRsForWavesPerEU: 60
; Occupancy: 16
; WaveLimiterHint : 0
; COMPUTE_PGM_RSRC2:SCRATCH_EN: 0
; COMPUTE_PGM_RSRC2:USER_SGPR: 15
; COMPUTE_PGM_RSRC2:TRAP_HANDLER: 0
; COMPUTE_PGM_RSRC2:TGID_X_EN: 1
; COMPUTE_PGM_RSRC2:TGID_Y_EN: 0
; COMPUTE_PGM_RSRC2:TGID_Z_EN: 0
; COMPUTE_PGM_RSRC2:TIDIG_COMP_CNT: 0
	.section	.text._ZN5aiter24add_rmsnorm_quant_kernelItaLi256ELi24ELb0ELb1ELb0ELi1EEEvPT0_PT_PfS4_S4_S4_diiiiiiib,"axG",@progbits,_ZN5aiter24add_rmsnorm_quant_kernelItaLi256ELi24ELb0ELb1ELb0ELi1EEEvPT0_PT_PfS4_S4_S4_diiiiiiib,comdat
	.protected	_ZN5aiter24add_rmsnorm_quant_kernelItaLi256ELi24ELb0ELb1ELb0ELi1EEEvPT0_PT_PfS4_S4_S4_diiiiiiib ; -- Begin function _ZN5aiter24add_rmsnorm_quant_kernelItaLi256ELi24ELb0ELb1ELb0ELi1EEEvPT0_PT_PfS4_S4_S4_diiiiiiib
	.globl	_ZN5aiter24add_rmsnorm_quant_kernelItaLi256ELi24ELb0ELb1ELb0ELi1EEEvPT0_PT_PfS4_S4_S4_diiiiiiib
	.p2align	8
	.type	_ZN5aiter24add_rmsnorm_quant_kernelItaLi256ELi24ELb0ELb1ELb0ELi1EEEvPT0_PT_PfS4_S4_S4_diiiiiiib,@function
_ZN5aiter24add_rmsnorm_quant_kernelItaLi256ELi24ELb0ELb1ELb0ELi1EEEvPT0_PT_PfS4_S4_S4_diiiiiiib: ; @_ZN5aiter24add_rmsnorm_quant_kernelItaLi256ELi24ELb0ELb1ELb0ELi1EEEvPT0_PT_PfS4_S4_S4_diiiiiiib
; %bb.0:
	s_load_b128 s[4:7], s[0:1], 0x38
	s_mov_b32 s20, s15
	s_mov_b32 s21, 0
	s_waitcnt lgkmcnt(0)
	s_ashr_i32 s3, s4, 31
	s_mov_b32 s2, s4
	s_delay_alu instid0(SALU_CYCLE_1) | instskip(NEXT) | instid1(VALU_DEP_1)
	v_cmp_ge_i64_e64 s2, s[20:21], s[2:3]
	s_and_b32 vcc_lo, exec_lo, s2
	s_cbranch_vccnz .LBB108_44
; %bb.1:
	s_clause 0x1
	s_load_b128 s[8:11], s[0:1], 0x10
	s_load_b128 s[16:19], s[0:1], 0x28
	s_ashr_i32 s2, s6, 31
	s_mul_hi_u32 s3, s6, s20
	s_mul_i32 s7, s2, s20
	s_mul_i32 s2, s6, s20
	s_add_i32 s3, s3, s7
	v_mul_u32_u24_e32 v1, 48, v0
	s_lshl_b64 s[2:3], s[2:3], 1
	s_mov_b32 s15, -1
	v_and_b32_e32 v39, 31, v0
	s_mov_b32 s27, s15
	s_waitcnt lgkmcnt(0)
	s_add_u32 s12, s10, s2
	s_addc_u32 s2, s11, s3
	s_add_i32 s3, s5, 1
	s_and_b32 s13, s2, 0xffff
	s_lshr_b32 s6, s3, 31
	s_mov_b32 s24, s16
	s_add_i32 s3, s3, s6
	s_and_b32 s25, s17, 0xffff
	s_lshl_b32 s3, s3, 1
	v_cmp_eq_u32_e64 s2, 31, v39
	s_and_b32 s14, s3, -4
	s_clause 0x2
	buffer_load_b128 v[18:21], v1, s[12:15], 0 offen
	buffer_load_b128 v[26:29], v1, s[12:15], 16 offen
	buffer_load_b128 v[34:37], v1, s[12:15], 32 offen
	s_mov_b32 s26, s14
	s_clause 0x2
	buffer_load_b128 v[9:12], v1, s[24:27], 0 offen
	buffer_load_b128 v[5:8], v1, s[24:27], 16 offen
	;; [unrolled: 1-line block ×3, first 2 shown]
	s_waitcnt vmcnt(5)
	v_lshrrev_b32_e32 v13, 16, v18
	v_and_b32_e32 v14, 0xffff, v18
	v_lshrrev_b32_e32 v18, 16, v19
	v_lshrrev_b32_e32 v22, 16, v21
	s_waitcnt vmcnt(4)
	v_lshrrev_b32_e32 v24, 16, v26
	v_cvt_f32_u32_e32 v15, v13
	v_cvt_f32_u32_e32 v16, v14
	;; [unrolled: 1-line block ×4, first 2 shown]
	v_lshrrev_b32_e32 v30, 16, v29
	v_mul_f32_e32 v14, v15, v15
	v_and_b32_e32 v13, 0xffff, v19
	v_cvt_f32_u32_e32 v24, v24
	s_waitcnt vmcnt(3)
	v_lshrrev_b32_e32 v32, 16, v34
	v_cvt_f32_u32_e32 v30, v30
	v_fmac_f32_e32 v14, v16, v16
	v_cvt_f32_u32_e32 v17, v13
	v_and_b32_e32 v13, 0xffff, v20
	v_lshrrev_b32_e32 v20, 16, v20
	v_cvt_f32_u32_e32 v32, v32
	v_lshrrev_b32_e32 v38, 16, v37
	v_fmac_f32_e32 v14, v17, v17
	v_cvt_f32_u32_e32 v19, v13
	v_and_b32_e32 v13, 0xffff, v21
	v_cvt_f32_u32_e32 v20, v20
	v_cvt_f32_u32_e32 v38, v38
	s_delay_alu instid0(VALU_DEP_3) | instskip(SKIP_3) | instid1(VALU_DEP_3)
	v_cvt_f32_u32_e32 v21, v13
	v_and_b32_e32 v13, 0xffff, v26
	v_fmac_f32_e32 v14, v18, v18
	v_lshrrev_b32_e32 v26, 16, v27
	v_cvt_f32_u32_e32 v23, v13
	v_and_b32_e32 v13, 0xffff, v27
	s_delay_alu instid0(VALU_DEP_4) | instskip(NEXT) | instid1(VALU_DEP_4)
	v_fmac_f32_e32 v14, v19, v19
	v_cvt_f32_u32_e32 v26, v26
	s_delay_alu instid0(VALU_DEP_3) | instskip(NEXT) | instid1(VALU_DEP_3)
	v_cvt_f32_u32_e32 v25, v13
	v_fmac_f32_e32 v14, v20, v20
	v_and_b32_e32 v13, 0xffff, v28
	v_lshrrev_b32_e32 v28, 16, v28
	s_delay_alu instid0(VALU_DEP_2) | instskip(SKIP_2) | instid1(VALU_DEP_4)
	v_cvt_f32_u32_e32 v27, v13
	v_and_b32_e32 v13, 0xffff, v29
	v_fmac_f32_e32 v14, v21, v21
	v_cvt_f32_u32_e32 v28, v28
	s_delay_alu instid0(VALU_DEP_3) | instskip(SKIP_1) | instid1(VALU_DEP_4)
	v_cvt_f32_u32_e32 v29, v13
	v_and_b32_e32 v13, 0xffff, v34
	v_fmac_f32_e32 v14, v22, v22
	v_lshrrev_b32_e32 v34, 16, v35
	s_delay_alu instid0(VALU_DEP_3) | instskip(SKIP_1) | instid1(VALU_DEP_4)
	v_cvt_f32_u32_e32 v31, v13
	v_and_b32_e32 v13, 0xffff, v35
	v_fmac_f32_e32 v14, v23, v23
	s_delay_alu instid0(VALU_DEP_4) | instskip(NEXT) | instid1(VALU_DEP_3)
	v_cvt_f32_u32_e32 v34, v34
	v_cvt_f32_u32_e32 v33, v13
	v_and_b32_e32 v13, 0xffff, v36
	s_delay_alu instid0(VALU_DEP_4) | instskip(SKIP_1) | instid1(VALU_DEP_3)
	v_fmac_f32_e32 v14, v24, v24
	v_lshrrev_b32_e32 v36, 16, v36
	v_cvt_f32_u32_e32 v35, v13
	v_and_b32_e32 v13, 0xffff, v37
	s_delay_alu instid0(VALU_DEP_4) | instskip(NEXT) | instid1(VALU_DEP_4)
	v_fmac_f32_e32 v14, v25, v25
	v_cvt_f32_u32_e32 v36, v36
	s_delay_alu instid0(VALU_DEP_3) | instskip(NEXT) | instid1(VALU_DEP_3)
	v_cvt_f32_u32_e32 v37, v13
	v_fmac_f32_e32 v14, v26, v26
	s_delay_alu instid0(VALU_DEP_1) | instskip(NEXT) | instid1(VALU_DEP_1)
	v_fmac_f32_e32 v14, v27, v27
	v_fmac_f32_e32 v14, v28, v28
	s_delay_alu instid0(VALU_DEP_1) | instskip(NEXT) | instid1(VALU_DEP_1)
	v_fmac_f32_e32 v14, v29, v29
	;; [unrolled: 3-line block ×6, first 2 shown]
	v_fmac_f32_e32 v14, v38, v38
	s_delay_alu instid0(VALU_DEP_1) | instskip(NEXT) | instid1(VALU_DEP_1)
	v_mov_b32_dpp v13, v14 quad_perm:[1,0,3,2] row_mask:0xf bank_mask:0xf
	v_add_f32_e32 v13, v14, v13
	s_delay_alu instid0(VALU_DEP_1) | instskip(NEXT) | instid1(VALU_DEP_1)
	v_mov_b32_dpp v14, v13 quad_perm:[2,3,0,1] row_mask:0xf bank_mask:0xf
	v_add_f32_e32 v13, v13, v14
	s_delay_alu instid0(VALU_DEP_1) | instskip(NEXT) | instid1(VALU_DEP_1)
	v_mov_b32_dpp v14, v13 row_xmask:7 row_mask:0xf bank_mask:0xf
	v_add_f32_e32 v13, v13, v14
	s_delay_alu instid0(VALU_DEP_1)
	v_mov_b32_dpp v14, v13 row_xmask:15 row_mask:0xf bank_mask:0xf
	s_and_saveexec_b32 s3, s2
	s_cbranch_execz .LBB108_3
; %bb.2:
	s_delay_alu instid0(VALU_DEP_1) | instskip(SKIP_2) | instid1(VALU_DEP_2)
	v_add_f32_e32 v13, v13, v14
	s_mov_b32 s6, 0x76543210
	v_lshrrev_b32_e32 v14, 3, v0
	v_permlanex16_b32 v39, v13, s6, 0xfedcba98 op_sel:[1,1]
	s_delay_alu instid0(VALU_DEP_1)
	v_dual_add_f32 v13, v13, v39 :: v_dual_and_b32 v14, 0x7c, v14
	ds_store_b32 v14, v13 offset:32
.LBB108_3:
	s_or_b32 exec_lo, exec_lo, s3
	v_and_b32_e32 v13, 7, v0
	s_waitcnt vmcnt(0) lgkmcnt(0)
	s_barrier
	buffer_gl0_inv
	v_cvt_f32_i32_e32 v40, s5
	v_lshlrev_b32_e32 v14, 2, v13
	ds_load_b32 v13, v14 offset:32
	s_clause 0x1
	s_load_b64 s[6:7], s[0:1], 0x4c
	s_load_b32 s10, s[0:1], 0x54
	s_waitcnt lgkmcnt(0)
	s_cmp_lg_u32 s7, 0
	v_mov_b32_dpp v39, v13 quad_perm:[1,0,3,2] row_mask:0xf bank_mask:0xf
	s_delay_alu instid0(VALU_DEP_1) | instskip(NEXT) | instid1(VALU_DEP_1)
	v_add_f32_e32 v13, v13, v39
	v_mov_b32_dpp v39, v13 quad_perm:[2,3,0,1] row_mask:0xf bank_mask:0xf
	s_delay_alu instid0(VALU_DEP_1) | instskip(NEXT) | instid1(VALU_DEP_1)
	v_add_f32_e32 v13, v13, v39
	v_mov_b32_dpp v39, v13 row_xmask:7 row_mask:0xf bank_mask:0xf
	s_delay_alu instid0(VALU_DEP_1) | instskip(NEXT) | instid1(VALU_DEP_1)
	v_add_f32_e32 v13, v13, v39
	v_div_scale_f32 v39, null, v40, v40, v13
	v_div_scale_f32 v43, vcc_lo, v13, v40, v13
	s_delay_alu instid0(VALU_DEP_2) | instskip(SKIP_2) | instid1(VALU_DEP_1)
	v_rcp_f32_e32 v41, v39
	s_waitcnt_depctr 0xfff
	v_fma_f32 v42, -v39, v41, 1.0
	v_fmac_f32_e32 v41, v42, v41
	s_delay_alu instid0(VALU_DEP_1) | instskip(NEXT) | instid1(VALU_DEP_1)
	v_mul_f32_e32 v42, v43, v41
	v_fma_f32 v44, -v39, v42, v43
	s_delay_alu instid0(VALU_DEP_1) | instskip(NEXT) | instid1(VALU_DEP_1)
	v_fmac_f32_e32 v42, v44, v41
	v_fma_f32 v39, -v39, v42, v43
	s_delay_alu instid0(VALU_DEP_1) | instskip(SKIP_2) | instid1(VALU_DEP_3)
	v_div_fmas_f32 v39, v39, v41, v42
	v_and_b32_e32 v42, 0xffff, v11
	v_lshrrev_b32_e32 v11, 16, v11
	v_div_fixup_f32 v13, v39, v40, v13
	s_delay_alu instid0(VALU_DEP_3) | instskip(NEXT) | instid1(VALU_DEP_3)
	v_cvt_f32_u32_e32 v42, v42
	v_cvt_f32_u32_e32 v11, v11
	s_delay_alu instid0(VALU_DEP_3) | instskip(SKIP_1) | instid1(VALU_DEP_2)
	v_cvt_f64_f32_e32 v[39:40], v13
	v_mul_u32_u24_e32 v13, 24, v0
	v_add_f64 v[39:40], v[39:40], s[18:19]
	s_delay_alu instid0(VALU_DEP_1) | instskip(SKIP_2) | instid1(VALU_DEP_2)
	v_cvt_f32_f64_e32 v39, v[39:40]
	v_and_b32_e32 v40, 0xffff, v9
	v_lshrrev_b32_e32 v9, 16, v9
	v_cvt_f32_u32_e32 v40, v40
	s_delay_alu instid0(VALU_DEP_2) | instskip(SKIP_4) | instid1(VALU_DEP_4)
	v_cvt_f32_u32_e32 v9, v9
	v_mul_f32_e32 v53, 0x4b800000, v39
	v_cmp_gt_f32_e32 vcc_lo, 0x800000, v39
	v_and_b32_e32 v46, 0xffff, v7
	v_lshrrev_b32_e32 v7, 16, v7
	v_cndmask_b32_e32 v39, v39, v53, vcc_lo
	s_delay_alu instid0(VALU_DEP_3) | instskip(NEXT) | instid1(VALU_DEP_3)
	v_cvt_f32_u32_e32 v46, v46
	v_cvt_f32_u32_e32 v7, v7
	s_delay_alu instid0(VALU_DEP_3) | instskip(SKIP_4) | instid1(VALU_DEP_3)
	v_rsq_f32_e32 v39, v39
	s_waitcnt_depctr 0xfff
	v_mul_f32_e32 v53, 0x45800000, v39
	v_and_b32_e32 v50, 0xffff, v3
	v_lshrrev_b32_e32 v3, 16, v3
	v_cndmask_b32_e32 v39, v39, v53, vcc_lo
	v_and_b32_e32 v41, 0xffff, v10
	v_lshrrev_b32_e32 v10, 16, v10
	v_and_b32_e32 v43, 0xffff, v12
	v_lshrrev_b32_e32 v12, 16, v12
	v_mul_f32_e32 v18, v39, v18
	v_dual_mul_f32 v15, v39, v15 :: v_dual_and_b32 v44, 0xffff, v5
	v_lshrrev_b32_e32 v5, 16, v5
	v_dual_mul_f32 v20, v39, v20 :: v_dual_and_b32 v45, 0xffff, v6
	v_dual_mul_f32 v54, v39, v22 :: v_dual_and_b32 v47, 0xffff, v8
	v_lshrrev_b32_e32 v8, 16, v8
	v_dual_mul_f32 v19, v39, v19 :: v_dual_and_b32 v48, 0xffff, v1
	v_lshrrev_b32_e32 v1, 16, v1
	v_cvt_f32_u32_e32 v10, v10
	v_cvt_f32_u32_e32 v43, v43
	v_mul_f32_e32 v16, v39, v16
	v_mul_f32_e32 v60, v39, v28
	;; [unrolled: 1-line block ×3, first 2 shown]
	v_lshrrev_b32_e32 v6, 16, v6
	v_dual_mul_f32 v56, v39, v24 :: v_dual_and_b32 v49, 0xffff, v2
	v_lshrrev_b32_e32 v2, 16, v2
	v_dual_mov_b32 v52, 0x2edbe6ff :: v_dual_mul_f32 v17, v39, v17
	v_cvt_f32_u32_e32 v41, v41
	v_dual_mul_f32 v58, v39, v26 :: v_dual_and_b32 v51, 0xffff, v4
	v_lshrrev_b32_e32 v4, 16, v4
	v_cvt_f32_u32_e32 v12, v12
	v_cvt_f32_u32_e32 v44, v44
	;; [unrolled: 1-line block ×6, first 2 shown]
	v_dual_mul_f32 v55, v39, v23 :: v_dual_mul_f32 v26, v17, v41
	v_mul_f32_e32 v30, v39, v30
	v_dual_mul_f32 v32, v39, v32 :: v_dual_mul_f32 v21, v18, v10
	v_mul_f32_e32 v34, v39, v34
	;; [unrolled: 2-line block ×3, first 2 shown]
	v_mul_f32_e32 v59, v39, v27
	v_mul_f32_e32 v27, v16, v40
	v_cvt_f32_u32_e32 v6, v6
	v_cvt_f32_u32_e32 v2, v2
	v_mul_f32_e32 v28, v15, v9
	v_cvt_f32_u32_e32 v47, v47
	v_cvt_f32_u32_e32 v48, v48
	v_dual_mul_f32 v29, v39, v29 :: v_dual_mul_f32 v16, v30, v8
	v_dual_mul_f32 v31, v39, v31 :: v_dual_mul_f32 v10, v32, v1
	v_cvt_f32_u32_e32 v50, v50
	v_cvt_f32_u32_e32 v4, v4
	v_dual_mul_f32 v36, v39, v36 :: v_dual_mul_f32 v25, v20, v11
	v_dual_mul_f32 v38, v39, v38 :: v_dual_mul_f32 v23, v54, v12
	v_mul_f32_e32 v35, v39, v35
	v_dual_mul_f32 v24, v19, v42 :: v_dual_mul_f32 v19, v56, v5
	v_cvt_f32_u32_e32 v49, v49
	v_dual_mul_f32 v33, v39, v33 :: v_dual_mul_f32 v8, v34, v2
	v_cvt_f32_u32_e32 v3, v3
	v_dual_mul_f32 v20, v55, v44 :: v_dual_mul_f32 v15, v29, v47
	v_and_b32_e32 v1, 0x7fffffff, v27
	v_cvt_f32_u32_e32 v51, v51
	v_mul_f32_e32 v37, v39, v37
	v_dual_mul_f32 v12, v57, v45 :: v_dual_mul_f32 v11, v58, v6
	v_dual_mul_f32 v6, v36, v3 :: v_dual_mul_f32 v17, v59, v46
	v_and_b32_e32 v2, 0x7fffffff, v28
	;;#ASMSTART
	v_max3_f32 v1, v52, v1, v2

	;;#ASMEND
	v_dual_mul_f32 v9, v31, v48 :: v_dual_and_b32 v30, 0x7fffffff, v21
	v_and_b32_e32 v29, 0x7fffffff, v26
	;;#ASMSTART
	v_max3_f32 v1, v1, v29, v30

	;;#ASMEND
	v_dual_mul_f32 v4, v38, v4 :: v_dual_mul_f32 v5, v35, v50
	v_and_b32_e32 v32, 0x7fffffff, v25
	v_and_b32_e32 v31, 0x7fffffff, v24
	;;#ASMSTART
	v_max3_f32 v1, v1, v31, v32

	;;#ASMEND
	v_dual_mul_f32 v7, v33, v49 :: v_dual_and_b32 v34, 0x7fffffff, v23
	v_and_b32_e32 v33, 0x7fffffff, v22
	;;#ASMSTART
	v_max3_f32 v1, v1, v33, v34

	;;#ASMEND
	v_and_b32_e32 v35, 0x7fffffff, v20
	v_and_b32_e32 v36, 0x7fffffff, v19
	;;#ASMSTART
	v_max3_f32 v1, v1, v35, v36

	;;#ASMEND
	v_dual_mul_f32 v3, v37, v51 :: v_dual_and_b32 v40, 0x7fffffff, v18
	v_and_b32_e32 v37, 0x7fffffff, v12
	v_and_b32_e32 v38, 0x7fffffff, v11
	;;#ASMSTART
	v_max3_f32 v1, v1, v37, v38

	;;#ASMEND
	v_and_b32_e32 v39, 0x7fffffff, v17
	;;#ASMSTART
	v_max3_f32 v1, v1, v39, v40

	;;#ASMEND
	v_and_b32_e32 v41, 0x7fffffff, v15
	v_and_b32_e32 v42, 0x7fffffff, v16
	;;#ASMSTART
	v_max3_f32 v1, v1, v41, v42

	;;#ASMEND
	v_and_b32_e32 v43, 0x7fffffff, v9
	;; [unrolled: 6-line block ×4, first 2 shown]
	v_and_b32_e32 v48, 0x7fffffff, v6
	v_and_b32_e32 v49, 0x7fffffff, v3
	;; [unrolled: 1-line block ×3, first 2 shown]
	;;#ASMSTART
	v_max3_f32 v1, v1, v47, v48

	;;#ASMEND
	;;#ASMSTART
	v_max3_f32 v29, v1, v49, v50

	;;#ASMEND
	s_cbranch_scc0 .LBB108_10
; %bb.4:
	s_mul_hi_i32 s3, s7, 0x2aaaaaab
	s_delay_alu instid0(SALU_CYCLE_1) | instskip(SKIP_1) | instid1(SALU_CYCLE_1)
	s_lshr_b32 s11, s3, 31
	s_ashr_i32 s3, s3, 2
	s_add_i32 s3, s3, s11
	s_delay_alu instid0(SALU_CYCLE_1)
	s_cmp_lt_i32 s3, 8
	s_cbranch_scc1 .LBB108_11
; %bb.5:
	s_cmp_lt_i32 s3, 16
	s_cbranch_scc1 .LBB108_12
; %bb.6:
	;; [unrolled: 3-line block ×3, first 2 shown]
	v_mov_b32_e32 v1, v29
	s_cmp_eq_u32 s3, 32
	s_cbranch_scc0 .LBB108_9
; %bb.8:
	s_delay_alu instid0(VALU_DEP_1) | instskip(SKIP_1) | instid1(VALU_DEP_1)
	v_mov_b32_dpp v1, v29 quad_perm:[1,0,3,2] row_mask:0xf bank_mask:0xf
	s_mov_b32 s11, 0x76543210
	v_cmp_gt_f32_e32 vcc_lo, v29, v1
	v_cndmask_b32_e32 v1, v1, v29, vcc_lo
	s_delay_alu instid0(VALU_DEP_1) | instskip(NEXT) | instid1(VALU_DEP_1)
	v_mov_b32_dpp v2, v1 quad_perm:[2,3,0,1] row_mask:0xf bank_mask:0xf
	v_cmp_gt_f32_e32 vcc_lo, v1, v2
	v_cndmask_b32_e32 v1, v2, v1, vcc_lo
	s_delay_alu instid0(VALU_DEP_1) | instskip(NEXT) | instid1(VALU_DEP_1)
	v_mov_b32_dpp v2, v1 row_xmask:7 row_mask:0xf bank_mask:0xf
	v_cmp_gt_f32_e32 vcc_lo, v1, v2
	v_cndmask_b32_e32 v1, v2, v1, vcc_lo
	s_delay_alu instid0(VALU_DEP_1) | instskip(NEXT) | instid1(VALU_DEP_1)
	v_mov_b32_dpp v2, v1 row_xmask:15 row_mask:0xf bank_mask:0xf
	v_cmp_gt_f32_e32 vcc_lo, v1, v2
	v_cndmask_b32_e32 v1, v2, v1, vcc_lo
	s_delay_alu instid0(VALU_DEP_1) | instskip(NEXT) | instid1(VALU_DEP_1)
	v_permlanex16_b32 v2, v1, s11, 0xfedcba98 op_sel:[1,1]
	v_cmp_gt_f32_e32 vcc_lo, v1, v2
	v_cndmask_b32_e32 v1, v2, v1, vcc_lo
.LBB108_9:
	s_mov_b32 s11, 0
	s_branch .LBB108_14
.LBB108_10:
	s_mov_b32 s3, 0
                                        ; implicit-def: $vgpr30
                                        ; implicit-def: $vgpr1_vgpr2
	s_and_b32 vcc_lo, exec_lo, s15
	s_cbranch_vccnz .LBB108_38
	s_branch .LBB108_41
.LBB108_11:
                                        ; implicit-def: $vgpr1
	s_branch .LBB108_21
.LBB108_12:
                                        ; implicit-def: $vgpr1
	s_branch .LBB108_18
.LBB108_13:
	s_mov_b32 s11, -1
                                        ; implicit-def: $vgpr1
.LBB108_14:
	s_delay_alu instid0(SALU_CYCLE_1)
	s_and_not1_b32 vcc_lo, exec_lo, s11
	s_cbranch_vccnz .LBB108_17
; %bb.15:
	v_mov_b32_e32 v1, v29
	s_cmp_eq_u32 s3, 16
	s_cbranch_scc0 .LBB108_17
; %bb.16:
	s_delay_alu instid0(VALU_DEP_1) | instskip(NEXT) | instid1(VALU_DEP_1)
	v_mov_b32_dpp v1, v29 quad_perm:[1,0,3,2] row_mask:0xf bank_mask:0xf
	v_cmp_gt_f32_e32 vcc_lo, v29, v1
	v_cndmask_b32_e32 v1, v1, v29, vcc_lo
	s_delay_alu instid0(VALU_DEP_1) | instskip(NEXT) | instid1(VALU_DEP_1)
	v_mov_b32_dpp v2, v1 quad_perm:[2,3,0,1] row_mask:0xf bank_mask:0xf
	v_cmp_gt_f32_e32 vcc_lo, v1, v2
	v_cndmask_b32_e32 v1, v2, v1, vcc_lo
	s_delay_alu instid0(VALU_DEP_1) | instskip(NEXT) | instid1(VALU_DEP_1)
	v_mov_b32_dpp v2, v1 row_half_mirror row_mask:0xf bank_mask:0xf
	v_cmp_gt_f32_e32 vcc_lo, v1, v2
	v_cndmask_b32_e32 v1, v2, v1, vcc_lo
	s_delay_alu instid0(VALU_DEP_1) | instskip(NEXT) | instid1(VALU_DEP_1)
	v_mov_b32_dpp v2, v1 row_mirror row_mask:0xf bank_mask:0xf
	v_cmp_gt_f32_e32 vcc_lo, v1, v2
	v_cndmask_b32_e32 v1, v2, v1, vcc_lo
.LBB108_17:
	s_cbranch_execnz .LBB108_20
.LBB108_18:
	v_mov_b32_e32 v1, v29
	s_cmp_eq_u32 s3, 8
	s_cbranch_scc0 .LBB108_20
; %bb.19:
	s_delay_alu instid0(VALU_DEP_1) | instskip(NEXT) | instid1(VALU_DEP_1)
	v_mov_b32_dpp v1, v29 quad_perm:[1,0,3,2] row_mask:0xf bank_mask:0xf
	v_cmp_gt_f32_e32 vcc_lo, v29, v1
	v_cndmask_b32_e32 v1, v1, v29, vcc_lo
	s_delay_alu instid0(VALU_DEP_1) | instskip(NEXT) | instid1(VALU_DEP_1)
	v_mov_b32_dpp v2, v1 quad_perm:[2,3,0,1] row_mask:0xf bank_mask:0xf
	v_cmp_gt_f32_e32 vcc_lo, v1, v2
	v_cndmask_b32_e32 v1, v2, v1, vcc_lo
	s_delay_alu instid0(VALU_DEP_1) | instskip(NEXT) | instid1(VALU_DEP_1)
	v_mov_b32_dpp v2, v1 row_half_mirror row_mask:0xf bank_mask:0xf
	v_cmp_gt_f32_e32 vcc_lo, v1, v2
	v_cndmask_b32_e32 v1, v2, v1, vcc_lo
.LBB108_20:
	s_cbranch_execnz .LBB108_28
.LBB108_21:
	s_cmp_lt_i32 s3, 4
	s_cbranch_scc1 .LBB108_24
; %bb.22:
	v_mov_b32_e32 v1, v29
	s_cmp_eq_u32 s3, 4
	s_cbranch_scc0 .LBB108_25
; %bb.23:
	s_delay_alu instid0(VALU_DEP_1) | instskip(NEXT) | instid1(VALU_DEP_1)
	v_mov_b32_dpp v1, v29 quad_perm:[1,0,3,2] row_mask:0xf bank_mask:0xf
	v_cmp_gt_f32_e32 vcc_lo, v29, v1
	v_cndmask_b32_e32 v1, v1, v29, vcc_lo
	s_delay_alu instid0(VALU_DEP_1) | instskip(NEXT) | instid1(VALU_DEP_1)
	v_mov_b32_dpp v2, v1 quad_perm:[2,3,0,1] row_mask:0xf bank_mask:0xf
	v_cmp_gt_f32_e32 vcc_lo, v1, v2
	v_cndmask_b32_e32 v1, v2, v1, vcc_lo
	s_cbranch_execz .LBB108_26
	s_branch .LBB108_28
.LBB108_24:
                                        ; implicit-def: $vgpr1
	s_branch .LBB108_26
.LBB108_25:
	s_cbranch_execnz .LBB108_28
.LBB108_26:
	v_mov_b32_e32 v1, v29
	s_cmp_lg_u32 s3, 2
	s_cbranch_scc1 .LBB108_28
; %bb.27:
	s_delay_alu instid0(VALU_DEP_1) | instskip(NEXT) | instid1(VALU_DEP_1)
	v_mov_b32_dpp v1, v29 quad_perm:[1,0,3,2] row_mask:0xf bank_mask:0xf
	v_cmp_gt_f32_e32 vcc_lo, v29, v1
	v_cndmask_b32_e32 v1, v1, v29, vcc_lo
.LBB108_28:
	v_cvt_f32_u32_e32 v2, s3
	s_sub_i32 s11, 0, s3
	s_mov_b32 s15, 0
	s_delay_alu instid0(VALU_DEP_1) | instskip(SKIP_2) | instid1(VALU_DEP_1)
	v_rcp_iflag_f32_e32 v2, v2
	s_waitcnt_depctr 0xfff
	v_mul_f32_e32 v2, 0x4f7ffffe, v2
	v_cvt_u32_f32_e32 v2, v2
	s_delay_alu instid0(VALU_DEP_1) | instskip(NEXT) | instid1(VALU_DEP_1)
	v_mul_lo_u32 v30, s11, v2
	v_mul_hi_u32 v30, v2, v30
	s_delay_alu instid0(VALU_DEP_1) | instskip(NEXT) | instid1(VALU_DEP_1)
	v_add_nc_u32_e32 v2, v2, v30
	v_mul_hi_u32 v2, v0, v2
	s_delay_alu instid0(VALU_DEP_1) | instskip(NEXT) | instid1(VALU_DEP_1)
	v_mul_lo_u32 v30, v2, s3
	v_sub_nc_u32_e32 v30, v0, v30
	s_delay_alu instid0(VALU_DEP_1) | instskip(SKIP_1) | instid1(VALU_DEP_2)
	v_subrev_nc_u32_e32 v32, s3, v30
	v_cmp_le_u32_e32 vcc_lo, s3, v30
	v_dual_cndmask_b32 v30, v30, v32 :: v_dual_add_nc_u32 v31, 1, v2
	s_delay_alu instid0(VALU_DEP_1) | instskip(NEXT) | instid1(VALU_DEP_2)
	v_cndmask_b32_e32 v2, v2, v31, vcc_lo
	v_cmp_le_u32_e32 vcc_lo, s3, v30
	s_delay_alu instid0(VALU_DEP_2) | instskip(NEXT) | instid1(VALU_DEP_1)
	v_dual_mul_f32 v30, 0x3c010204, v1 :: v_dual_add_nc_u32 v31, 1, v2
	v_cndmask_b32_e32 v31, v2, v31, vcc_lo
	v_cmp_gt_u32_e32 vcc_lo, s5, v13
	s_delay_alu instid0(VALU_DEP_2) | instskip(NEXT) | instid1(VALU_DEP_1)
	v_mul_lo_u32 v2, v31, s3
	v_sub_nc_u32_e32 v2, v0, v2
	s_delay_alu instid0(VALU_DEP_1) | instskip(NEXT) | instid1(VALU_DEP_1)
	v_cmp_eq_u32_e64 s3, 0, v2
                                        ; implicit-def: $vgpr1_vgpr2
	s_and_b32 s11, s3, vcc_lo
	s_mov_b32 s3, 0
	s_and_saveexec_b32 s12, s11
	s_delay_alu instid0(SALU_CYCLE_1)
	s_xor_b32 s14, exec_lo, s12
	s_cbranch_execz .LBB108_37
; %bb.29:
	s_bitcmp0_b32 s10, 0
	s_mov_b32 s16, 0
	s_cbranch_scc0 .LBB108_34
; %bb.30:
	s_ashr_i32 s3, s5, 31
	s_mul_hi_u32 s10, s5, s20
	s_mul_i32 s3, s3, s20
	s_mul_i32 s12, s5, s20
	s_add_i32 s13, s10, s3
	s_ashr_i32 s11, s7, 31
	s_mov_b32 s10, s7
	s_delay_alu instid0(SALU_CYCLE_1) | instskip(NEXT) | instid1(SALU_CYCLE_1)
	s_or_b64 s[18:19], s[12:13], s[10:11]
	s_mov_b32 s17, s19
	s_delay_alu instid0(SALU_CYCLE_1)
	s_cmp_lg_u64 s[16:17], 0
	s_cbranch_scc0 .LBB108_45
; %bb.31:
	s_add_u32 s18, s10, s11
	s_mov_b32 s16, s11
	s_mov_b32 s17, s11
	s_addc_u32 s19, s11, s11
	s_delay_alu instid0(SALU_CYCLE_1) | instskip(NEXT) | instid1(SALU_CYCLE_1)
	s_xor_b64 s[18:19], s[18:19], s[16:17]
	v_cvt_f32_u32_e32 v1, s18
	v_cvt_f32_u32_e32 v2, s19
	s_sub_u32 s11, 0, s18
	s_subb_u32 s22, 0, s19
	s_delay_alu instid0(VALU_DEP_1) | instskip(NEXT) | instid1(VALU_DEP_1)
	v_fmamk_f32 v1, v2, 0x4f800000, v1
	v_rcp_f32_e32 v1, v1
	s_waitcnt_depctr 0xfff
	v_mul_f32_e32 v1, 0x5f7ffffc, v1
	s_delay_alu instid0(VALU_DEP_1) | instskip(NEXT) | instid1(VALU_DEP_1)
	v_mul_f32_e32 v2, 0x2f800000, v1
	v_trunc_f32_e32 v2, v2
	s_delay_alu instid0(VALU_DEP_1) | instskip(SKIP_1) | instid1(VALU_DEP_2)
	v_fmamk_f32 v1, v2, 0xcf800000, v1
	v_cvt_u32_f32_e32 v2, v2
	v_cvt_u32_f32_e32 v1, v1
	s_delay_alu instid0(VALU_DEP_2) | instskip(NEXT) | instid1(VALU_DEP_2)
	v_readfirstlane_b32 s3, v2
	v_readfirstlane_b32 s7, v1
	s_delay_alu instid0(VALU_DEP_2) | instskip(NEXT) | instid1(VALU_DEP_1)
	s_mul_i32 s23, s11, s3
	s_mul_hi_u32 s25, s11, s7
	s_mul_i32 s24, s22, s7
	s_add_i32 s23, s25, s23
	s_mul_i32 s26, s11, s7
	s_add_i32 s23, s23, s24
	s_mul_hi_u32 s25, s7, s26
	s_mul_hi_u32 s27, s3, s26
	s_mul_i32 s24, s3, s26
	s_mul_hi_u32 s26, s7, s23
	s_mul_i32 s7, s7, s23
	s_mul_hi_u32 s28, s3, s23
	s_add_u32 s7, s25, s7
	s_addc_u32 s25, 0, s26
	s_add_u32 s7, s7, s24
	s_mul_i32 s23, s3, s23
	s_addc_u32 s7, s25, s27
	s_addc_u32 s24, s28, 0
	s_add_u32 s7, s7, s23
	s_addc_u32 s23, 0, s24
	v_add_co_u32 v1, s7, v1, s7
	s_delay_alu instid0(VALU_DEP_1) | instskip(SKIP_1) | instid1(VALU_DEP_1)
	s_cmp_lg_u32 s7, 0
	s_addc_u32 s3, s3, s23
	v_readfirstlane_b32 s7, v1
	s_mul_i32 s23, s11, s3
	s_delay_alu instid0(VALU_DEP_1)
	s_mul_hi_u32 s24, s11, s7
	s_mul_i32 s22, s22, s7
	s_add_i32 s23, s24, s23
	s_mul_i32 s11, s11, s7
	s_add_i32 s23, s23, s22
	s_mul_hi_u32 s24, s3, s11
	s_mul_i32 s25, s3, s11
	s_mul_hi_u32 s11, s7, s11
	s_mul_hi_u32 s26, s7, s23
	s_mul_i32 s7, s7, s23
	s_mul_hi_u32 s22, s3, s23
	s_add_u32 s7, s11, s7
	s_addc_u32 s11, 0, s26
	s_add_u32 s7, s7, s25
	s_mul_i32 s23, s3, s23
	s_addc_u32 s7, s11, s24
	s_addc_u32 s11, s22, 0
	s_add_u32 s7, s7, s23
	s_addc_u32 s11, 0, s11
	v_add_co_u32 v1, s7, v1, s7
	s_delay_alu instid0(VALU_DEP_1) | instskip(SKIP_2) | instid1(VALU_DEP_1)
	s_cmp_lg_u32 s7, 0
	s_addc_u32 s3, s3, s11
	s_ashr_i32 s22, s13, 31
	v_readfirstlane_b32 s7, v1
	s_add_u32 s24, s12, s22
	s_mov_b32 s23, s22
	s_addc_u32 s25, s13, s22
	s_delay_alu instid0(SALU_CYCLE_1) | instskip(NEXT) | instid1(SALU_CYCLE_1)
	s_xor_b64 s[24:25], s[24:25], s[22:23]
	s_mul_i32 s13, s24, s3
	s_mul_hi_u32 s26, s24, s7
	s_mul_hi_u32 s11, s24, s3
	;; [unrolled: 1-line block ×3, first 2 shown]
	s_mul_i32 s7, s25, s7
	s_add_u32 s13, s26, s13
	s_addc_u32 s11, 0, s11
	s_mul_hi_u32 s27, s25, s3
	s_add_u32 s7, s13, s7
	s_mul_i32 s3, s25, s3
	s_addc_u32 s7, s11, s28
	s_addc_u32 s11, s27, 0
	s_add_u32 s7, s7, s3
	s_addc_u32 s11, 0, s11
	s_mul_i32 s27, s18, s7
	s_mul_hi_u32 s3, s18, s7
	s_mul_i32 s26, s18, s11
	v_sub_co_u32 v1, s24, s24, s27
	s_mul_i32 s13, s19, s7
	s_add_i32 s3, s3, s26
	s_delay_alu instid0(SALU_CYCLE_1) | instskip(NEXT) | instid1(VALU_DEP_1)
	s_add_i32 s3, s3, s13
	v_sub_co_u32 v2, s26, v1, s18
	s_sub_i32 s13, s25, s3
	s_cmp_lg_u32 s24, 0
	s_subb_u32 s13, s13, s19
	s_cmp_lg_u32 s26, 0
	v_cmp_le_u32_e32 vcc_lo, s18, v2
	s_subb_u32 s13, s13, 0
	s_delay_alu instid0(SALU_CYCLE_1)
	s_cmp_ge_u32 s13, s19
	v_cndmask_b32_e64 v2, 0, -1, vcc_lo
	s_cselect_b32 s26, -1, 0
	s_cmp_eq_u32 s13, s19
	s_cselect_b32 vcc_lo, -1, 0
	s_add_u32 s13, s7, 1
	v_cndmask_b32_e32 v2, s26, v2, vcc_lo
	s_addc_u32 s26, s11, 0
	s_add_u32 s27, s7, 2
	s_addc_u32 s28, s11, 0
	s_cmp_lg_u32 s24, 0
	v_cmp_le_u32_e32 vcc_lo, s18, v1
	s_subb_u32 s3, s25, s3
	v_mov_b32_e32 v32, s27
	s_cmp_ge_u32 s3, s19
	v_cndmask_b32_e64 v1, 0, -1, vcc_lo
	s_cselect_b32 s18, -1, 0
	s_cmp_eq_u32 s3, s19
	v_cmp_ne_u32_e32 vcc_lo, 0, v2
	v_mov_b32_e32 v2, s28
	s_cselect_b32 s3, -1, 0
	s_xor_b64 s[16:17], s[22:23], s[16:17]
	v_cndmask_b32_e64 v1, s18, v1, s3
	v_cndmask_b32_e32 v32, s13, v32, vcc_lo
	v_cndmask_b32_e32 v2, s26, v2, vcc_lo
	s_delay_alu instid0(VALU_DEP_3) | instskip(NEXT) | instid1(VALU_DEP_2)
	v_cmp_ne_u32_e32 vcc_lo, 0, v1
	v_cndmask_b32_e32 v1, s11, v2, vcc_lo
	s_delay_alu instid0(VALU_DEP_4) | instskip(NEXT) | instid1(VALU_DEP_2)
	v_cndmask_b32_e32 v2, s7, v32, vcc_lo
	v_xor_b32_e32 v32, s17, v1
	s_delay_alu instid0(VALU_DEP_2) | instskip(NEXT) | instid1(VALU_DEP_1)
	v_xor_b32_e32 v2, s16, v2
	v_sub_co_u32 v1, vcc_lo, v2, s16
	s_delay_alu instid0(VALU_DEP_3)
	v_subrev_co_ci_u32_e32 v2, vcc_lo, s17, v32, vcc_lo
	s_cbranch_execnz .LBB108_33
.LBB108_32:
	v_cvt_f32_u32_e32 v1, s10
	s_sub_i32 s7, 0, s10
	s_delay_alu instid0(VALU_DEP_1) | instskip(SKIP_2) | instid1(VALU_DEP_1)
	v_rcp_iflag_f32_e32 v1, v1
	s_waitcnt_depctr 0xfff
	v_mul_f32_e32 v1, 0x4f7ffffe, v1
	v_cvt_u32_f32_e32 v1, v1
	s_delay_alu instid0(VALU_DEP_1) | instskip(NEXT) | instid1(VALU_DEP_1)
	v_readfirstlane_b32 s3, v1
	s_mul_i32 s7, s7, s3
	s_delay_alu instid0(SALU_CYCLE_1) | instskip(NEXT) | instid1(SALU_CYCLE_1)
	s_mul_hi_u32 s7, s3, s7
	s_add_i32 s3, s3, s7
	s_delay_alu instid0(SALU_CYCLE_1) | instskip(NEXT) | instid1(SALU_CYCLE_1)
	s_mul_hi_u32 s3, s12, s3
	s_mul_i32 s7, s3, s10
	s_add_i32 s11, s3, 1
	s_sub_i32 s7, s12, s7
	s_delay_alu instid0(SALU_CYCLE_1)
	s_sub_i32 s12, s7, s10
	s_cmp_ge_u32 s7, s10
	s_cselect_b32 s3, s11, s3
	s_cselect_b32 s7, s12, s7
	s_add_i32 s12, s3, 1
	s_cmp_ge_u32 s7, s10
	s_mov_b32 s11, 0
	s_cselect_b32 s10, s12, s3
	s_delay_alu instid0(SALU_CYCLE_1)
	v_dual_mov_b32 v1, s10 :: v_dual_mov_b32 v2, s11
.LBB108_33:
	s_delay_alu instid0(VALU_DEP_1) | instskip(NEXT) | instid1(VALU_DEP_2)
	v_add_co_u32 v1, vcc_lo, v1, v31
	v_add_co_ci_u32_e32 v2, vcc_lo, 0, v2, vcc_lo
	s_branch .LBB108_36
.LBB108_34:
                                        ; implicit-def: $vgpr1_vgpr2
	s_cbranch_execz .LBB108_36
; %bb.35:
	v_mul_lo_u32 v1, v31, s4
	s_delay_alu instid0(VALU_DEP_1) | instskip(SKIP_1) | instid1(VALU_DEP_2)
	v_ashrrev_i32_e32 v2, 31, v1
	v_add_co_u32 v1, vcc_lo, v1, s20
	v_add_co_ci_u32_e32 v2, vcc_lo, 0, v2, vcc_lo
.LBB108_36:
	s_mov_b32 s3, exec_lo
.LBB108_37:
	s_or_b32 exec_lo, exec_lo, s14
	s_delay_alu instid0(SALU_CYCLE_1)
	s_and_b32 vcc_lo, exec_lo, s15
	s_cbranch_vccz .LBB108_41
.LBB108_38:
	v_mov_b32_dpp v1, v29 quad_perm:[1,0,3,2] row_mask:0xf bank_mask:0xf
	s_delay_alu instid0(VALU_DEP_1) | instskip(SKIP_1) | instid1(VALU_DEP_1)
	v_cmp_gt_f32_e32 vcc_lo, v29, v1
	v_cndmask_b32_e32 v1, v1, v29, vcc_lo
	v_mov_b32_dpp v2, v1 quad_perm:[2,3,0,1] row_mask:0xf bank_mask:0xf
	s_delay_alu instid0(VALU_DEP_1) | instskip(SKIP_1) | instid1(VALU_DEP_1)
	v_cmp_gt_f32_e32 vcc_lo, v1, v2
	v_cndmask_b32_e32 v1, v2, v1, vcc_lo
	v_mov_b32_dpp v2, v1 row_xmask:7 row_mask:0xf bank_mask:0xf
	s_delay_alu instid0(VALU_DEP_1) | instskip(SKIP_1) | instid1(VALU_DEP_1)
	v_cmp_gt_f32_e32 vcc_lo, v1, v2
	v_cndmask_b32_e32 v1, v2, v1, vcc_lo
	v_mov_b32_dpp v2, v1 row_xmask:15 row_mask:0xf bank_mask:0xf
	s_delay_alu instid0(VALU_DEP_1)
	v_cmp_gt_f32_e32 vcc_lo, v1, v2
	s_and_saveexec_b32 s3, s2
	s_cbranch_execz .LBB108_40
; %bb.39:
	v_cndmask_b32_e32 v1, v2, v1, vcc_lo
	v_lshrrev_b32_e32 v2, 3, v0
	s_mov_b32 s2, 0x76543210
	s_delay_alu instid0(VALU_DEP_1) | instskip(NEXT) | instid1(VALU_DEP_3)
	v_and_b32_e32 v2, 0x7c, v2
	v_permlanex16_b32 v29, v1, s2, 0xfedcba98 op_sel:[1,1]
	s_delay_alu instid0(VALU_DEP_1)
	v_cmp_gt_f32_e32 vcc_lo, v1, v29
	v_cndmask_b32_e32 v1, v29, v1, vcc_lo
	ds_store_b32 v2, v1
.LBB108_40:
	s_or_b32 exec_lo, exec_lo, s3
	s_waitcnt lgkmcnt(0)
	s_barrier
	buffer_gl0_inv
	ds_load_b32 v1, v14
	v_cmp_eq_u32_e64 s3, 0, v0
	s_waitcnt lgkmcnt(0)
	v_mov_b32_dpp v2, v1 quad_perm:[1,0,3,2] row_mask:0xf bank_mask:0xf
	s_delay_alu instid0(VALU_DEP_1) | instskip(SKIP_1) | instid1(VALU_DEP_1)
	v_cmp_gt_f32_e32 vcc_lo, v1, v2
	v_cndmask_b32_e32 v1, v2, v1, vcc_lo
	v_mov_b32_dpp v2, v1 quad_perm:[2,3,0,1] row_mask:0xf bank_mask:0xf
	s_delay_alu instid0(VALU_DEP_1) | instskip(SKIP_1) | instid1(VALU_DEP_1)
	v_cmp_gt_f32_e32 vcc_lo, v1, v2
	v_cndmask_b32_e32 v1, v2, v1, vcc_lo
	v_mov_b32_dpp v2, v1 row_xmask:7 row_mask:0xf bank_mask:0xf
	s_delay_alu instid0(VALU_DEP_1) | instskip(SKIP_1) | instid1(VALU_DEP_1)
	v_cmp_gt_f32_e32 vcc_lo, v1, v2
	v_cndmask_b32_e32 v1, v2, v1, vcc_lo
	v_dual_mul_f32 v30, 0x3c010204, v1 :: v_dual_mov_b32 v1, s20
	v_mov_b32_e32 v2, s21
.LBB108_41:
	s_and_saveexec_b32 s2, s3
	s_cbranch_execz .LBB108_43
; %bb.42:
	s_delay_alu instid0(VALU_DEP_1) | instskip(NEXT) | instid1(VALU_DEP_1)
	v_lshlrev_b64 v[0:1], 2, v[1:2]
	v_add_co_u32 v0, vcc_lo, s8, v0
	s_delay_alu instid0(VALU_DEP_2)
	v_add_co_ci_u32_e32 v1, vcc_lo, s9, v1, vcc_lo
	global_store_b32 v[0:1], v30, off
.LBB108_43:
	s_or_b32 exec_lo, exec_lo, s2
	;;#ASMSTART
	v_rcp_f32 v0, v30
	;;#ASMEND
	v_mul_f32_e32 v5, v5, v0
	v_mul_f32_e32 v17, v17, v0
	v_mul_f32_e32 v9, v9, v0
	v_mul_f32_e32 v15, v15, v0
	v_mul_f32_e32 v6, v6, v0
	v_cvt_i32_f32_e32 v5, v5
	v_mul_f32_e32 v18, v18, v0
	v_cvt_i32_f32_e32 v17, v17
	v_mul_f32_e32 v14, v26, v0
	v_cvt_i32_f32_e32 v9, v9
	v_and_b32_e32 v5, 0xff, v5
	v_cvt_i32_f32_e32 v18, v18
	v_and_b32_e32 v17, 0xff, v17
	v_cvt_i32_f32_e32 v14, v14
	v_dual_mul_f32 v16, v16, v0 :: v_dual_and_b32 v9, 0xff, v9
	s_delay_alu instid0(VALU_DEP_4) | instskip(NEXT) | instid1(VALU_DEP_3)
	v_lshlrev_b16 v18, 8, v18
	v_dual_mul_f32 v25, v25, v0 :: v_dual_and_b32 v14, 0xff, v14
	s_delay_alu instid0(VALU_DEP_3) | instskip(SKIP_1) | instid1(VALU_DEP_4)
	v_cvt_i32_f32_e32 v16, v16
	v_cvt_i32_f32_e32 v15, v15
	v_or_b32_e32 v17, v17, v18
	v_mul_f32_e32 v22, v22, v0
	v_cvt_i32_f32_e32 v6, v6
	s_delay_alu instid0(VALU_DEP_4) | instskip(NEXT) | instid1(VALU_DEP_4)
	v_dual_mul_f32 v24, v24, v0 :: v_dual_and_b32 v15, 0xff, v15
	v_and_b32_e32 v17, 0xffff, v17
	s_delay_alu instid0(VALU_DEP_4)
	v_cvt_i32_f32_e32 v22, v22
	v_mul_f32_e32 v1, v27, v0
	v_lshlrev_b16 v16, 8, v16
	v_mul_f32_e32 v7, v7, v0
	v_lshlrev_b16 v6, 8, v6
	v_and_b32_e32 v22, 0xff, v22
	v_cvt_i32_f32_e32 v1, v1
	v_mul_f32_e32 v2, v28, v0
	v_mul_f32_e32 v23, v23, v0
	;; [unrolled: 1-line block ×4, first 2 shown]
	v_and_b32_e32 v1, 0xff, v1
	v_cvt_i32_f32_e32 v2, v2
	v_or_b32_e32 v15, v15, v16
	v_mul_f32_e32 v20, v20, v0
	v_mul_f32_e32 v8, v8, v0
	;; [unrolled: 1-line block ×3, first 2 shown]
	v_lshlrev_b16 v2, 8, v2
	v_lshlrev_b32_e32 v15, 16, v15
	v_or_b32_e32 v5, v5, v6
	v_mul_f32_e32 v10, v10, v0
	s_load_b64 s[0:1], s[0:1], 0x0
	v_or_b32_e32 v2, v1, v2
	v_mul_f32_e32 v21, v21, v0
	v_cvt_i32_f32_e32 v25, v25
	v_cvt_i32_f32_e32 v24, v24
	;; [unrolled: 1-line block ×3, first 2 shown]
	v_and_b32_e32 v2, 0xffff, v2
	v_cvt_i32_f32_e32 v21, v21
	v_cvt_i32_f32_e32 v20, v20
	;; [unrolled: 1-line block ×4, first 2 shown]
	v_and_b32_e32 v5, 0xffff, v5
	v_lshlrev_b16 v21, 8, v21
	v_cvt_i32_f32_e32 v10, v10
	v_lshlrev_b16 v25, 8, v25
	v_and_b32_e32 v24, 0xff, v24
	v_mul_f32_e32 v19, v19, v0
	v_or_b32_e32 v14, v14, v21
	v_mul_f32_e32 v0, v3, v0
	v_cvt_i32_f32_e32 v3, v7
	v_cvt_i32_f32_e32 v7, v8
	;; [unrolled: 1-line block ×3, first 2 shown]
	v_lshlrev_b32_e32 v14, 16, v14
	v_cvt_i32_f32_e32 v0, v0
	v_and_b32_e32 v3, 0xff, v3
	v_cvt_i32_f32_e32 v12, v12
	v_lshlrev_b16 v23, 8, v23
	v_lshlrev_b16 v19, 8, v19
	v_and_b32_e32 v20, 0xff, v20
	v_lshlrev_b16 v11, 8, v11
	v_and_b32_e32 v12, 0xff, v12
	v_lshlrev_b16 v4, 8, v4
	v_and_b32_e32 v0, 0xff, v0
	v_lshlrev_b16 v8, 8, v10
	v_lshlrev_b16 v7, 8, v7
	v_or_b32_e32 v24, v24, v25
	v_or_b32_e32 v22, v22, v23
	;; [unrolled: 1-line block ×7, first 2 shown]
	s_add_i32 s2, s5, 3
	s_ashr_i32 s3, s6, 31
	s_mul_hi_u32 s4, s6, s20
	s_mul_i32 s5, s6, s20
	s_ashr_i32 s6, s2, 31
	v_and_b32_e32 v23, 0xffff, v24
	s_lshr_b32 s6, s6, 30
	v_lshlrev_b32_e32 v22, 16, v22
	v_and_b32_e32 v16, 0xffff, v16
	v_lshlrev_b32_e32 v6, 16, v10
	v_lshlrev_b32_e32 v7, 16, v0
	v_and_b32_e32 v4, 0xffff, v4
	v_lshlrev_b32_e32 v8, 16, v3
	s_mul_i32 s3, s3, s20
	s_add_i32 s2, s2, s6
	s_add_i32 s4, s4, s3
	s_and_b32 s2, s2, -4
	s_waitcnt lgkmcnt(0)
	s_add_u32 s0, s0, s5
	v_or_b32_e32 v1, v23, v22
	v_or_b32_e32 v0, v2, v14
	;; [unrolled: 1-line block ×6, first 2 shown]
	s_addc_u32 s1, s1, s4
	s_mov_b32 s3, -1
	s_and_b32 s1, s1, 0xffff
	buffer_store_b64 v[0:1], v13, s[0:3], 0 offen
	;;#ASMSTART
	s_nop 0
	;;#ASMEND
	buffer_store_b64 v[2:3], v13, s[0:3], 8 offen
	;;#ASMSTART
	s_nop 0
	;;#ASMEND
	;; [unrolled: 4-line block ×3, first 2 shown]
.LBB108_44:
	s_nop 0
	s_sendmsg sendmsg(MSG_DEALLOC_VGPRS)
	s_endpgm
.LBB108_45:
                                        ; implicit-def: $vgpr1_vgpr2
	s_branch .LBB108_32
	.section	.rodata,"a",@progbits
	.p2align	6, 0x0
	.amdhsa_kernel _ZN5aiter24add_rmsnorm_quant_kernelItaLi256ELi24ELb0ELb1ELb0ELi1EEEvPT0_PT_PfS4_S4_S4_diiiiiiib
		.amdhsa_group_segment_fixed_size 64
		.amdhsa_private_segment_fixed_size 0
		.amdhsa_kernarg_size 88
		.amdhsa_user_sgpr_count 15
		.amdhsa_user_sgpr_dispatch_ptr 0
		.amdhsa_user_sgpr_queue_ptr 0
		.amdhsa_user_sgpr_kernarg_segment_ptr 1
		.amdhsa_user_sgpr_dispatch_id 0
		.amdhsa_user_sgpr_private_segment_size 0
		.amdhsa_wavefront_size32 1
		.amdhsa_uses_dynamic_stack 0
		.amdhsa_enable_private_segment 0
		.amdhsa_system_sgpr_workgroup_id_x 1
		.amdhsa_system_sgpr_workgroup_id_y 0
		.amdhsa_system_sgpr_workgroup_id_z 0
		.amdhsa_system_sgpr_workgroup_info 0
		.amdhsa_system_vgpr_workitem_id 0
		.amdhsa_next_free_vgpr 61
		.amdhsa_next_free_sgpr 29
		.amdhsa_reserve_vcc 1
		.amdhsa_float_round_mode_32 0
		.amdhsa_float_round_mode_16_64 0
		.amdhsa_float_denorm_mode_32 3
		.amdhsa_float_denorm_mode_16_64 3
		.amdhsa_dx10_clamp 1
		.amdhsa_ieee_mode 1
		.amdhsa_fp16_overflow 0
		.amdhsa_workgroup_processor_mode 1
		.amdhsa_memory_ordered 1
		.amdhsa_forward_progress 0
		.amdhsa_shared_vgpr_count 0
		.amdhsa_exception_fp_ieee_invalid_op 0
		.amdhsa_exception_fp_denorm_src 0
		.amdhsa_exception_fp_ieee_div_zero 0
		.amdhsa_exception_fp_ieee_overflow 0
		.amdhsa_exception_fp_ieee_underflow 0
		.amdhsa_exception_fp_ieee_inexact 0
		.amdhsa_exception_int_div_zero 0
	.end_amdhsa_kernel
	.section	.text._ZN5aiter24add_rmsnorm_quant_kernelItaLi256ELi24ELb0ELb1ELb0ELi1EEEvPT0_PT_PfS4_S4_S4_diiiiiiib,"axG",@progbits,_ZN5aiter24add_rmsnorm_quant_kernelItaLi256ELi24ELb0ELb1ELb0ELi1EEEvPT0_PT_PfS4_S4_S4_diiiiiiib,comdat
.Lfunc_end108:
	.size	_ZN5aiter24add_rmsnorm_quant_kernelItaLi256ELi24ELb0ELb1ELb0ELi1EEEvPT0_PT_PfS4_S4_S4_diiiiiiib, .Lfunc_end108-_ZN5aiter24add_rmsnorm_quant_kernelItaLi256ELi24ELb0ELb1ELb0ELi1EEEvPT0_PT_PfS4_S4_S4_diiiiiiib
                                        ; -- End function
	.section	.AMDGPU.csdata,"",@progbits
; Kernel info:
; codeLenInByte = 4584
; NumSgprs: 31
; NumVgprs: 61
; ScratchSize: 0
; MemoryBound: 0
; FloatMode: 240
; IeeeMode: 1
; LDSByteSize: 64 bytes/workgroup (compile time only)
; SGPRBlocks: 3
; VGPRBlocks: 7
; NumSGPRsForWavesPerEU: 31
; NumVGPRsForWavesPerEU: 61
; Occupancy: 16
; WaveLimiterHint : 0
; COMPUTE_PGM_RSRC2:SCRATCH_EN: 0
; COMPUTE_PGM_RSRC2:USER_SGPR: 15
; COMPUTE_PGM_RSRC2:TRAP_HANDLER: 0
; COMPUTE_PGM_RSRC2:TGID_X_EN: 1
; COMPUTE_PGM_RSRC2:TGID_Y_EN: 0
; COMPUTE_PGM_RSRC2:TGID_Z_EN: 0
; COMPUTE_PGM_RSRC2:TIDIG_COMP_CNT: 0
	.section	.text._ZN5aiter24add_rmsnorm_quant_kernelIDF16_aLi256ELi32ELb0ELb1ELb1ELi1EEEvPT0_PT_PfS4_S4_S4_diiiiiiib,"axG",@progbits,_ZN5aiter24add_rmsnorm_quant_kernelIDF16_aLi256ELi32ELb0ELb1ELb1ELi1EEEvPT0_PT_PfS4_S4_S4_diiiiiiib,comdat
	.protected	_ZN5aiter24add_rmsnorm_quant_kernelIDF16_aLi256ELi32ELb0ELb1ELb1ELi1EEEvPT0_PT_PfS4_S4_S4_diiiiiiib ; -- Begin function _ZN5aiter24add_rmsnorm_quant_kernelIDF16_aLi256ELi32ELb0ELb1ELb1ELi1EEEvPT0_PT_PfS4_S4_S4_diiiiiiib
	.globl	_ZN5aiter24add_rmsnorm_quant_kernelIDF16_aLi256ELi32ELb0ELb1ELb1ELi1EEEvPT0_PT_PfS4_S4_S4_diiiiiiib
	.p2align	8
	.type	_ZN5aiter24add_rmsnorm_quant_kernelIDF16_aLi256ELi32ELb0ELb1ELb1ELi1EEEvPT0_PT_PfS4_S4_S4_diiiiiiib,@function
_ZN5aiter24add_rmsnorm_quant_kernelIDF16_aLi256ELi32ELb0ELb1ELb1ELi1EEEvPT0_PT_PfS4_S4_S4_diiiiiiib: ; @_ZN5aiter24add_rmsnorm_quant_kernelIDF16_aLi256ELi32ELb0ELb1ELb1ELi1EEEvPT0_PT_PfS4_S4_S4_diiiiiiib
; %bb.0:
	s_load_b128 s[4:7], s[0:1], 0x38
	s_mov_b32 s20, s15
	s_mov_b32 s21, 0
	s_waitcnt lgkmcnt(0)
	s_ashr_i32 s3, s4, 31
	s_mov_b32 s2, s4
	s_delay_alu instid0(SALU_CYCLE_1) | instskip(NEXT) | instid1(VALU_DEP_1)
	v_cmp_ge_i64_e64 s2, s[20:21], s[2:3]
	s_and_b32 vcc_lo, exec_lo, s2
	s_cbranch_vccnz .LBB109_44
; %bb.1:
	s_clause 0x1
	s_load_b128 s[8:11], s[0:1], 0x10
	s_load_b128 s[16:19], s[0:1], 0x28
	v_lshlrev_b32_e32 v37, 5, v0
	s_ashr_i32 s2, s6, 31
	s_mul_hi_u32 s3, s6, s20
	s_mul_i32 s7, s2, s20
	v_lshlrev_b32_e32 v1, 3, v0
	v_and_b32_e32 v2, 0x7c00, v37
	s_mul_i32 s2, s6, s20
	s_add_i32 s3, s3, s7
	s_mov_b32 s15, -1
	s_lshl_b64 s[2:3], s[2:3], 1
	v_and_or_b32 v17, 0xf8, v1, v2
	s_mov_b32 s27, s15
	s_delay_alu instid0(VALU_DEP_1)
	v_lshlrev_b32_e32 v1, 1, v17
	s_waitcnt lgkmcnt(0)
	s_add_u32 s12, s10, s2
	s_addc_u32 s2, s11, s3
	s_add_i32 s3, s5, 1
	s_and_b32 s13, s2, 0xffff
	s_lshr_b32 s6, s3, 31
	s_movk_i32 s2, 0x200
	s_add_i32 s3, s3, s6
	s_movk_i32 s6, 0x600
	s_lshl_b32 s3, s3, 1
	s_mov_b32 s24, s16
	s_and_b32 s14, s3, -4
	s_movk_i32 s3, 0x400
	s_clause 0x3
	buffer_load_b128 v[21:24], v1, s[12:15], 0 offen glc slc
	buffer_load_b128 v[25:28], v1, s[12:15], s2 offen glc slc
	;; [unrolled: 1-line block ×4, first 2 shown]
	s_and_b32 s25, s17, 0xffff
	s_mov_b32 s26, s14
	s_waitcnt vmcnt(3)
	v_lshrrev_b32_e32 v18, 16, v21
	v_lshrrev_b32_e32 v38, 16, v22
	v_cvt_f32_f16_e32 v20, v22
	v_lshrrev_b32_e32 v39, 16, v23
	v_lshrrev_b32_e32 v40, 16, v24
	v_cvt_f32_f16_e32 v19, v18
	v_cvt_f32_f16_e32 v51, v38
	s_waitcnt vmcnt(2)
	v_lshrrev_b32_e32 v41, 16, v25
	v_lshrrev_b32_e32 v42, 16, v26
	v_lshrrev_b32_e32 v43, 16, v27
	v_mul_f32_e32 v18, v19, v19
	v_lshrrev_b32_e32 v44, 16, v28
	s_waitcnt vmcnt(1)
	v_lshrrev_b32_e32 v45, 16, v29
	v_lshrrev_b32_e32 v52, 16, v30
	;; [unrolled: 1-line block ×3, first 2 shown]
	v_fma_mix_f32 v18, v21, v21, v18 op_sel_hi:[1,1,0]
	v_lshrrev_b32_e32 v55, 16, v32
	s_waitcnt vmcnt(0)
	v_lshrrev_b32_e32 v56, 16, v33
	v_lshrrev_b32_e32 v57, 16, v34
	;; [unrolled: 1-line block ×3, first 2 shown]
	v_fma_mix_f32 v18, v22, v22, v18 op_sel_hi:[1,1,0]
	v_cvt_f32_f16_e32 v21, v21
	v_cvt_f32_f16_e32 v50, v39
	;; [unrolled: 1-line block ×4, first 2 shown]
	v_fma_mix_f32 v18, v22, v22, v18 op_sel:[1,1,0] op_sel_hi:[1,1,0]
	v_cvt_f32_f16_e32 v22, v23
	v_cvt_f32_f16_e32 v47, v42
	;; [unrolled: 1-line block ×4, first 2 shown]
	v_fma_mix_f32 v18, v23, v23, v18 op_sel_hi:[1,1,0]
	v_cvt_f32_f16_e32 v42, v54
	v_cvt_f32_f16_e32 v40, v55
	;; [unrolled: 1-line block ×4, first 2 shown]
	v_fma_mix_f32 v18, v23, v23, v18 op_sel:[1,1,0] op_sel_hi:[1,1,0]
	v_cvt_f32_f16_e32 v23, v24
	s_delay_alu instid0(VALU_DEP_2) | instskip(NEXT) | instid1(VALU_DEP_1)
	v_fma_mix_f32 v18, v24, v24, v18 op_sel_hi:[1,1,0]
	v_fma_mix_f32 v18, v24, v24, v18 op_sel:[1,1,0] op_sel_hi:[1,1,0]
	v_cvt_f32_f16_e32 v24, v25
	s_delay_alu instid0(VALU_DEP_2) | instskip(NEXT) | instid1(VALU_DEP_1)
	v_fma_mix_f32 v18, v25, v25, v18 op_sel_hi:[1,1,0]
	;; [unrolled: 4-line block ×13, first 2 shown]
	v_fma_mix_f32 v18, v36, v36, v18 op_sel:[1,1,0] op_sel_hi:[1,1,0]
	v_lshrrev_b32_e32 v36, 16, v36
	s_delay_alu instid0(VALU_DEP_2) | instskip(NEXT) | instid1(VALU_DEP_2)
	v_mov_b32_dpp v46, v18 quad_perm:[1,0,3,2] row_mask:0xf bank_mask:0xf
	v_cvt_f32_f16_e32 v36, v36
	s_delay_alu instid0(VALU_DEP_2) | instskip(NEXT) | instid1(VALU_DEP_1)
	v_add_f32_e32 v18, v18, v46
	v_mov_b32_dpp v46, v18 quad_perm:[2,3,0,1] row_mask:0xf bank_mask:0xf
	s_delay_alu instid0(VALU_DEP_1)
	v_add_f32_e32 v18, v18, v46
	s_clause 0x3
	buffer_load_b128 v[13:16], v1, s[24:27], 0 offen
	buffer_load_b128 v[9:12], v1, s[24:27], s2 offen
	;; [unrolled: 1-line block ×4, first 2 shown]
	v_cvt_f32_f16_e32 v46, v43
	v_cvt_f32_f16_e32 v43, v52
	v_mov_b32_dpp v38, v18 row_xmask:7 row_mask:0xf bank_mask:0xf
	s_delay_alu instid0(VALU_DEP_1) | instskip(SKIP_1) | instid1(VALU_DEP_2)
	v_dual_add_f32 v18, v18, v38 :: v_dual_and_b32 v53, 31, v0
	v_cvt_f32_f16_e32 v38, v58
	v_cmp_eq_u32_e64 s2, 31, v53
	s_delay_alu instid0(VALU_DEP_3) | instskip(NEXT) | instid1(VALU_DEP_2)
	v_mov_b32_dpp v52, v18 row_xmask:15 row_mask:0xf bank_mask:0xf
	s_and_saveexec_b32 s3, s2
	s_cbranch_execz .LBB109_3
; %bb.2:
	s_delay_alu instid0(VALU_DEP_1) | instskip(SKIP_2) | instid1(VALU_DEP_2)
	v_add_f32_e32 v18, v18, v52
	s_mov_b32 s6, 0x76543210
	v_lshrrev_b32_e32 v52, 3, v0
	v_permlanex16_b32 v53, v18, s6, 0xfedcba98 op_sel:[1,1]
	s_delay_alu instid0(VALU_DEP_2) | instskip(NEXT) | instid1(VALU_DEP_2)
	v_and_b32_e32 v52, 0x7c, v52
	v_add_f32_e32 v18, v18, v53
	ds_store_b32 v52, v18 offset:32
.LBB109_3:
	s_or_b32 exec_lo, exec_lo, s3
	v_and_b32_e32 v18, 7, v0
	s_waitcnt vmcnt(0) lgkmcnt(0)
	s_barrier
	buffer_gl0_inv
	v_cvt_f32_i32_e32 v54, s5
	v_dual_mov_b32 v69, 0x2edbe6ff :: v_dual_lshlrev_b32 v18, 2, v18
	v_cvt_f32_f16_e32 v59, v11
	v_cvt_f32_f16_e32 v64, v8
	v_lshrrev_b32_e32 v11, 16, v11
	ds_load_b32 v52, v18 offset:32
	v_cvt_f32_f16_e32 v62, v6
	v_lshrrev_b32_e32 v6, 16, v6
	v_cvt_f32_f16_e32 v63, v7
	v_lshrrev_b32_e32 v7, 16, v7
	;; [unrolled: 2-line block ×3, first 2 shown]
	v_lshrrev_b32_e32 v8, 16, v8
	v_cvt_f32_f16_e32 v67, v2
	v_lshrrev_b32_e32 v2, 16, v2
	v_cvt_f32_f16_e32 v68, v4
	v_cvt_f32_f16_e32 v11, v11
	;; [unrolled: 1-line block ×5, first 2 shown]
	v_lshrrev_b32_e32 v1, 16, v1
	v_cvt_f32_f16_e32 v5, v5
	v_cvt_f32_f16_e32 v8, v8
	;; [unrolled: 1-line block ×4, first 2 shown]
	s_waitcnt lgkmcnt(0)
	v_mov_b32_dpp v53, v52 quad_perm:[1,0,3,2] row_mask:0xf bank_mask:0xf
	v_lshrrev_b32_e32 v12, 16, v12
	s_clause 0x1
	s_load_b64 s[6:7], s[0:1], 0x4c
	s_load_b32 s10, s[0:1], 0x54
	v_cvt_f32_f16_e32 v1, v1
	v_lshrrev_b32_e32 v4, 16, v4
	v_add_f32_e32 v52, v52, v53
	v_cvt_f32_f16_e32 v12, v12
	s_delay_alu instid0(VALU_DEP_3) | instskip(NEXT) | instid1(VALU_DEP_3)
	v_cvt_f32_f16_e32 v4, v4
	v_mov_b32_dpp v53, v52 quad_perm:[2,3,0,1] row_mask:0xf bank_mask:0xf
	s_delay_alu instid0(VALU_DEP_1) | instskip(NEXT) | instid1(VALU_DEP_1)
	v_add_f32_e32 v52, v52, v53
	v_mov_b32_dpp v53, v52 row_xmask:7 row_mask:0xf bank_mask:0xf
	s_waitcnt lgkmcnt(0)
	s_cmp_lg_u32 s7, 0
	s_delay_alu instid0(VALU_DEP_1) | instskip(NEXT) | instid1(VALU_DEP_1)
	v_add_f32_e32 v52, v52, v53
	v_div_scale_f32 v53, null, v54, v54, v52
	v_div_scale_f32 v57, vcc_lo, v52, v54, v52
	s_delay_alu instid0(VALU_DEP_2) | instskip(SKIP_2) | instid1(VALU_DEP_1)
	v_rcp_f32_e32 v55, v53
	s_waitcnt_depctr 0xfff
	v_fma_f32 v56, -v53, v55, 1.0
	v_fmac_f32_e32 v55, v56, v55
	s_delay_alu instid0(VALU_DEP_1) | instskip(NEXT) | instid1(VALU_DEP_1)
	v_mul_f32_e32 v56, v57, v55
	v_fma_f32 v58, -v53, v56, v57
	s_delay_alu instid0(VALU_DEP_1) | instskip(SKIP_2) | instid1(VALU_DEP_3)
	v_fmac_f32_e32 v56, v58, v55
	v_cvt_f32_f16_e32 v58, v10
	v_lshrrev_b32_e32 v10, 16, v10
	v_fma_f32 v53, -v53, v56, v57
	v_cvt_f32_f16_e32 v57, v9
	v_lshrrev_b32_e32 v9, 16, v9
	s_delay_alu instid0(VALU_DEP_4) | instskip(NEXT) | instid1(VALU_DEP_4)
	v_cvt_f32_f16_e32 v10, v10
	v_div_fmas_f32 v53, v53, v55, v56
	v_cvt_f32_f16_e32 v55, v15
	v_lshrrev_b32_e32 v15, 16, v15
	v_cvt_f32_f16_e32 v56, v16
	v_lshrrev_b32_e32 v16, 16, v16
	v_div_fixup_f32 v52, v53, v54, v52
	v_cvt_f32_f16_e32 v54, v14
	v_lshrrev_b32_e32 v14, 16, v14
	v_cvt_f32_f16_e32 v15, v15
	v_cvt_f32_f16_e32 v16, v16
	v_cvt_f64_f32_e32 v[52:53], v52
	v_cvt_f32_f16_e32 v9, v9
	v_cvt_f32_f16_e32 v14, v14
	s_delay_alu instid0(VALU_DEP_3) | instskip(NEXT) | instid1(VALU_DEP_1)
	v_add_f64 v[52:53], v[52:53], s[18:19]
	v_cvt_f32_f64_e32 v52, v[52:53]
	v_cvt_f32_f16_e32 v53, v13
	v_lshrrev_b32_e32 v13, 16, v13
	s_delay_alu instid0(VALU_DEP_1) | instskip(NEXT) | instid1(VALU_DEP_4)
	v_cvt_f32_f16_e32 v13, v13
	v_mul_f32_e32 v66, 0x4b800000, v52
	v_cmp_gt_f32_e32 vcc_lo, 0x800000, v52
	s_delay_alu instid0(VALU_DEP_2) | instskip(SKIP_2) | instid1(VALU_DEP_3)
	v_cndmask_b32_e32 v52, v52, v66, vcc_lo
	v_cvt_f32_f16_e32 v66, v3
	v_lshrrev_b32_e32 v3, 16, v3
	v_rsq_f32_e32 v52, v52
	s_delay_alu instid0(VALU_DEP_1) | instskip(SKIP_2) | instid1(VALU_DEP_1)
	v_cvt_f32_f16_e32 v3, v3
	s_waitcnt_depctr 0xfff
	v_mul_f32_e32 v70, 0x45800000, v52
	v_cndmask_b32_e32 v52, v52, v70, vcc_lo
	s_delay_alu instid0(VALU_DEP_1) | instskip(SKIP_2) | instid1(VALU_DEP_2)
	v_mul_f32_e32 v23, v52, v23
	v_mul_f32_e32 v70, v52, v26
	;; [unrolled: 1-line block ×3, first 2 shown]
	v_dual_mul_f32 v32, v23, v56 :: v_dual_mul_f32 v23, v70, v59
	v_mul_f32_e32 v74, v52, v30
	v_mul_f32_e32 v50, v52, v50
	;; [unrolled: 1-line block ×8, first 2 shown]
	v_dual_mul_f32 v46, v52, v46 :: v_dual_mul_f32 v35, v50, v15
	v_mul_f32_e32 v42, v52, v42
	v_mul_f32_e32 v73, v52, v29
	;; [unrolled: 1-line block ×9, first 2 shown]
	v_dual_mul_f32 v29, v51, v14 :: v_dual_mul_f32 v72, v52, v28
	v_dual_mul_f32 v28, v49, v9 :: v_dual_mul_f32 v71, v52, v27
	;; [unrolled: 1-line block ×4, first 2 shown]
	v_mul_f32_e32 v33, v48, v16
	v_mul_f32_e32 v40, v52, v40
	;; [unrolled: 1-line block ×6, first 2 shown]
	v_dual_mul_f32 v78, v52, v34 :: v_dual_and_b32 v43, 0x7fffffff, v33
	v_mul_f32_e32 v14, v40, v8
	v_dual_mul_f32 v8, v39, v2 :: v_dual_mul_f32 v75, v52, v31
	s_delay_alu instid0(VALU_DEP_4)
	v_mul_f32_e32 v10, v41, v1
	v_mul_f32_e32 v31, v19, v13
	;; [unrolled: 1-line block ×3, first 2 shown]
	v_and_b32_e32 v45, 0x7fffffff, v28
	v_dual_mul_f32 v44, v52, v44 :: v_dual_mul_f32 v5, v78, v66
	v_mul_f32_e32 v52, v52, v36
	v_mul_f32_e32 v36, v21, v53
	v_dual_mul_f32 v30, v20, v54 :: v_dual_and_b32 v53, 0x7fffffff, v19
	v_dual_mul_f32 v21, v71, v60 :: v_dual_mul_f32 v34, v22, v55
	s_delay_alu instid0(VALU_DEP_3)
	v_and_b32_e32 v1, 0x7fffffff, v36
	v_dual_mul_f32 v25, v25, v58 :: v_dual_and_b32 v2, 0x7fffffff, v31
	;;#ASMSTART
	v_max3_f32 v1, v69, v1, v2

	;;#ASMEND
	v_and_b32_e32 v39, 0x7fffffff, v29
	v_dual_mul_f32 v6, v38, v3 :: v_dual_and_b32 v49, 0x7fffffff, v24
	v_and_b32_e32 v38, 0x7fffffff, v30
	;;#ASMSTART
	v_max3_f32 v1, v1, v38, v39

	;;#ASMEND
	v_dual_mul_f32 v22, v44, v12 :: v_dual_and_b32 v55, 0x7fffffff, v11
	v_and_b32_e32 v40, 0x7fffffff, v34
	v_and_b32_e32 v41, 0x7fffffff, v35
	;;#ASMSTART
	v_max3_f32 v1, v1, v40, v41

	;;#ASMEND
	v_mul_f32_e32 v16, v42, v7
	v_mul_f32_e32 v20, v72, v61
	v_and_b32_e32 v42, 0x7fffffff, v32
	v_and_b32_e32 v47, 0x7fffffff, v26
	v_mul_f32_e32 v9, v76, v65
	;;#ASMSTART
	v_max3_f32 v1, v1, v42, v43

	;;#ASMEND
	v_mul_f32_e32 v12, v73, v62
	v_and_b32_e32 v44, 0x7fffffff, v27
	;;#ASMSTART
	v_max3_f32 v1, v1, v44, v45

	;;#ASMEND
	v_dual_mul_f32 v15, v74, v63 :: v_dual_and_b32 v46, 0x7fffffff, v25
	;;#ASMSTART
	v_max3_f32 v1, v1, v46, v47

	;;#ASMEND
	v_dual_mul_f32 v13, v75, v64 :: v_dual_and_b32 v48, 0x7fffffff, v23
	;;#ASMSTART
	v_max3_f32 v1, v1, v48, v49

	;;#ASMEND
	v_and_b32_e32 v50, 0x7fffffff, v21
	v_and_b32_e32 v51, 0x7fffffff, v22
	;;#ASMSTART
	v_max3_f32 v1, v1, v50, v51

	;;#ASMEND
	v_mul_f32_e32 v7, v77, v67
	v_and_b32_e32 v57, 0x7fffffff, v16
	v_dual_mul_f32 v4, v52, v4 :: v_dual_and_b32 v61, 0x7fffffff, v10
	v_and_b32_e32 v59, 0x7fffffff, v14
	v_and_b32_e32 v52, 0x7fffffff, v20
	;;#ASMSTART
	v_max3_f32 v1, v1, v52, v53

	;;#ASMEND
	v_mul_f32_e32 v3, v79, v68
	v_and_b32_e32 v54, 0x7fffffff, v12
	;;#ASMSTART
	v_max3_f32 v1, v1, v54, v55

	;;#ASMEND
	v_and_b32_e32 v56, 0x7fffffff, v15
	;;#ASMSTART
	v_max3_f32 v1, v1, v56, v57

	;;#ASMEND
	;; [unrolled: 5-line block ×4, first 2 shown]
	v_and_b32_e32 v62, 0x7fffffff, v7
	v_and_b32_e32 v63, 0x7fffffff, v8
	;;#ASMSTART
	v_max3_f32 v1, v1, v62, v63

	;;#ASMEND
	v_and_b32_e32 v64, 0x7fffffff, v5
	v_and_b32_e32 v65, 0x7fffffff, v6
	;; [unrolled: 1-line block ×4, first 2 shown]
	;;#ASMSTART
	v_max3_f32 v1, v1, v64, v65

	;;#ASMEND
	;;#ASMSTART
	v_max3_f32 v38, v1, v66, v67

	;;#ASMEND
	s_cbranch_scc0 .LBB109_10
; %bb.4:
	s_ashr_i32 s11, s7, 31
	s_delay_alu instid0(SALU_CYCLE_1) | instskip(NEXT) | instid1(SALU_CYCLE_1)
	s_lshr_b32 s3, s11, 27
	s_add_i32 s3, s7, s3
	s_delay_alu instid0(SALU_CYCLE_1) | instskip(NEXT) | instid1(SALU_CYCLE_1)
	s_ashr_i32 s3, s3, 5
	s_cmp_lt_i32 s3, 8
	s_cbranch_scc1 .LBB109_11
; %bb.5:
	s_cmp_lt_i32 s3, 16
	s_cbranch_scc1 .LBB109_12
; %bb.6:
	s_cmp_lt_i32 s3, 32
	s_cbranch_scc1 .LBB109_13
; %bb.7:
	v_mov_b32_e32 v1, v38
	s_cmp_eq_u32 s3, 32
	s_cbranch_scc0 .LBB109_9
; %bb.8:
	s_delay_alu instid0(VALU_DEP_1) | instskip(SKIP_1) | instid1(VALU_DEP_1)
	v_mov_b32_dpp v1, v38 quad_perm:[1,0,3,2] row_mask:0xf bank_mask:0xf
	s_mov_b32 s12, 0x76543210
	v_cmp_gt_f32_e32 vcc_lo, v38, v1
	v_cndmask_b32_e32 v1, v1, v38, vcc_lo
	s_delay_alu instid0(VALU_DEP_1) | instskip(NEXT) | instid1(VALU_DEP_1)
	v_mov_b32_dpp v2, v1 quad_perm:[2,3,0,1] row_mask:0xf bank_mask:0xf
	v_cmp_gt_f32_e32 vcc_lo, v1, v2
	v_cndmask_b32_e32 v1, v2, v1, vcc_lo
	s_delay_alu instid0(VALU_DEP_1) | instskip(NEXT) | instid1(VALU_DEP_1)
	v_mov_b32_dpp v2, v1 row_xmask:7 row_mask:0xf bank_mask:0xf
	v_cmp_gt_f32_e32 vcc_lo, v1, v2
	v_cndmask_b32_e32 v1, v2, v1, vcc_lo
	s_delay_alu instid0(VALU_DEP_1) | instskip(NEXT) | instid1(VALU_DEP_1)
	v_mov_b32_dpp v2, v1 row_xmask:15 row_mask:0xf bank_mask:0xf
	v_cmp_gt_f32_e32 vcc_lo, v1, v2
	v_cndmask_b32_e32 v1, v2, v1, vcc_lo
	s_delay_alu instid0(VALU_DEP_1) | instskip(NEXT) | instid1(VALU_DEP_1)
	v_permlanex16_b32 v2, v1, s12, 0xfedcba98 op_sel:[1,1]
	v_cmp_gt_f32_e32 vcc_lo, v1, v2
	v_cndmask_b32_e32 v1, v2, v1, vcc_lo
.LBB109_9:
	s_mov_b32 s12, 0
	s_branch .LBB109_14
.LBB109_10:
	s_mov_b32 s3, 0
                                        ; implicit-def: $vgpr37
                                        ; implicit-def: $vgpr1_vgpr2
	s_and_b32 vcc_lo, exec_lo, s15
	s_cbranch_vccnz .LBB109_38
	s_branch .LBB109_41
.LBB109_11:
                                        ; implicit-def: $vgpr1
	s_branch .LBB109_21
.LBB109_12:
                                        ; implicit-def: $vgpr1
	s_branch .LBB109_18
.LBB109_13:
	s_mov_b32 s12, -1
                                        ; implicit-def: $vgpr1
.LBB109_14:
	s_delay_alu instid0(SALU_CYCLE_1)
	s_and_not1_b32 vcc_lo, exec_lo, s12
	s_cbranch_vccnz .LBB109_17
; %bb.15:
	v_mov_b32_e32 v1, v38
	s_cmp_eq_u32 s3, 16
	s_cbranch_scc0 .LBB109_17
; %bb.16:
	s_delay_alu instid0(VALU_DEP_1) | instskip(NEXT) | instid1(VALU_DEP_1)
	v_mov_b32_dpp v1, v38 quad_perm:[1,0,3,2] row_mask:0xf bank_mask:0xf
	v_cmp_gt_f32_e32 vcc_lo, v38, v1
	v_cndmask_b32_e32 v1, v1, v38, vcc_lo
	s_delay_alu instid0(VALU_DEP_1) | instskip(NEXT) | instid1(VALU_DEP_1)
	v_mov_b32_dpp v2, v1 quad_perm:[2,3,0,1] row_mask:0xf bank_mask:0xf
	v_cmp_gt_f32_e32 vcc_lo, v1, v2
	v_cndmask_b32_e32 v1, v2, v1, vcc_lo
	s_delay_alu instid0(VALU_DEP_1) | instskip(NEXT) | instid1(VALU_DEP_1)
	v_mov_b32_dpp v2, v1 row_half_mirror row_mask:0xf bank_mask:0xf
	v_cmp_gt_f32_e32 vcc_lo, v1, v2
	v_cndmask_b32_e32 v1, v2, v1, vcc_lo
	s_delay_alu instid0(VALU_DEP_1) | instskip(NEXT) | instid1(VALU_DEP_1)
	v_mov_b32_dpp v2, v1 row_mirror row_mask:0xf bank_mask:0xf
	v_cmp_gt_f32_e32 vcc_lo, v1, v2
	v_cndmask_b32_e32 v1, v2, v1, vcc_lo
.LBB109_17:
	s_cbranch_execnz .LBB109_20
.LBB109_18:
	v_mov_b32_e32 v1, v38
	s_cmp_eq_u32 s3, 8
	s_cbranch_scc0 .LBB109_20
; %bb.19:
	s_delay_alu instid0(VALU_DEP_1) | instskip(NEXT) | instid1(VALU_DEP_1)
	v_mov_b32_dpp v1, v38 quad_perm:[1,0,3,2] row_mask:0xf bank_mask:0xf
	v_cmp_gt_f32_e32 vcc_lo, v38, v1
	v_cndmask_b32_e32 v1, v1, v38, vcc_lo
	s_delay_alu instid0(VALU_DEP_1) | instskip(NEXT) | instid1(VALU_DEP_1)
	v_mov_b32_dpp v2, v1 quad_perm:[2,3,0,1] row_mask:0xf bank_mask:0xf
	v_cmp_gt_f32_e32 vcc_lo, v1, v2
	v_cndmask_b32_e32 v1, v2, v1, vcc_lo
	s_delay_alu instid0(VALU_DEP_1) | instskip(NEXT) | instid1(VALU_DEP_1)
	v_mov_b32_dpp v2, v1 row_half_mirror row_mask:0xf bank_mask:0xf
	v_cmp_gt_f32_e32 vcc_lo, v1, v2
	v_cndmask_b32_e32 v1, v2, v1, vcc_lo
.LBB109_20:
	s_cbranch_execnz .LBB109_28
.LBB109_21:
	s_cmp_lt_i32 s3, 4
	s_cbranch_scc1 .LBB109_24
; %bb.22:
	v_mov_b32_e32 v1, v38
	s_cmp_eq_u32 s3, 4
	s_cbranch_scc0 .LBB109_25
; %bb.23:
	s_delay_alu instid0(VALU_DEP_1) | instskip(NEXT) | instid1(VALU_DEP_1)
	v_mov_b32_dpp v1, v38 quad_perm:[1,0,3,2] row_mask:0xf bank_mask:0xf
	v_cmp_gt_f32_e32 vcc_lo, v38, v1
	v_cndmask_b32_e32 v1, v1, v38, vcc_lo
	s_delay_alu instid0(VALU_DEP_1) | instskip(NEXT) | instid1(VALU_DEP_1)
	v_mov_b32_dpp v2, v1 quad_perm:[2,3,0,1] row_mask:0xf bank_mask:0xf
	v_cmp_gt_f32_e32 vcc_lo, v1, v2
	v_cndmask_b32_e32 v1, v2, v1, vcc_lo
	s_cbranch_execz .LBB109_26
	s_branch .LBB109_28
.LBB109_24:
                                        ; implicit-def: $vgpr1
	s_branch .LBB109_26
.LBB109_25:
	s_cbranch_execnz .LBB109_28
.LBB109_26:
	v_mov_b32_e32 v1, v38
	s_cmp_lg_u32 s3, 2
	s_cbranch_scc1 .LBB109_28
; %bb.27:
	s_delay_alu instid0(VALU_DEP_1) | instskip(NEXT) | instid1(VALU_DEP_1)
	v_mov_b32_dpp v1, v38 quad_perm:[1,0,3,2] row_mask:0xf bank_mask:0xf
	v_cmp_gt_f32_e32 vcc_lo, v38, v1
	v_cndmask_b32_e32 v1, v1, v38, vcc_lo
.LBB109_28:
	v_cvt_f32_u32_e32 v2, s3
	s_sub_i32 s12, 0, s3
	s_mov_b32 s15, 0
	s_delay_alu instid0(VALU_DEP_1) | instskip(SKIP_2) | instid1(VALU_DEP_1)
	v_rcp_iflag_f32_e32 v2, v2
	s_waitcnt_depctr 0xfff
	v_mul_f32_e32 v2, 0x4f7ffffe, v2
	v_cvt_u32_f32_e32 v2, v2
	s_delay_alu instid0(VALU_DEP_1) | instskip(NEXT) | instid1(VALU_DEP_1)
	v_mul_lo_u32 v39, s12, v2
	v_mul_hi_u32 v39, v2, v39
	s_delay_alu instid0(VALU_DEP_1) | instskip(NEXT) | instid1(VALU_DEP_1)
	v_add_nc_u32_e32 v2, v2, v39
	v_mul_hi_u32 v2, v0, v2
	s_delay_alu instid0(VALU_DEP_1) | instskip(SKIP_1) | instid1(VALU_DEP_2)
	v_mul_lo_u32 v39, v2, s3
	v_add_nc_u32_e32 v40, 1, v2
	v_sub_nc_u32_e32 v39, v0, v39
	s_delay_alu instid0(VALU_DEP_1) | instskip(SKIP_1) | instid1(VALU_DEP_2)
	v_subrev_nc_u32_e32 v41, s3, v39
	v_cmp_le_u32_e32 vcc_lo, s3, v39
	v_dual_cndmask_b32 v2, v2, v40 :: v_dual_cndmask_b32 v39, v39, v41
	s_delay_alu instid0(VALU_DEP_1) | instskip(NEXT) | instid1(VALU_DEP_2)
	v_add_nc_u32_e32 v40, 1, v2
	v_cmp_le_u32_e32 vcc_lo, s3, v39
	s_delay_alu instid0(VALU_DEP_2) | instskip(SKIP_2) | instid1(VALU_DEP_3)
	v_cndmask_b32_e32 v39, v2, v40, vcc_lo
	v_cmp_gt_u32_e32 vcc_lo, s5, v37
	v_mul_f32_e32 v37, 0x3c010204, v1
	v_mul_lo_u32 v2, v39, s3
	s_delay_alu instid0(VALU_DEP_1) | instskip(NEXT) | instid1(VALU_DEP_1)
	v_sub_nc_u32_e32 v2, v0, v2
	v_cmp_eq_u32_e64 s3, 0, v2
                                        ; implicit-def: $vgpr1_vgpr2
	s_delay_alu instid0(VALU_DEP_1) | instskip(SKIP_2) | instid1(SALU_CYCLE_1)
	s_and_b32 s12, s3, vcc_lo
	s_mov_b32 s3, 0
	s_and_saveexec_b32 s13, s12
	s_xor_b32 s14, exec_lo, s13
	s_cbranch_execz .LBB109_37
; %bb.29:
	s_bitcmp0_b32 s10, 0
	s_mov_b32 s16, 0
	s_cbranch_scc0 .LBB109_34
; %bb.30:
	s_ashr_i32 s3, s5, 31
	s_mul_hi_u32 s10, s5, s20
	s_mul_i32 s3, s3, s20
	s_mul_i32 s12, s5, s20
	s_add_i32 s13, s10, s3
	s_mov_b32 s10, s7
	s_delay_alu instid0(SALU_CYCLE_1) | instskip(NEXT) | instid1(SALU_CYCLE_1)
	s_or_b64 s[18:19], s[12:13], s[10:11]
	s_mov_b32 s17, s19
	s_delay_alu instid0(SALU_CYCLE_1)
	s_cmp_lg_u64 s[16:17], 0
	s_cbranch_scc0 .LBB109_45
; %bb.31:
	s_add_u32 s18, s10, s11
	s_mov_b32 s16, s11
	s_mov_b32 s17, s11
	s_addc_u32 s19, s11, s11
	s_delay_alu instid0(SALU_CYCLE_1) | instskip(NEXT) | instid1(SALU_CYCLE_1)
	s_xor_b64 s[18:19], s[18:19], s[16:17]
	v_cvt_f32_u32_e32 v1, s18
	v_cvt_f32_u32_e32 v2, s19
	s_sub_u32 s11, 0, s18
	s_subb_u32 s22, 0, s19
	s_delay_alu instid0(VALU_DEP_1) | instskip(NEXT) | instid1(VALU_DEP_1)
	v_fmamk_f32 v1, v2, 0x4f800000, v1
	v_rcp_f32_e32 v1, v1
	s_waitcnt_depctr 0xfff
	v_mul_f32_e32 v1, 0x5f7ffffc, v1
	s_delay_alu instid0(VALU_DEP_1) | instskip(NEXT) | instid1(VALU_DEP_1)
	v_mul_f32_e32 v2, 0x2f800000, v1
	v_trunc_f32_e32 v2, v2
	s_delay_alu instid0(VALU_DEP_1) | instskip(SKIP_1) | instid1(VALU_DEP_2)
	v_fmamk_f32 v1, v2, 0xcf800000, v1
	v_cvt_u32_f32_e32 v2, v2
	v_cvt_u32_f32_e32 v1, v1
	s_delay_alu instid0(VALU_DEP_2) | instskip(NEXT) | instid1(VALU_DEP_2)
	v_readfirstlane_b32 s3, v2
	v_readfirstlane_b32 s7, v1
	s_delay_alu instid0(VALU_DEP_2) | instskip(NEXT) | instid1(VALU_DEP_1)
	s_mul_i32 s23, s11, s3
	s_mul_hi_u32 s25, s11, s7
	s_mul_i32 s24, s22, s7
	s_add_i32 s23, s25, s23
	s_mul_i32 s26, s11, s7
	s_add_i32 s23, s23, s24
	s_mul_hi_u32 s25, s7, s26
	s_mul_hi_u32 s27, s3, s26
	s_mul_i32 s24, s3, s26
	s_mul_hi_u32 s26, s7, s23
	s_mul_i32 s7, s7, s23
	s_mul_hi_u32 s28, s3, s23
	s_add_u32 s7, s25, s7
	s_addc_u32 s25, 0, s26
	s_add_u32 s7, s7, s24
	s_mul_i32 s23, s3, s23
	s_addc_u32 s7, s25, s27
	s_addc_u32 s24, s28, 0
	s_add_u32 s7, s7, s23
	s_addc_u32 s23, 0, s24
	v_add_co_u32 v1, s7, v1, s7
	s_delay_alu instid0(VALU_DEP_1) | instskip(SKIP_1) | instid1(VALU_DEP_1)
	s_cmp_lg_u32 s7, 0
	s_addc_u32 s3, s3, s23
	v_readfirstlane_b32 s7, v1
	s_mul_i32 s23, s11, s3
	s_delay_alu instid0(VALU_DEP_1)
	s_mul_hi_u32 s24, s11, s7
	s_mul_i32 s22, s22, s7
	s_add_i32 s23, s24, s23
	s_mul_i32 s11, s11, s7
	s_add_i32 s23, s23, s22
	s_mul_hi_u32 s24, s3, s11
	s_mul_i32 s25, s3, s11
	s_mul_hi_u32 s11, s7, s11
	s_mul_hi_u32 s26, s7, s23
	s_mul_i32 s7, s7, s23
	s_mul_hi_u32 s22, s3, s23
	s_add_u32 s7, s11, s7
	s_addc_u32 s11, 0, s26
	s_add_u32 s7, s7, s25
	s_mul_i32 s23, s3, s23
	s_addc_u32 s7, s11, s24
	s_addc_u32 s11, s22, 0
	s_add_u32 s7, s7, s23
	s_addc_u32 s11, 0, s11
	v_add_co_u32 v1, s7, v1, s7
	s_delay_alu instid0(VALU_DEP_1) | instskip(SKIP_2) | instid1(VALU_DEP_1)
	s_cmp_lg_u32 s7, 0
	s_addc_u32 s3, s3, s11
	s_ashr_i32 s22, s13, 31
	v_readfirstlane_b32 s7, v1
	s_add_u32 s24, s12, s22
	s_mov_b32 s23, s22
	s_addc_u32 s25, s13, s22
	s_delay_alu instid0(SALU_CYCLE_1) | instskip(NEXT) | instid1(SALU_CYCLE_1)
	s_xor_b64 s[24:25], s[24:25], s[22:23]
	s_mul_i32 s13, s24, s3
	s_mul_hi_u32 s26, s24, s7
	s_mul_hi_u32 s11, s24, s3
	;; [unrolled: 1-line block ×3, first 2 shown]
	s_mul_i32 s7, s25, s7
	s_add_u32 s13, s26, s13
	s_addc_u32 s11, 0, s11
	s_mul_hi_u32 s27, s25, s3
	s_add_u32 s7, s13, s7
	s_mul_i32 s3, s25, s3
	s_addc_u32 s7, s11, s28
	s_addc_u32 s11, s27, 0
	s_add_u32 s7, s7, s3
	s_addc_u32 s11, 0, s11
	s_mul_i32 s27, s18, s7
	s_mul_hi_u32 s3, s18, s7
	s_mul_i32 s26, s18, s11
	v_sub_co_u32 v1, s24, s24, s27
	s_mul_i32 s13, s19, s7
	s_add_i32 s3, s3, s26
	s_delay_alu instid0(SALU_CYCLE_1) | instskip(NEXT) | instid1(VALU_DEP_1)
	s_add_i32 s3, s3, s13
	v_sub_co_u32 v2, s26, v1, s18
	s_sub_i32 s13, s25, s3
	s_cmp_lg_u32 s24, 0
	s_subb_u32 s13, s13, s19
	s_cmp_lg_u32 s26, 0
	v_cmp_le_u32_e32 vcc_lo, s18, v2
	s_subb_u32 s13, s13, 0
	s_delay_alu instid0(SALU_CYCLE_1)
	s_cmp_ge_u32 s13, s19
	v_cndmask_b32_e64 v2, 0, -1, vcc_lo
	s_cselect_b32 s26, -1, 0
	s_cmp_eq_u32 s13, s19
	s_cselect_b32 vcc_lo, -1, 0
	s_add_u32 s13, s7, 1
	v_cndmask_b32_e32 v2, s26, v2, vcc_lo
	s_addc_u32 s26, s11, 0
	s_add_u32 s27, s7, 2
	s_addc_u32 s28, s11, 0
	s_cmp_lg_u32 s24, 0
	v_cmp_le_u32_e32 vcc_lo, s18, v1
	s_subb_u32 s3, s25, s3
	v_mov_b32_e32 v40, s27
	s_cmp_ge_u32 s3, s19
	v_cndmask_b32_e64 v1, 0, -1, vcc_lo
	s_cselect_b32 s18, -1, 0
	s_cmp_eq_u32 s3, s19
	v_cmp_ne_u32_e32 vcc_lo, 0, v2
	v_mov_b32_e32 v2, s28
	s_cselect_b32 s3, -1, 0
	s_xor_b64 s[16:17], s[22:23], s[16:17]
	v_cndmask_b32_e64 v1, s18, v1, s3
	v_cndmask_b32_e32 v40, s13, v40, vcc_lo
	v_cndmask_b32_e32 v2, s26, v2, vcc_lo
	s_delay_alu instid0(VALU_DEP_3) | instskip(NEXT) | instid1(VALU_DEP_2)
	v_cmp_ne_u32_e32 vcc_lo, 0, v1
	v_cndmask_b32_e32 v1, s11, v2, vcc_lo
	s_delay_alu instid0(VALU_DEP_4) | instskip(NEXT) | instid1(VALU_DEP_2)
	v_cndmask_b32_e32 v2, s7, v40, vcc_lo
	v_xor_b32_e32 v40, s17, v1
	s_delay_alu instid0(VALU_DEP_2) | instskip(NEXT) | instid1(VALU_DEP_1)
	v_xor_b32_e32 v2, s16, v2
	v_sub_co_u32 v1, vcc_lo, v2, s16
	s_delay_alu instid0(VALU_DEP_3)
	v_subrev_co_ci_u32_e32 v2, vcc_lo, s17, v40, vcc_lo
	s_cbranch_execnz .LBB109_33
.LBB109_32:
	v_cvt_f32_u32_e32 v1, s10
	s_sub_i32 s7, 0, s10
	s_delay_alu instid0(VALU_DEP_1) | instskip(SKIP_2) | instid1(VALU_DEP_1)
	v_rcp_iflag_f32_e32 v1, v1
	s_waitcnt_depctr 0xfff
	v_mul_f32_e32 v1, 0x4f7ffffe, v1
	v_cvt_u32_f32_e32 v1, v1
	s_delay_alu instid0(VALU_DEP_1) | instskip(NEXT) | instid1(VALU_DEP_1)
	v_readfirstlane_b32 s3, v1
	s_mul_i32 s7, s7, s3
	s_delay_alu instid0(SALU_CYCLE_1) | instskip(NEXT) | instid1(SALU_CYCLE_1)
	s_mul_hi_u32 s7, s3, s7
	s_add_i32 s3, s3, s7
	s_delay_alu instid0(SALU_CYCLE_1) | instskip(NEXT) | instid1(SALU_CYCLE_1)
	s_mul_hi_u32 s3, s12, s3
	s_mul_i32 s7, s3, s10
	s_add_i32 s11, s3, 1
	s_sub_i32 s7, s12, s7
	s_delay_alu instid0(SALU_CYCLE_1)
	s_sub_i32 s12, s7, s10
	s_cmp_ge_u32 s7, s10
	s_cselect_b32 s3, s11, s3
	s_cselect_b32 s7, s12, s7
	s_add_i32 s12, s3, 1
	s_cmp_ge_u32 s7, s10
	s_mov_b32 s11, 0
	s_cselect_b32 s10, s12, s3
	s_delay_alu instid0(SALU_CYCLE_1)
	v_dual_mov_b32 v1, s10 :: v_dual_mov_b32 v2, s11
.LBB109_33:
	s_delay_alu instid0(VALU_DEP_1) | instskip(NEXT) | instid1(VALU_DEP_2)
	v_add_co_u32 v1, vcc_lo, v1, v39
	v_add_co_ci_u32_e32 v2, vcc_lo, 0, v2, vcc_lo
	s_branch .LBB109_36
.LBB109_34:
                                        ; implicit-def: $vgpr1_vgpr2
	s_cbranch_execz .LBB109_36
; %bb.35:
	v_mul_lo_u32 v1, v39, s4
	s_delay_alu instid0(VALU_DEP_1) | instskip(SKIP_1) | instid1(VALU_DEP_2)
	v_ashrrev_i32_e32 v2, 31, v1
	v_add_co_u32 v1, vcc_lo, v1, s20
	v_add_co_ci_u32_e32 v2, vcc_lo, 0, v2, vcc_lo
.LBB109_36:
	s_mov_b32 s3, exec_lo
.LBB109_37:
	s_or_b32 exec_lo, exec_lo, s14
	s_delay_alu instid0(SALU_CYCLE_1)
	s_and_b32 vcc_lo, exec_lo, s15
	s_cbranch_vccz .LBB109_41
.LBB109_38:
	v_mov_b32_dpp v1, v38 quad_perm:[1,0,3,2] row_mask:0xf bank_mask:0xf
	s_delay_alu instid0(VALU_DEP_1) | instskip(SKIP_1) | instid1(VALU_DEP_1)
	v_cmp_gt_f32_e32 vcc_lo, v38, v1
	v_cndmask_b32_e32 v1, v1, v38, vcc_lo
	v_mov_b32_dpp v2, v1 quad_perm:[2,3,0,1] row_mask:0xf bank_mask:0xf
	s_delay_alu instid0(VALU_DEP_1) | instskip(SKIP_1) | instid1(VALU_DEP_1)
	v_cmp_gt_f32_e32 vcc_lo, v1, v2
	v_cndmask_b32_e32 v1, v2, v1, vcc_lo
	v_mov_b32_dpp v2, v1 row_xmask:7 row_mask:0xf bank_mask:0xf
	s_delay_alu instid0(VALU_DEP_1) | instskip(SKIP_1) | instid1(VALU_DEP_1)
	v_cmp_gt_f32_e32 vcc_lo, v1, v2
	v_cndmask_b32_e32 v1, v2, v1, vcc_lo
	v_mov_b32_dpp v2, v1 row_xmask:15 row_mask:0xf bank_mask:0xf
	s_delay_alu instid0(VALU_DEP_1)
	v_cmp_gt_f32_e32 vcc_lo, v1, v2
	s_and_saveexec_b32 s3, s2
	s_cbranch_execz .LBB109_40
; %bb.39:
	v_cndmask_b32_e32 v1, v2, v1, vcc_lo
	v_lshrrev_b32_e32 v2, 3, v0
	s_mov_b32 s2, 0x76543210
	s_delay_alu instid0(VALU_DEP_1) | instskip(NEXT) | instid1(VALU_DEP_3)
	v_and_b32_e32 v2, 0x7c, v2
	v_permlanex16_b32 v37, v1, s2, 0xfedcba98 op_sel:[1,1]
	s_delay_alu instid0(VALU_DEP_1)
	v_cmp_gt_f32_e32 vcc_lo, v1, v37
	v_cndmask_b32_e32 v1, v37, v1, vcc_lo
	ds_store_b32 v2, v1
.LBB109_40:
	s_or_b32 exec_lo, exec_lo, s3
	s_waitcnt lgkmcnt(0)
	s_barrier
	buffer_gl0_inv
	ds_load_b32 v1, v18
	v_cmp_eq_u32_e64 s3, 0, v0
	s_waitcnt lgkmcnt(0)
	v_mov_b32_dpp v2, v1 quad_perm:[1,0,3,2] row_mask:0xf bank_mask:0xf
	s_delay_alu instid0(VALU_DEP_1) | instskip(SKIP_1) | instid1(VALU_DEP_1)
	v_cmp_gt_f32_e32 vcc_lo, v1, v2
	v_cndmask_b32_e32 v1, v2, v1, vcc_lo
	v_mov_b32_dpp v2, v1 quad_perm:[2,3,0,1] row_mask:0xf bank_mask:0xf
	s_delay_alu instid0(VALU_DEP_1) | instskip(SKIP_1) | instid1(VALU_DEP_1)
	v_cmp_gt_f32_e32 vcc_lo, v1, v2
	v_cndmask_b32_e32 v1, v2, v1, vcc_lo
	v_mov_b32_dpp v2, v1 row_xmask:7 row_mask:0xf bank_mask:0xf
	s_delay_alu instid0(VALU_DEP_1) | instskip(SKIP_1) | instid1(VALU_DEP_1)
	v_cmp_gt_f32_e32 vcc_lo, v1, v2
	v_cndmask_b32_e32 v1, v2, v1, vcc_lo
	v_mul_f32_e32 v37, 0x3c010204, v1
	v_dual_mov_b32 v1, s20 :: v_dual_mov_b32 v2, s21
.LBB109_41:
	s_and_saveexec_b32 s2, s3
	s_cbranch_execz .LBB109_43
; %bb.42:
	s_delay_alu instid0(VALU_DEP_1) | instskip(NEXT) | instid1(VALU_DEP_1)
	v_lshlrev_b64 v[0:1], 2, v[1:2]
	v_add_co_u32 v0, vcc_lo, s8, v0
	s_delay_alu instid0(VALU_DEP_2)
	v_add_co_ci_u32_e32 v1, vcc_lo, s9, v1, vcc_lo
	global_store_b32 v[0:1], v37, off
.LBB109_43:
	s_or_b32 exec_lo, exec_lo, s2
	;;#ASMSTART
	v_rcp_f32 v2, v37
	;;#ASMEND
	v_mul_f32_e32 v23, v2, v23
	v_mul_f32_e32 v18, v2, v35
	;; [unrolled: 1-line block ×4, first 2 shown]
	s_load_b64 s[0:1], s[0:1], 0x0
	v_cvt_i32_f32_e32 v23, v23
	v_mul_f32_e32 v30, v2, v30
	v_cvt_i32_f32_e32 v18, v18
	v_cvt_i32_f32_e32 v21, v21
	;; [unrolled: 1-line block ×3, first 2 shown]
	v_and_b32_e32 v23, 0xff, v23
	v_cvt_i32_f32_e32 v30, v30
	v_mul_f32_e32 v32, v2, v32
	v_lshlrev_b16 v18, 8, v18
	v_lshlrev_b16 v24, 8, v24
	v_mul_f32_e32 v13, v2, v13
	v_mul_f32_e32 v22, v2, v22
	v_cvt_i32_f32_e32 v32, v32
	v_mul_f32_e32 v1, v2, v34
	v_or_b32_e32 v23, v23, v24
	v_cvt_i32_f32_e32 v13, v13
	v_mul_f32_e32 v14, v2, v14
	v_and_b32_e32 v32, 0xff, v32
	v_cvt_i32_f32_e32 v1, v1
	v_mul_f32_e32 v0, v2, v36
	v_cvt_i32_f32_e32 v22, v22
	v_and_b32_e32 v13, 0xff, v13
	v_cvt_i32_f32_e32 v14, v14
	v_and_b32_e32 v1, 0xff, v1
	v_cvt_i32_f32_e32 v0, v0
	v_mul_f32_e32 v33, v2, v33
	s_add_i32 s2, s5, 3
	s_ashr_i32 s3, s6, 31
	v_or_b32_e32 v1, v1, v18
	v_and_b32_e32 v0, 0xff, v0
	v_cvt_i32_f32_e32 v33, v33
	s_mul_hi_u32 s4, s6, s20
	s_mul_i32 s5, s6, s20
	v_and_b32_e32 v1, 0xffff, v1
	s_ashr_i32 s6, s2, 31
	v_lshlrev_b16 v33, 8, v33
	s_lshr_b32 s6, s6, 30
	v_lshlrev_b16 v22, 8, v22
	v_mul_f32_e32 v12, v2, v12
	v_lshlrev_b16 v14, 8, v14
	v_or_b32_e32 v18, v32, v33
	v_mul_f32_e32 v31, v2, v31
	s_mul_i32 s3, s3, s20
	s_add_i32 s2, s2, s6
	v_and_b32_e32 v21, 0xff, v21
	v_lshlrev_b32_e32 v18, 16, v18
	v_cvt_i32_f32_e32 v31, v31
	s_add_i32 s4, s4, s3
	s_and_b32 s2, s2, -4
	s_waitcnt lgkmcnt(0)
	s_add_u32 s0, s0, s5
	v_or_b32_e32 v1, v1, v18
	v_lshlrev_b16 v31, 8, v31
	v_mul_f32_e32 v18, v2, v27
	v_or_b32_e32 v21, v21, v22
	v_or_b32_e32 v13, v13, v14
	v_cvt_i32_f32_e32 v12, v12
	v_or_b32_e32 v0, v0, v31
	v_mul_f32_e32 v29, v2, v29
	v_cvt_i32_f32_e32 v18, v18
	v_mul_f32_e32 v27, v2, v28
	v_dual_mul_f32 v15, v2, v15 :: v_dual_and_b32 v12, 0xff, v12
	v_and_b32_e32 v0, 0xffff, v0
	v_cvt_i32_f32_e32 v29, v29
	v_mul_f32_e32 v7, v2, v7
	v_mul_f32_e32 v5, v2, v5
	s_addc_u32 s1, s1, s4
	s_mov_b32 s3, -1
	v_lshlrev_b16 v28, 8, v29
	v_and_b32_e32 v29, 0xff, v30
	s_and_b32 s1, s1, 0xffff
	v_cvt_i32_f32_e32 v15, v15
	v_mul_f32_e32 v16, v2, v16
	v_mul_f32_e32 v11, v2, v11
	v_or_b32_e32 v28, v29, v28
	v_mul_f32_e32 v25, v2, v25
	v_dual_mul_f32 v10, v2, v10 :: v_dual_lshlrev_b32 v13, 16, v13
	s_delay_alu instid0(VALU_DEP_3) | instskip(NEXT) | instid1(VALU_DEP_3)
	v_dual_mul_f32 v9, v2, v9 :: v_dual_lshlrev_b32 v24, 16, v28
	v_cvt_i32_f32_e32 v25, v25
	v_mul_f32_e32 v26, v2, v26
	v_mul_f32_e32 v6, v2, v6
	;; [unrolled: 1-line block ×3, first 2 shown]
	v_or_b32_e32 v0, v0, v24
	v_and_b32_e32 v25, 0xff, v25
	v_cvt_i32_f32_e32 v26, v26
	v_cvt_i32_f32_e32 v5, v5
	v_mul_f32_e32 v8, v2, v8
	buffer_store_b64 v[0:1], v17, s[0:3], 0 offen
	v_mul_f32_e32 v0, v2, v20
	v_lshlrev_b16 v26, 8, v26
	v_and_b32_e32 v5, 0xff, v5
	v_mul_f32_e32 v1, v2, v19
	v_mul_f32_e32 v2, v2, v3
	v_cvt_i32_f32_e32 v3, v7
	v_or_b32_e32 v22, v25, v26
	v_and_b32_e32 v18, 0xff, v18
	v_cvt_i32_f32_e32 v27, v27
	v_cvt_i32_f32_e32 v2, v2
	v_and_b32_e32 v3, 0xff, v3
	v_lshlrev_b32_e32 v25, 16, v22
	v_cvt_i32_f32_e32 v4, v4
	v_cvt_i32_f32_e32 v0, v0
	v_and_b32_e32 v2, 0xff, v2
	v_cvt_i32_f32_e32 v1, v1
	v_and_b32_e32 v15, 0xff, v15
	v_lshlrev_b16 v4, 8, v4
	v_cvt_i32_f32_e32 v16, v16
	v_cvt_i32_f32_e32 v11, v11
	;; [unrolled: 1-line block ×4, first 2 shown]
	v_or_b32_e32 v2, v2, v4
	v_lshlrev_b16 v27, 8, v27
	v_lshlrev_b16 v16, 8, v16
	;; [unrolled: 1-line block ×3, first 2 shown]
	v_and_b32_e32 v0, 0xff, v0
	v_lshlrev_b32_e32 v2, 16, v2
	v_cvt_i32_f32_e32 v9, v9
	v_lshlrev_b16 v11, 8, v11
	v_lshlrev_b16 v8, 8, v10
	;; [unrolled: 1-line block ×3, first 2 shown]
	v_or_b32_e32 v18, v18, v27
	v_and_b32_e32 v9, 0xff, v9
	v_cvt_i32_f32_e32 v6, v6
	v_or_b32_e32 v15, v15, v16
	v_or_b32_e32 v0, v0, v1
	;; [unrolled: 1-line block ×4, first 2 shown]
	v_lshlrev_b16 v6, 8, v6
	v_or_b32_e32 v3, v3, v7
	v_and_b32_e32 v23, 0xffff, v23
	v_lshlrev_b32_e32 v21, 16, v21
	v_and_b32_e32 v18, 0xffff, v18
	v_or_b32_e32 v5, v5, v6
	v_and_b32_e32 v1, 0xffff, v15
	v_and_b32_e32 v0, 0xffff, v0
	v_lshlrev_b32_e32 v6, 16, v10
	v_and_b32_e32 v4, 0xffff, v4
	v_and_b32_e32 v5, 0xffff, v5
	v_lshlrev_b32_e32 v7, 16, v3
	v_or_b32_e32 v22, v23, v21
	v_or_b32_e32 v21, v18, v25
	;; [unrolled: 1-line block ×4, first 2 shown]
	s_movk_i32 s4, 0x100
	v_or_b32_e32 v3, v5, v2
	v_or_b32_e32 v2, v4, v7
	;;#ASMSTART
	s_nop 0
	;;#ASMEND
	buffer_store_b64 v[21:22], v17, s[0:3], s4 offen
	s_movk_i32 s4, 0x200
	;;#ASMSTART
	s_nop 0
	;;#ASMEND
	buffer_store_b64 v[0:1], v17, s[0:3], s4 offen
	s_movk_i32 s4, 0x300
	;;#ASMSTART
	s_nop 0
	;;#ASMEND
	buffer_store_b64 v[2:3], v17, s[0:3], s4 offen
	;;#ASMSTART
	s_nop 0
	;;#ASMEND
.LBB109_44:
	s_nop 0
	s_sendmsg sendmsg(MSG_DEALLOC_VGPRS)
	s_endpgm
.LBB109_45:
                                        ; implicit-def: $vgpr1_vgpr2
	s_branch .LBB109_32
	.section	.rodata,"a",@progbits
	.p2align	6, 0x0
	.amdhsa_kernel _ZN5aiter24add_rmsnorm_quant_kernelIDF16_aLi256ELi32ELb0ELb1ELb1ELi1EEEvPT0_PT_PfS4_S4_S4_diiiiiiib
		.amdhsa_group_segment_fixed_size 64
		.amdhsa_private_segment_fixed_size 0
		.amdhsa_kernarg_size 88
		.amdhsa_user_sgpr_count 15
		.amdhsa_user_sgpr_dispatch_ptr 0
		.amdhsa_user_sgpr_queue_ptr 0
		.amdhsa_user_sgpr_kernarg_segment_ptr 1
		.amdhsa_user_sgpr_dispatch_id 0
		.amdhsa_user_sgpr_private_segment_size 0
		.amdhsa_wavefront_size32 1
		.amdhsa_uses_dynamic_stack 0
		.amdhsa_enable_private_segment 0
		.amdhsa_system_sgpr_workgroup_id_x 1
		.amdhsa_system_sgpr_workgroup_id_y 0
		.amdhsa_system_sgpr_workgroup_id_z 0
		.amdhsa_system_sgpr_workgroup_info 0
		.amdhsa_system_vgpr_workitem_id 0
		.amdhsa_next_free_vgpr 80
		.amdhsa_next_free_sgpr 29
		.amdhsa_reserve_vcc 1
		.amdhsa_float_round_mode_32 0
		.amdhsa_float_round_mode_16_64 0
		.amdhsa_float_denorm_mode_32 3
		.amdhsa_float_denorm_mode_16_64 3
		.amdhsa_dx10_clamp 1
		.amdhsa_ieee_mode 1
		.amdhsa_fp16_overflow 0
		.amdhsa_workgroup_processor_mode 1
		.amdhsa_memory_ordered 1
		.amdhsa_forward_progress 0
		.amdhsa_shared_vgpr_count 0
		.amdhsa_exception_fp_ieee_invalid_op 0
		.amdhsa_exception_fp_denorm_src 0
		.amdhsa_exception_fp_ieee_div_zero 0
		.amdhsa_exception_fp_ieee_overflow 0
		.amdhsa_exception_fp_ieee_underflow 0
		.amdhsa_exception_fp_ieee_inexact 0
		.amdhsa_exception_int_div_zero 0
	.end_amdhsa_kernel
	.section	.text._ZN5aiter24add_rmsnorm_quant_kernelIDF16_aLi256ELi32ELb0ELb1ELb1ELi1EEEvPT0_PT_PfS4_S4_S4_diiiiiiib,"axG",@progbits,_ZN5aiter24add_rmsnorm_quant_kernelIDF16_aLi256ELi32ELb0ELb1ELb1ELi1EEEvPT0_PT_PfS4_S4_S4_diiiiiiib,comdat
.Lfunc_end109:
	.size	_ZN5aiter24add_rmsnorm_quant_kernelIDF16_aLi256ELi32ELb0ELb1ELb1ELi1EEEvPT0_PT_PfS4_S4_S4_diiiiiiib, .Lfunc_end109-_ZN5aiter24add_rmsnorm_quant_kernelIDF16_aLi256ELi32ELb0ELb1ELb1ELi1EEEvPT0_PT_PfS4_S4_S4_diiiiiiib
                                        ; -- End function
	.section	.AMDGPU.csdata,"",@progbits
; Kernel info:
; codeLenInByte = 5104
; NumSgprs: 31
; NumVgprs: 80
; ScratchSize: 0
; MemoryBound: 0
; FloatMode: 240
; IeeeMode: 1
; LDSByteSize: 64 bytes/workgroup (compile time only)
; SGPRBlocks: 3
; VGPRBlocks: 9
; NumSGPRsForWavesPerEU: 31
; NumVGPRsForWavesPerEU: 80
; Occupancy: 16
; WaveLimiterHint : 0
; COMPUTE_PGM_RSRC2:SCRATCH_EN: 0
; COMPUTE_PGM_RSRC2:USER_SGPR: 15
; COMPUTE_PGM_RSRC2:TRAP_HANDLER: 0
; COMPUTE_PGM_RSRC2:TGID_X_EN: 1
; COMPUTE_PGM_RSRC2:TGID_Y_EN: 0
; COMPUTE_PGM_RSRC2:TGID_Z_EN: 0
; COMPUTE_PGM_RSRC2:TIDIG_COMP_CNT: 0
	.section	.text._ZN5aiter24add_rmsnorm_quant_kernelItaLi256ELi32ELb0ELb1ELb1ELi1EEEvPT0_PT_PfS4_S4_S4_diiiiiiib,"axG",@progbits,_ZN5aiter24add_rmsnorm_quant_kernelItaLi256ELi32ELb0ELb1ELb1ELi1EEEvPT0_PT_PfS4_S4_S4_diiiiiiib,comdat
	.protected	_ZN5aiter24add_rmsnorm_quant_kernelItaLi256ELi32ELb0ELb1ELb1ELi1EEEvPT0_PT_PfS4_S4_S4_diiiiiiib ; -- Begin function _ZN5aiter24add_rmsnorm_quant_kernelItaLi256ELi32ELb0ELb1ELb1ELi1EEEvPT0_PT_PfS4_S4_S4_diiiiiiib
	.globl	_ZN5aiter24add_rmsnorm_quant_kernelItaLi256ELi32ELb0ELb1ELb1ELi1EEEvPT0_PT_PfS4_S4_S4_diiiiiiib
	.p2align	8
	.type	_ZN5aiter24add_rmsnorm_quant_kernelItaLi256ELi32ELb0ELb1ELb1ELi1EEEvPT0_PT_PfS4_S4_S4_diiiiiiib,@function
_ZN5aiter24add_rmsnorm_quant_kernelItaLi256ELi32ELb0ELb1ELb1ELi1EEEvPT0_PT_PfS4_S4_S4_diiiiiiib: ; @_ZN5aiter24add_rmsnorm_quant_kernelItaLi256ELi32ELb0ELb1ELb1ELi1EEEvPT0_PT_PfS4_S4_S4_diiiiiiib
; %bb.0:
	s_load_b128 s[4:7], s[0:1], 0x38
	s_mov_b32 s20, s15
	s_mov_b32 s21, 0
	s_waitcnt lgkmcnt(0)
	s_ashr_i32 s3, s4, 31
	s_mov_b32 s2, s4
	s_delay_alu instid0(SALU_CYCLE_1) | instskip(NEXT) | instid1(VALU_DEP_1)
	v_cmp_ge_i64_e64 s2, s[20:21], s[2:3]
	s_and_b32 vcc_lo, exec_lo, s2
	s_cbranch_vccnz .LBB110_44
; %bb.1:
	s_clause 0x1
	s_load_b128 s[8:11], s[0:1], 0x10
	s_load_b128 s[16:19], s[0:1], 0x28
	v_lshlrev_b32_e32 v29, 5, v0
	s_ashr_i32 s2, s6, 31
	s_mul_hi_u32 s3, s6, s20
	s_mul_i32 s7, s2, s20
	v_lshlrev_b32_e32 v1, 3, v0
	v_and_b32_e32 v2, 0x7c00, v29
	s_mul_i32 s2, s6, s20
	s_add_i32 s3, s3, s7
	s_mov_b32 s15, -1
	s_lshl_b64 s[2:3], s[2:3], 1
	v_and_or_b32 v17, 0xf8, v1, v2
	s_mov_b32 s27, s15
	v_and_b32_e32 v53, 31, v0
	s_delay_alu instid0(VALU_DEP_2)
	v_lshlrev_b32_e32 v1, 1, v17
	s_waitcnt lgkmcnt(0)
	s_add_u32 s12, s10, s2
	s_addc_u32 s2, s11, s3
	s_add_i32 s3, s5, 1
	s_and_b32 s13, s2, 0xffff
	s_lshr_b32 s6, s3, 31
	s_movk_i32 s2, 0x200
	s_add_i32 s3, s3, s6
	s_movk_i32 s6, 0x600
	s_lshl_b32 s3, s3, 1
	s_mov_b32 s24, s16
	s_and_b32 s14, s3, -4
	s_movk_i32 s3, 0x400
	s_clause 0x1
	buffer_load_b128 v[22:25], v1, s[12:15], 0 offen glc slc
	buffer_load_b128 v[31:34], v1, s[12:15], s2 offen glc slc
	s_and_b32 s25, s17, 0xffff
	s_mov_b32 s26, s14
	s_waitcnt vmcnt(1)
	v_lshrrev_b32_e32 v18, 16, v22
	v_and_b32_e32 v20, 0xffff, v22
	v_lshrrev_b32_e32 v22, 16, v23
	v_lshrrev_b32_e32 v26, 16, v25
	s_waitcnt vmcnt(0)
	v_lshrrev_b32_e32 v28, 16, v31
	v_cvt_f32_u32_e32 v19, v18
	v_cvt_f32_u32_e32 v20, v20
	v_and_b32_e32 v18, 0xffff, v23
	v_cvt_f32_u32_e32 v22, v22
	v_cvt_f32_u32_e32 v26, v26
	v_mul_f32_e32 v52, v19, v19
	v_cvt_f32_u32_e32 v28, v28
	v_cvt_f32_u32_e32 v21, v18
	v_and_b32_e32 v18, 0xffff, v24
	v_lshrrev_b32_e32 v24, 16, v24
	v_fmac_f32_e32 v52, v20, v20
	s_clause 0x1
	buffer_load_b128 v[39:42], v1, s[12:15], s3 offen glc slc
	buffer_load_b128 v[47:50], v1, s[12:15], s6 offen glc slc
	s_clause 0x3
	buffer_load_b128 v[13:16], v1, s[24:27], 0 offen
	buffer_load_b128 v[9:12], v1, s[24:27], s2 offen
	;; [unrolled: 1-line block ×4, first 2 shown]
	v_cvt_f32_u32_e32 v23, v18
	v_fmac_f32_e32 v52, v21, v21
	v_and_b32_e32 v18, 0xffff, v25
	v_cvt_f32_u32_e32 v24, v24
	v_lshrrev_b32_e32 v35, 16, v34
	v_cmp_eq_u32_e64 s2, 31, v53
	v_fmac_f32_e32 v52, v22, v22
	v_cvt_f32_u32_e32 v25, v18
	v_and_b32_e32 v18, 0xffff, v31
	v_lshrrev_b32_e32 v31, 16, v32
	v_cvt_f32_u32_e32 v35, v35
	v_fmac_f32_e32 v52, v23, v23
	s_delay_alu instid0(VALU_DEP_4) | instskip(SKIP_2) | instid1(VALU_DEP_4)
	v_cvt_f32_u32_e32 v27, v18
	v_and_b32_e32 v18, 0xffff, v32
	v_cvt_f32_u32_e32 v31, v31
	v_fmac_f32_e32 v52, v24, v24
	s_delay_alu instid0(VALU_DEP_3) | instskip(SKIP_1) | instid1(VALU_DEP_3)
	v_cvt_f32_u32_e32 v30, v18
	v_and_b32_e32 v18, 0xffff, v33
	v_fmac_f32_e32 v52, v25, v25
	v_lshrrev_b32_e32 v33, 16, v33
	s_delay_alu instid0(VALU_DEP_3) | instskip(NEXT) | instid1(VALU_DEP_3)
	v_cvt_f32_u32_e32 v32, v18
	v_fmac_f32_e32 v52, v26, v26
	v_and_b32_e32 v18, 0xffff, v34
	s_delay_alu instid0(VALU_DEP_4) | instskip(NEXT) | instid1(VALU_DEP_3)
	v_cvt_f32_u32_e32 v33, v33
	v_fmac_f32_e32 v52, v27, v27
	s_delay_alu instid0(VALU_DEP_3) | instskip(NEXT) | instid1(VALU_DEP_2)
	v_cvt_f32_u32_e32 v34, v18
	v_fmac_f32_e32 v52, v28, v28
	s_delay_alu instid0(VALU_DEP_1) | instskip(NEXT) | instid1(VALU_DEP_1)
	v_fmac_f32_e32 v52, v30, v30
	v_fmac_f32_e32 v52, v31, v31
	s_delay_alu instid0(VALU_DEP_1) | instskip(NEXT) | instid1(VALU_DEP_1)
	v_fmac_f32_e32 v52, v32, v32
	;; [unrolled: 3-line block ×3, first 2 shown]
	v_fmac_f32_e32 v52, v35, v35
	s_waitcnt vmcnt(5)
	v_and_b32_e32 v18, 0xffff, v39
	v_lshrrev_b32_e32 v37, 16, v39
	v_lshrrev_b32_e32 v39, 16, v40
	v_lshrrev_b32_e32 v43, 16, v42
	s_waitcnt vmcnt(4)
	v_lshrrev_b32_e32 v45, 16, v47
	v_cvt_f32_u32_e32 v36, v18
	v_and_b32_e32 v18, 0xffff, v40
	v_cvt_f32_u32_e32 v37, v37
	v_cvt_f32_u32_e32 v39, v39
	v_cvt_f32_u32_e32 v43, v43
	v_fmac_f32_e32 v52, v36, v36
	v_cvt_f32_u32_e32 v38, v18
	v_and_b32_e32 v18, 0xffff, v41
	v_lshrrev_b32_e32 v41, 16, v41
	v_cvt_f32_u32_e32 v45, v45
	v_fmac_f32_e32 v52, v37, v37
	v_lshrrev_b32_e32 v51, 16, v50
	v_cvt_f32_u32_e32 v40, v18
	v_and_b32_e32 v18, 0xffff, v42
	v_cvt_f32_u32_e32 v41, v41
	v_fmac_f32_e32 v52, v38, v38
	v_cvt_f32_u32_e32 v51, v51
	s_delay_alu instid0(VALU_DEP_4) | instskip(SKIP_1) | instid1(VALU_DEP_4)
	v_cvt_f32_u32_e32 v42, v18
	v_and_b32_e32 v18, 0xffff, v47
	v_fmac_f32_e32 v52, v39, v39
	v_lshrrev_b32_e32 v47, 16, v48
	s_delay_alu instid0(VALU_DEP_3) | instskip(NEXT) | instid1(VALU_DEP_3)
	v_cvt_f32_u32_e32 v44, v18
	v_fmac_f32_e32 v52, v40, v40
	v_and_b32_e32 v18, 0xffff, v48
	s_delay_alu instid0(VALU_DEP_4) | instskip(NEXT) | instid1(VALU_DEP_3)
	v_cvt_f32_u32_e32 v47, v47
	v_fmac_f32_e32 v52, v41, v41
	s_delay_alu instid0(VALU_DEP_3) | instskip(SKIP_2) | instid1(VALU_DEP_4)
	v_cvt_f32_u32_e32 v46, v18
	v_and_b32_e32 v18, 0xffff, v49
	v_lshrrev_b32_e32 v49, 16, v49
	v_fmac_f32_e32 v52, v42, v42
	s_delay_alu instid0(VALU_DEP_3) | instskip(SKIP_1) | instid1(VALU_DEP_4)
	v_cvt_f32_u32_e32 v48, v18
	v_and_b32_e32 v18, 0xffff, v50
	v_cvt_f32_u32_e32 v49, v49
	s_delay_alu instid0(VALU_DEP_4) | instskip(NEXT) | instid1(VALU_DEP_3)
	v_fmac_f32_e32 v52, v43, v43
	v_cvt_f32_u32_e32 v50, v18
	s_delay_alu instid0(VALU_DEP_2) | instskip(NEXT) | instid1(VALU_DEP_1)
	v_fmac_f32_e32 v52, v44, v44
	v_fmac_f32_e32 v52, v45, v45
	s_delay_alu instid0(VALU_DEP_1) | instskip(NEXT) | instid1(VALU_DEP_1)
	v_fmac_f32_e32 v52, v46, v46
	v_fmac_f32_e32 v52, v47, v47
	s_delay_alu instid0(VALU_DEP_1) | instskip(NEXT) | instid1(VALU_DEP_1)
	;; [unrolled: 3-line block ×4, first 2 shown]
	v_mov_b32_dpp v18, v52 quad_perm:[1,0,3,2] row_mask:0xf bank_mask:0xf
	v_add_f32_e32 v18, v52, v18
	s_delay_alu instid0(VALU_DEP_1) | instskip(NEXT) | instid1(VALU_DEP_1)
	v_mov_b32_dpp v52, v18 quad_perm:[2,3,0,1] row_mask:0xf bank_mask:0xf
	v_add_f32_e32 v18, v18, v52
	s_delay_alu instid0(VALU_DEP_1) | instskip(NEXT) | instid1(VALU_DEP_1)
	v_mov_b32_dpp v52, v18 row_xmask:7 row_mask:0xf bank_mask:0xf
	v_add_f32_e32 v18, v18, v52
	s_delay_alu instid0(VALU_DEP_1)
	v_mov_b32_dpp v52, v18 row_xmask:15 row_mask:0xf bank_mask:0xf
	s_and_saveexec_b32 s3, s2
	s_cbranch_execz .LBB110_3
; %bb.2:
	s_delay_alu instid0(VALU_DEP_1) | instskip(SKIP_2) | instid1(VALU_DEP_2)
	v_add_f32_e32 v18, v18, v52
	s_mov_b32 s6, 0x76543210
	v_lshrrev_b32_e32 v52, 3, v0
	v_permlanex16_b32 v53, v18, s6, 0xfedcba98 op_sel:[1,1]
	s_delay_alu instid0(VALU_DEP_2) | instskip(NEXT) | instid1(VALU_DEP_2)
	v_and_b32_e32 v52, 0x7c, v52
	v_add_f32_e32 v18, v18, v53
	ds_store_b32 v52, v18 offset:32
.LBB110_3:
	s_or_b32 exec_lo, exec_lo, s3
	v_and_b32_e32 v18, 7, v0
	s_waitcnt vmcnt(0) lgkmcnt(0)
	s_barrier
	buffer_gl0_inv
	v_cvt_f32_i32_e32 v54, s5
	v_dual_mov_b32 v69, 0x2edbe6ff :: v_dual_lshlrev_b32 v18, 2, v18
	v_and_b32_e32 v59, 0xffff, v11
	v_lshrrev_b32_e32 v11, 16, v11
	v_and_b32_e32 v61, 0xffff, v5
	ds_load_b32 v52, v18 offset:32
	v_lshrrev_b32_e32 v5, 16, v5
	s_clause 0x1
	s_load_b64 s[6:7], s[0:1], 0x4c
	s_load_b32 s10, s[0:1], 0x54
	v_cvt_f32_u32_e32 v11, v11
	v_cvt_f32_u32_e32 v59, v59
	;; [unrolled: 1-line block ×4, first 2 shown]
	s_waitcnt lgkmcnt(0)
	v_mov_b32_dpp v53, v52 quad_perm:[1,0,3,2] row_mask:0xf bank_mask:0xf
	s_cmp_lg_u32 s7, 0
	s_delay_alu instid0(VALU_DEP_1) | instskip(NEXT) | instid1(VALU_DEP_1)
	v_add_f32_e32 v52, v52, v53
	v_mov_b32_dpp v53, v52 quad_perm:[2,3,0,1] row_mask:0xf bank_mask:0xf
	s_delay_alu instid0(VALU_DEP_1) | instskip(NEXT) | instid1(VALU_DEP_1)
	v_add_f32_e32 v52, v52, v53
	v_mov_b32_dpp v53, v52 row_xmask:7 row_mask:0xf bank_mask:0xf
	s_delay_alu instid0(VALU_DEP_1) | instskip(NEXT) | instid1(VALU_DEP_1)
	v_add_f32_e32 v52, v52, v53
	v_div_scale_f32 v53, null, v54, v54, v52
	v_div_scale_f32 v57, vcc_lo, v52, v54, v52
	s_delay_alu instid0(VALU_DEP_2) | instskip(SKIP_2) | instid1(VALU_DEP_1)
	v_rcp_f32_e32 v55, v53
	s_waitcnt_depctr 0xfff
	v_fma_f32 v56, -v53, v55, 1.0
	v_fmac_f32_e32 v55, v56, v55
	s_delay_alu instid0(VALU_DEP_1) | instskip(NEXT) | instid1(VALU_DEP_1)
	v_mul_f32_e32 v56, v57, v55
	v_fma_f32 v58, -v53, v56, v57
	s_delay_alu instid0(VALU_DEP_1) | instskip(NEXT) | instid1(VALU_DEP_1)
	v_fmac_f32_e32 v56, v58, v55
	v_fma_f32 v53, -v53, v56, v57
	v_and_b32_e32 v57, 0xffff, v9
	v_lshrrev_b32_e32 v9, 16, v9
	s_delay_alu instid0(VALU_DEP_3)
	v_div_fmas_f32 v53, v53, v55, v56
	v_and_b32_e32 v55, 0xffff, v14
	v_lshrrev_b32_e32 v14, 16, v14
	v_cvt_f32_u32_e32 v57, v57
	v_cvt_f32_u32_e32 v9, v9
	v_div_fixup_f32 v52, v53, v54, v52
	v_cvt_f32_u32_e32 v55, v55
	v_cvt_f32_u32_e32 v14, v14
	s_delay_alu instid0(VALU_DEP_3) | instskip(NEXT) | instid1(VALU_DEP_1)
	v_cvt_f64_f32_e32 v[52:53], v52
	v_add_f64 v[52:53], v[52:53], s[18:19]
	s_delay_alu instid0(VALU_DEP_1) | instskip(SKIP_2) | instid1(VALU_DEP_2)
	v_cvt_f32_f64_e32 v52, v[52:53]
	v_and_b32_e32 v53, 0xffff, v15
	v_lshrrev_b32_e32 v15, 16, v15
	v_cvt_f32_u32_e32 v53, v53
	s_delay_alu instid0(VALU_DEP_2) | instskip(SKIP_4) | instid1(VALU_DEP_4)
	v_cvt_f32_u32_e32 v15, v15
	v_mul_f32_e32 v70, 0x4b800000, v52
	v_cmp_gt_f32_e32 vcc_lo, 0x800000, v52
	v_and_b32_e32 v63, 0xffff, v7
	v_lshrrev_b32_e32 v7, 16, v7
	v_cndmask_b32_e32 v52, v52, v70, vcc_lo
	s_delay_alu instid0(VALU_DEP_3) | instskip(NEXT) | instid1(VALU_DEP_3)
	v_cvt_f32_u32_e32 v63, v63
	v_cvt_f32_u32_e32 v7, v7
	s_delay_alu instid0(VALU_DEP_3) | instskip(SKIP_4) | instid1(VALU_DEP_3)
	v_rsq_f32_e32 v52, v52
	s_waitcnt_depctr 0xfff
	v_mul_f32_e32 v70, 0x45800000, v52
	v_and_b32_e32 v65, 0xffff, v1
	v_lshrrev_b32_e32 v1, 16, v1
	v_cndmask_b32_e32 v52, v52, v70, vcc_lo
	v_and_b32_e32 v56, 0xffff, v16
	v_lshrrev_b32_e32 v16, 16, v16
	v_and_b32_e32 v58, 0xffff, v10
	v_lshrrev_b32_e32 v10, 16, v10
	v_dual_mul_f32 v23, v52, v23 :: v_dual_and_b32 v54, 0xffff, v13
	v_mul_f32_e32 v19, v52, v19
	v_lshrrev_b32_e32 v13, 16, v13
	v_dual_mul_f32 v25, v52, v25 :: v_dual_and_b32 v60, 0xffff, v12
	v_dual_mul_f32 v27, v52, v27 :: v_dual_and_b32 v62, 0xffff, v6
	v_lshrrev_b32_e32 v6, 16, v6
	v_dual_mul_f32 v71, v52, v31 :: v_dual_and_b32 v64, 0xffff, v8
	v_lshrrev_b32_e32 v8, 16, v8
	;; [unrolled: 2-line block ×3, first 2 shown]
	v_cvt_f32_u32_e32 v16, v16
	v_cvt_f32_u32_e32 v10, v10
	v_mul_f32_e32 v21, v52, v21
	v_cvt_f32_u32_e32 v56, v56
	v_mul_f32_e32 v22, v52, v22
	v_mul_f32_e32 v24, v52, v24
	;; [unrolled: 1-line block ×3, first 2 shown]
	v_lshrrev_b32_e32 v12, 16, v12
	v_mul_f32_e32 v33, v25, v56
	v_dual_mul_f32 v20, v52, v20 :: v_dual_and_b32 v67, 0xffff, v3
	v_lshrrev_b32_e32 v3, 16, v3
	v_dual_mul_f32 v75, v52, v35 :: v_dual_and_b32 v68, 0xffff, v4
	v_cvt_f32_u32_e32 v54, v54
	v_cvt_f32_u32_e32 v13, v13
	;; [unrolled: 1-line block ×6, first 2 shown]
	v_dual_mul_f32 v28, v52, v28 :: v_dual_mul_f32 v27, v27, v57
	v_mul_f32_e32 v77, v52, v37
	v_mul_f32_e32 v74, v52, v34
	;; [unrolled: 1-line block ×6, first 2 shown]
	v_dual_mul_f32 v45, v52, v45 :: v_dual_mul_f32 v34, v26, v16
	v_dual_mul_f32 v47, v52, v47 :: v_dual_mul_f32 v26, v71, v10
	v_mul_f32_e32 v31, v21, v55
	v_dual_mul_f32 v41, v52, v41 :: v_dual_mul_f32 v30, v22, v14
	v_dual_mul_f32 v35, v23, v53 :: v_dual_mul_f32 v36, v24, v15
	v_cvt_f32_u32_e32 v58, v58
	v_cvt_f32_u32_e32 v12, v12
	v_cvt_f32_u32_e32 v65, v65
	v_cvt_f32_u32_e32 v1, v1
	v_cvt_f32_u32_e32 v66, v66
	v_cvt_f32_u32_e32 v67, v67
	v_cvt_f32_u32_e32 v3, v3
	v_cvt_f32_u32_e32 v68, v68
	v_mul_f32_e32 v48, v52, v48
	v_dual_mul_f32 v49, v52, v49 :: v_dual_mul_f32 v24, v73, v11
	v_dual_mul_f32 v37, v20, v54 :: v_dual_mul_f32 v16, v41, v7
	v_mul_f32_e32 v44, v52, v44
	v_dual_mul_f32 v28, v28, v9 :: v_dual_mul_f32 v21, v74, v60
	v_dual_mul_f32 v72, v52, v32 :: v_dual_mul_f32 v25, v70, v58
	v_mul_f32_e32 v32, v19, v13
	v_mul_f32_e32 v11, v39, v6
	v_dual_mul_f32 v14, v43, v8 :: v_dual_and_b32 v39, 0x7fffffff, v30
	v_mul_f32_e32 v8, v47, v2
	v_and_b32_e32 v43, 0x7fffffff, v34
	v_dual_mul_f32 v46, v52, v46 :: v_dual_and_b32 v41, 0x7fffffff, v36
	v_dual_mul_f32 v40, v52, v40 :: v_dual_and_b32 v47, 0x7fffffff, v26
	v_mul_f32_e32 v50, v52, v50
	v_cvt_f32_u32_e32 v62, v62
	v_cvt_f32_u32_e32 v64, v64
	v_dual_mul_f32 v51, v52, v51 :: v_dual_mul_f32 v22, v75, v12
	v_dual_mul_f32 v10, v45, v1 :: v_dual_mul_f32 v7, v46, v66
	v_mul_f32_e32 v15, v40, v63
	v_dual_mul_f32 v6, v49, v3 :: v_dual_and_b32 v45, 0x7fffffff, v28
	v_dual_mul_f32 v42, v52, v42 :: v_dual_mul_f32 v3, v50, v68
	v_mul_f32_e32 v38, v52, v38
	v_lshrrev_b32_e32 v4, 16, v4
	v_and_b32_e32 v1, 0x7fffffff, v37
	s_delay_alu instid0(VALU_DEP_4)
	v_mul_f32_e32 v13, v42, v64
	v_and_b32_e32 v2, 0x7fffffff, v32
	;;#ASMSTART
	v_max3_f32 v1, v69, v1, v2

	;;#ASMEND
	v_dual_mul_f32 v23, v72, v59 :: v_dual_mul_f32 v12, v38, v62
	v_and_b32_e32 v38, 0x7fffffff, v31
	;;#ASMSTART
	v_max3_f32 v1, v1, v38, v39

	;;#ASMEND
	v_cvt_f32_u32_e32 v4, v4
	v_and_b32_e32 v40, 0x7fffffff, v35
	;;#ASMSTART
	v_max3_f32 v1, v1, v40, v41

	;;#ASMEND
	v_dual_mul_f32 v20, v76, v61 :: v_dual_and_b32 v49, 0x7fffffff, v24
	v_mul_f32_e32 v19, v77, v5
	v_and_b32_e32 v42, 0x7fffffff, v33
	;;#ASMSTART
	v_max3_f32 v1, v1, v42, v43

	;;#ASMEND
	v_dual_mul_f32 v9, v44, v65 :: v_dual_and_b32 v44, 0x7fffffff, v27
	;;#ASMSTART
	v_max3_f32 v1, v1, v44, v45

	;;#ASMEND
	v_and_b32_e32 v46, 0x7fffffff, v25
	;;#ASMSTART
	v_max3_f32 v1, v1, v46, v47

	;;#ASMEND
	v_mul_f32_e32 v5, v48, v67
	v_and_b32_e32 v48, 0x7fffffff, v23
	;;#ASMSTART
	v_max3_f32 v1, v1, v48, v49

	;;#ASMEND
	v_dual_mul_f32 v4, v51, v4 :: v_dual_and_b32 v53, 0x7fffffff, v19
	v_and_b32_e32 v50, 0x7fffffff, v21
	v_and_b32_e32 v51, 0x7fffffff, v22
	;;#ASMSTART
	v_max3_f32 v1, v1, v50, v51

	;;#ASMEND
	v_and_b32_e32 v52, 0x7fffffff, v20
	;;#ASMSTART
	v_max3_f32 v1, v1, v52, v53

	;;#ASMEND
	v_and_b32_e32 v54, 0x7fffffff, v12
	v_and_b32_e32 v55, 0x7fffffff, v11
	;;#ASMSTART
	v_max3_f32 v1, v1, v54, v55

	;;#ASMEND
	v_and_b32_e32 v56, 0x7fffffff, v15
	;; [unrolled: 6-line block ×6, first 2 shown]
	v_and_b32_e32 v65, 0x7fffffff, v6
	v_and_b32_e32 v66, 0x7fffffff, v3
	;; [unrolled: 1-line block ×3, first 2 shown]
	;;#ASMSTART
	v_max3_f32 v1, v1, v64, v65

	;;#ASMEND
	;;#ASMSTART
	v_max3_f32 v38, v1, v66, v67

	;;#ASMEND
	s_cbranch_scc0 .LBB110_10
; %bb.4:
	s_ashr_i32 s11, s7, 31
	s_delay_alu instid0(SALU_CYCLE_1) | instskip(NEXT) | instid1(SALU_CYCLE_1)
	s_lshr_b32 s3, s11, 27
	s_add_i32 s3, s7, s3
	s_delay_alu instid0(SALU_CYCLE_1) | instskip(NEXT) | instid1(SALU_CYCLE_1)
	s_ashr_i32 s3, s3, 5
	s_cmp_lt_i32 s3, 8
	s_cbranch_scc1 .LBB110_11
; %bb.5:
	s_cmp_lt_i32 s3, 16
	s_cbranch_scc1 .LBB110_12
; %bb.6:
	;; [unrolled: 3-line block ×3, first 2 shown]
	v_mov_b32_e32 v1, v38
	s_cmp_eq_u32 s3, 32
	s_cbranch_scc0 .LBB110_9
; %bb.8:
	s_delay_alu instid0(VALU_DEP_1) | instskip(SKIP_1) | instid1(VALU_DEP_1)
	v_mov_b32_dpp v1, v38 quad_perm:[1,0,3,2] row_mask:0xf bank_mask:0xf
	s_mov_b32 s12, 0x76543210
	v_cmp_gt_f32_e32 vcc_lo, v38, v1
	v_cndmask_b32_e32 v1, v1, v38, vcc_lo
	s_delay_alu instid0(VALU_DEP_1) | instskip(NEXT) | instid1(VALU_DEP_1)
	v_mov_b32_dpp v2, v1 quad_perm:[2,3,0,1] row_mask:0xf bank_mask:0xf
	v_cmp_gt_f32_e32 vcc_lo, v1, v2
	v_cndmask_b32_e32 v1, v2, v1, vcc_lo
	s_delay_alu instid0(VALU_DEP_1) | instskip(NEXT) | instid1(VALU_DEP_1)
	v_mov_b32_dpp v2, v1 row_xmask:7 row_mask:0xf bank_mask:0xf
	v_cmp_gt_f32_e32 vcc_lo, v1, v2
	v_cndmask_b32_e32 v1, v2, v1, vcc_lo
	s_delay_alu instid0(VALU_DEP_1) | instskip(NEXT) | instid1(VALU_DEP_1)
	v_mov_b32_dpp v2, v1 row_xmask:15 row_mask:0xf bank_mask:0xf
	v_cmp_gt_f32_e32 vcc_lo, v1, v2
	v_cndmask_b32_e32 v1, v2, v1, vcc_lo
	s_delay_alu instid0(VALU_DEP_1) | instskip(NEXT) | instid1(VALU_DEP_1)
	v_permlanex16_b32 v2, v1, s12, 0xfedcba98 op_sel:[1,1]
	v_cmp_gt_f32_e32 vcc_lo, v1, v2
	v_cndmask_b32_e32 v1, v2, v1, vcc_lo
.LBB110_9:
	s_mov_b32 s12, 0
	s_branch .LBB110_14
.LBB110_10:
	s_mov_b32 s3, 0
                                        ; implicit-def: $vgpr29
                                        ; implicit-def: $vgpr1_vgpr2
	s_and_b32 vcc_lo, exec_lo, s15
	s_cbranch_vccnz .LBB110_38
	s_branch .LBB110_41
.LBB110_11:
                                        ; implicit-def: $vgpr1
	s_branch .LBB110_21
.LBB110_12:
                                        ; implicit-def: $vgpr1
	s_branch .LBB110_18
.LBB110_13:
	s_mov_b32 s12, -1
                                        ; implicit-def: $vgpr1
.LBB110_14:
	s_delay_alu instid0(SALU_CYCLE_1)
	s_and_not1_b32 vcc_lo, exec_lo, s12
	s_cbranch_vccnz .LBB110_17
; %bb.15:
	v_mov_b32_e32 v1, v38
	s_cmp_eq_u32 s3, 16
	s_cbranch_scc0 .LBB110_17
; %bb.16:
	s_delay_alu instid0(VALU_DEP_1) | instskip(NEXT) | instid1(VALU_DEP_1)
	v_mov_b32_dpp v1, v38 quad_perm:[1,0,3,2] row_mask:0xf bank_mask:0xf
	v_cmp_gt_f32_e32 vcc_lo, v38, v1
	v_cndmask_b32_e32 v1, v1, v38, vcc_lo
	s_delay_alu instid0(VALU_DEP_1) | instskip(NEXT) | instid1(VALU_DEP_1)
	v_mov_b32_dpp v2, v1 quad_perm:[2,3,0,1] row_mask:0xf bank_mask:0xf
	v_cmp_gt_f32_e32 vcc_lo, v1, v2
	v_cndmask_b32_e32 v1, v2, v1, vcc_lo
	s_delay_alu instid0(VALU_DEP_1) | instskip(NEXT) | instid1(VALU_DEP_1)
	v_mov_b32_dpp v2, v1 row_half_mirror row_mask:0xf bank_mask:0xf
	v_cmp_gt_f32_e32 vcc_lo, v1, v2
	v_cndmask_b32_e32 v1, v2, v1, vcc_lo
	s_delay_alu instid0(VALU_DEP_1) | instskip(NEXT) | instid1(VALU_DEP_1)
	v_mov_b32_dpp v2, v1 row_mirror row_mask:0xf bank_mask:0xf
	v_cmp_gt_f32_e32 vcc_lo, v1, v2
	v_cndmask_b32_e32 v1, v2, v1, vcc_lo
.LBB110_17:
	s_cbranch_execnz .LBB110_20
.LBB110_18:
	v_mov_b32_e32 v1, v38
	s_cmp_eq_u32 s3, 8
	s_cbranch_scc0 .LBB110_20
; %bb.19:
	s_delay_alu instid0(VALU_DEP_1) | instskip(NEXT) | instid1(VALU_DEP_1)
	v_mov_b32_dpp v1, v38 quad_perm:[1,0,3,2] row_mask:0xf bank_mask:0xf
	v_cmp_gt_f32_e32 vcc_lo, v38, v1
	v_cndmask_b32_e32 v1, v1, v38, vcc_lo
	s_delay_alu instid0(VALU_DEP_1) | instskip(NEXT) | instid1(VALU_DEP_1)
	v_mov_b32_dpp v2, v1 quad_perm:[2,3,0,1] row_mask:0xf bank_mask:0xf
	v_cmp_gt_f32_e32 vcc_lo, v1, v2
	v_cndmask_b32_e32 v1, v2, v1, vcc_lo
	s_delay_alu instid0(VALU_DEP_1) | instskip(NEXT) | instid1(VALU_DEP_1)
	v_mov_b32_dpp v2, v1 row_half_mirror row_mask:0xf bank_mask:0xf
	v_cmp_gt_f32_e32 vcc_lo, v1, v2
	v_cndmask_b32_e32 v1, v2, v1, vcc_lo
.LBB110_20:
	s_cbranch_execnz .LBB110_28
.LBB110_21:
	s_cmp_lt_i32 s3, 4
	s_cbranch_scc1 .LBB110_24
; %bb.22:
	v_mov_b32_e32 v1, v38
	s_cmp_eq_u32 s3, 4
	s_cbranch_scc0 .LBB110_25
; %bb.23:
	s_delay_alu instid0(VALU_DEP_1) | instskip(NEXT) | instid1(VALU_DEP_1)
	v_mov_b32_dpp v1, v38 quad_perm:[1,0,3,2] row_mask:0xf bank_mask:0xf
	v_cmp_gt_f32_e32 vcc_lo, v38, v1
	v_cndmask_b32_e32 v1, v1, v38, vcc_lo
	s_delay_alu instid0(VALU_DEP_1) | instskip(NEXT) | instid1(VALU_DEP_1)
	v_mov_b32_dpp v2, v1 quad_perm:[2,3,0,1] row_mask:0xf bank_mask:0xf
	v_cmp_gt_f32_e32 vcc_lo, v1, v2
	v_cndmask_b32_e32 v1, v2, v1, vcc_lo
	s_cbranch_execz .LBB110_26
	s_branch .LBB110_28
.LBB110_24:
                                        ; implicit-def: $vgpr1
	s_branch .LBB110_26
.LBB110_25:
	s_cbranch_execnz .LBB110_28
.LBB110_26:
	v_mov_b32_e32 v1, v38
	s_cmp_lg_u32 s3, 2
	s_cbranch_scc1 .LBB110_28
; %bb.27:
	s_delay_alu instid0(VALU_DEP_1) | instskip(NEXT) | instid1(VALU_DEP_1)
	v_mov_b32_dpp v1, v38 quad_perm:[1,0,3,2] row_mask:0xf bank_mask:0xf
	v_cmp_gt_f32_e32 vcc_lo, v38, v1
	v_cndmask_b32_e32 v1, v1, v38, vcc_lo
.LBB110_28:
	v_cvt_f32_u32_e32 v2, s3
	s_sub_i32 s12, 0, s3
	s_mov_b32 s15, 0
	s_delay_alu instid0(VALU_DEP_1) | instskip(SKIP_2) | instid1(VALU_DEP_1)
	v_rcp_iflag_f32_e32 v2, v2
	s_waitcnt_depctr 0xfff
	v_mul_f32_e32 v2, 0x4f7ffffe, v2
	v_cvt_u32_f32_e32 v2, v2
	s_delay_alu instid0(VALU_DEP_1) | instskip(NEXT) | instid1(VALU_DEP_1)
	v_mul_lo_u32 v39, s12, v2
	v_mul_hi_u32 v39, v2, v39
	s_delay_alu instid0(VALU_DEP_1) | instskip(NEXT) | instid1(VALU_DEP_1)
	v_add_nc_u32_e32 v2, v2, v39
	v_mul_hi_u32 v2, v0, v2
	s_delay_alu instid0(VALU_DEP_1) | instskip(SKIP_1) | instid1(VALU_DEP_2)
	v_mul_lo_u32 v39, v2, s3
	v_add_nc_u32_e32 v40, 1, v2
	v_sub_nc_u32_e32 v39, v0, v39
	s_delay_alu instid0(VALU_DEP_1) | instskip(SKIP_1) | instid1(VALU_DEP_2)
	v_subrev_nc_u32_e32 v41, s3, v39
	v_cmp_le_u32_e32 vcc_lo, s3, v39
	v_dual_cndmask_b32 v2, v2, v40 :: v_dual_cndmask_b32 v39, v39, v41
	s_delay_alu instid0(VALU_DEP_1) | instskip(NEXT) | instid1(VALU_DEP_2)
	v_add_nc_u32_e32 v40, 1, v2
	v_cmp_le_u32_e32 vcc_lo, s3, v39
	s_delay_alu instid0(VALU_DEP_2) | instskip(SKIP_2) | instid1(VALU_DEP_3)
	v_cndmask_b32_e32 v39, v2, v40, vcc_lo
	v_cmp_gt_u32_e32 vcc_lo, s5, v29
	v_mul_f32_e32 v29, 0x3c010204, v1
	v_mul_lo_u32 v2, v39, s3
	s_delay_alu instid0(VALU_DEP_1) | instskip(NEXT) | instid1(VALU_DEP_1)
	v_sub_nc_u32_e32 v2, v0, v2
	v_cmp_eq_u32_e64 s3, 0, v2
                                        ; implicit-def: $vgpr1_vgpr2
	s_delay_alu instid0(VALU_DEP_1) | instskip(SKIP_2) | instid1(SALU_CYCLE_1)
	s_and_b32 s12, s3, vcc_lo
	s_mov_b32 s3, 0
	s_and_saveexec_b32 s13, s12
	s_xor_b32 s14, exec_lo, s13
	s_cbranch_execz .LBB110_37
; %bb.29:
	s_bitcmp0_b32 s10, 0
	s_mov_b32 s16, 0
	s_cbranch_scc0 .LBB110_34
; %bb.30:
	s_ashr_i32 s3, s5, 31
	s_mul_hi_u32 s10, s5, s20
	s_mul_i32 s3, s3, s20
	s_mul_i32 s12, s5, s20
	s_add_i32 s13, s10, s3
	s_mov_b32 s10, s7
	s_delay_alu instid0(SALU_CYCLE_1) | instskip(NEXT) | instid1(SALU_CYCLE_1)
	s_or_b64 s[18:19], s[12:13], s[10:11]
	s_mov_b32 s17, s19
	s_delay_alu instid0(SALU_CYCLE_1)
	s_cmp_lg_u64 s[16:17], 0
	s_cbranch_scc0 .LBB110_45
; %bb.31:
	s_add_u32 s18, s10, s11
	s_mov_b32 s16, s11
	s_mov_b32 s17, s11
	s_addc_u32 s19, s11, s11
	s_delay_alu instid0(SALU_CYCLE_1) | instskip(NEXT) | instid1(SALU_CYCLE_1)
	s_xor_b64 s[18:19], s[18:19], s[16:17]
	v_cvt_f32_u32_e32 v1, s18
	v_cvt_f32_u32_e32 v2, s19
	s_sub_u32 s11, 0, s18
	s_subb_u32 s22, 0, s19
	s_delay_alu instid0(VALU_DEP_1) | instskip(NEXT) | instid1(VALU_DEP_1)
	v_fmamk_f32 v1, v2, 0x4f800000, v1
	v_rcp_f32_e32 v1, v1
	s_waitcnt_depctr 0xfff
	v_mul_f32_e32 v1, 0x5f7ffffc, v1
	s_delay_alu instid0(VALU_DEP_1) | instskip(NEXT) | instid1(VALU_DEP_1)
	v_mul_f32_e32 v2, 0x2f800000, v1
	v_trunc_f32_e32 v2, v2
	s_delay_alu instid0(VALU_DEP_1) | instskip(SKIP_1) | instid1(VALU_DEP_2)
	v_fmamk_f32 v1, v2, 0xcf800000, v1
	v_cvt_u32_f32_e32 v2, v2
	v_cvt_u32_f32_e32 v1, v1
	s_delay_alu instid0(VALU_DEP_2) | instskip(NEXT) | instid1(VALU_DEP_2)
	v_readfirstlane_b32 s3, v2
	v_readfirstlane_b32 s7, v1
	s_delay_alu instid0(VALU_DEP_2) | instskip(NEXT) | instid1(VALU_DEP_1)
	s_mul_i32 s23, s11, s3
	s_mul_hi_u32 s25, s11, s7
	s_mul_i32 s24, s22, s7
	s_add_i32 s23, s25, s23
	s_mul_i32 s26, s11, s7
	s_add_i32 s23, s23, s24
	s_mul_hi_u32 s25, s7, s26
	s_mul_hi_u32 s27, s3, s26
	s_mul_i32 s24, s3, s26
	s_mul_hi_u32 s26, s7, s23
	s_mul_i32 s7, s7, s23
	s_mul_hi_u32 s28, s3, s23
	s_add_u32 s7, s25, s7
	s_addc_u32 s25, 0, s26
	s_add_u32 s7, s7, s24
	s_mul_i32 s23, s3, s23
	s_addc_u32 s7, s25, s27
	s_addc_u32 s24, s28, 0
	s_add_u32 s7, s7, s23
	s_addc_u32 s23, 0, s24
	v_add_co_u32 v1, s7, v1, s7
	s_delay_alu instid0(VALU_DEP_1) | instskip(SKIP_1) | instid1(VALU_DEP_1)
	s_cmp_lg_u32 s7, 0
	s_addc_u32 s3, s3, s23
	v_readfirstlane_b32 s7, v1
	s_mul_i32 s23, s11, s3
	s_delay_alu instid0(VALU_DEP_1)
	s_mul_hi_u32 s24, s11, s7
	s_mul_i32 s22, s22, s7
	s_add_i32 s23, s24, s23
	s_mul_i32 s11, s11, s7
	s_add_i32 s23, s23, s22
	s_mul_hi_u32 s24, s3, s11
	s_mul_i32 s25, s3, s11
	s_mul_hi_u32 s11, s7, s11
	s_mul_hi_u32 s26, s7, s23
	s_mul_i32 s7, s7, s23
	s_mul_hi_u32 s22, s3, s23
	s_add_u32 s7, s11, s7
	s_addc_u32 s11, 0, s26
	s_add_u32 s7, s7, s25
	s_mul_i32 s23, s3, s23
	s_addc_u32 s7, s11, s24
	s_addc_u32 s11, s22, 0
	s_add_u32 s7, s7, s23
	s_addc_u32 s11, 0, s11
	v_add_co_u32 v1, s7, v1, s7
	s_delay_alu instid0(VALU_DEP_1) | instskip(SKIP_2) | instid1(VALU_DEP_1)
	s_cmp_lg_u32 s7, 0
	s_addc_u32 s3, s3, s11
	s_ashr_i32 s22, s13, 31
	v_readfirstlane_b32 s7, v1
	s_add_u32 s24, s12, s22
	s_mov_b32 s23, s22
	s_addc_u32 s25, s13, s22
	s_delay_alu instid0(SALU_CYCLE_1) | instskip(NEXT) | instid1(SALU_CYCLE_1)
	s_xor_b64 s[24:25], s[24:25], s[22:23]
	s_mul_i32 s13, s24, s3
	s_mul_hi_u32 s26, s24, s7
	s_mul_hi_u32 s11, s24, s3
	;; [unrolled: 1-line block ×3, first 2 shown]
	s_mul_i32 s7, s25, s7
	s_add_u32 s13, s26, s13
	s_addc_u32 s11, 0, s11
	s_mul_hi_u32 s27, s25, s3
	s_add_u32 s7, s13, s7
	s_mul_i32 s3, s25, s3
	s_addc_u32 s7, s11, s28
	s_addc_u32 s11, s27, 0
	s_add_u32 s7, s7, s3
	s_addc_u32 s11, 0, s11
	s_mul_i32 s27, s18, s7
	s_mul_hi_u32 s3, s18, s7
	s_mul_i32 s26, s18, s11
	v_sub_co_u32 v1, s24, s24, s27
	s_mul_i32 s13, s19, s7
	s_add_i32 s3, s3, s26
	s_delay_alu instid0(SALU_CYCLE_1) | instskip(NEXT) | instid1(VALU_DEP_1)
	s_add_i32 s3, s3, s13
	v_sub_co_u32 v2, s26, v1, s18
	s_sub_i32 s13, s25, s3
	s_cmp_lg_u32 s24, 0
	s_subb_u32 s13, s13, s19
	s_cmp_lg_u32 s26, 0
	v_cmp_le_u32_e32 vcc_lo, s18, v2
	s_subb_u32 s13, s13, 0
	s_delay_alu instid0(SALU_CYCLE_1)
	s_cmp_ge_u32 s13, s19
	v_cndmask_b32_e64 v2, 0, -1, vcc_lo
	s_cselect_b32 s26, -1, 0
	s_cmp_eq_u32 s13, s19
	s_cselect_b32 vcc_lo, -1, 0
	s_add_u32 s13, s7, 1
	v_cndmask_b32_e32 v2, s26, v2, vcc_lo
	s_addc_u32 s26, s11, 0
	s_add_u32 s27, s7, 2
	s_addc_u32 s28, s11, 0
	s_cmp_lg_u32 s24, 0
	v_cmp_le_u32_e32 vcc_lo, s18, v1
	s_subb_u32 s3, s25, s3
	v_mov_b32_e32 v40, s27
	s_cmp_ge_u32 s3, s19
	v_cndmask_b32_e64 v1, 0, -1, vcc_lo
	s_cselect_b32 s18, -1, 0
	s_cmp_eq_u32 s3, s19
	v_cmp_ne_u32_e32 vcc_lo, 0, v2
	v_mov_b32_e32 v2, s28
	s_cselect_b32 s3, -1, 0
	s_xor_b64 s[16:17], s[22:23], s[16:17]
	v_cndmask_b32_e64 v1, s18, v1, s3
	v_cndmask_b32_e32 v40, s13, v40, vcc_lo
	v_cndmask_b32_e32 v2, s26, v2, vcc_lo
	s_delay_alu instid0(VALU_DEP_3) | instskip(NEXT) | instid1(VALU_DEP_2)
	v_cmp_ne_u32_e32 vcc_lo, 0, v1
	v_cndmask_b32_e32 v1, s11, v2, vcc_lo
	s_delay_alu instid0(VALU_DEP_4) | instskip(NEXT) | instid1(VALU_DEP_2)
	v_cndmask_b32_e32 v2, s7, v40, vcc_lo
	v_xor_b32_e32 v40, s17, v1
	s_delay_alu instid0(VALU_DEP_2) | instskip(NEXT) | instid1(VALU_DEP_1)
	v_xor_b32_e32 v2, s16, v2
	v_sub_co_u32 v1, vcc_lo, v2, s16
	s_delay_alu instid0(VALU_DEP_3)
	v_subrev_co_ci_u32_e32 v2, vcc_lo, s17, v40, vcc_lo
	s_cbranch_execnz .LBB110_33
.LBB110_32:
	v_cvt_f32_u32_e32 v1, s10
	s_sub_i32 s7, 0, s10
	s_delay_alu instid0(VALU_DEP_1) | instskip(SKIP_2) | instid1(VALU_DEP_1)
	v_rcp_iflag_f32_e32 v1, v1
	s_waitcnt_depctr 0xfff
	v_mul_f32_e32 v1, 0x4f7ffffe, v1
	v_cvt_u32_f32_e32 v1, v1
	s_delay_alu instid0(VALU_DEP_1) | instskip(NEXT) | instid1(VALU_DEP_1)
	v_readfirstlane_b32 s3, v1
	s_mul_i32 s7, s7, s3
	s_delay_alu instid0(SALU_CYCLE_1) | instskip(NEXT) | instid1(SALU_CYCLE_1)
	s_mul_hi_u32 s7, s3, s7
	s_add_i32 s3, s3, s7
	s_delay_alu instid0(SALU_CYCLE_1) | instskip(NEXT) | instid1(SALU_CYCLE_1)
	s_mul_hi_u32 s3, s12, s3
	s_mul_i32 s7, s3, s10
	s_add_i32 s11, s3, 1
	s_sub_i32 s7, s12, s7
	s_delay_alu instid0(SALU_CYCLE_1)
	s_sub_i32 s12, s7, s10
	s_cmp_ge_u32 s7, s10
	s_cselect_b32 s3, s11, s3
	s_cselect_b32 s7, s12, s7
	s_add_i32 s12, s3, 1
	s_cmp_ge_u32 s7, s10
	s_mov_b32 s11, 0
	s_cselect_b32 s10, s12, s3
	s_delay_alu instid0(SALU_CYCLE_1)
	v_dual_mov_b32 v1, s10 :: v_dual_mov_b32 v2, s11
.LBB110_33:
	s_delay_alu instid0(VALU_DEP_1) | instskip(NEXT) | instid1(VALU_DEP_2)
	v_add_co_u32 v1, vcc_lo, v1, v39
	v_add_co_ci_u32_e32 v2, vcc_lo, 0, v2, vcc_lo
	s_branch .LBB110_36
.LBB110_34:
                                        ; implicit-def: $vgpr1_vgpr2
	s_cbranch_execz .LBB110_36
; %bb.35:
	v_mul_lo_u32 v1, v39, s4
	s_delay_alu instid0(VALU_DEP_1) | instskip(SKIP_1) | instid1(VALU_DEP_2)
	v_ashrrev_i32_e32 v2, 31, v1
	v_add_co_u32 v1, vcc_lo, v1, s20
	v_add_co_ci_u32_e32 v2, vcc_lo, 0, v2, vcc_lo
.LBB110_36:
	s_mov_b32 s3, exec_lo
.LBB110_37:
	s_or_b32 exec_lo, exec_lo, s14
	s_delay_alu instid0(SALU_CYCLE_1)
	s_and_b32 vcc_lo, exec_lo, s15
	s_cbranch_vccz .LBB110_41
.LBB110_38:
	v_mov_b32_dpp v1, v38 quad_perm:[1,0,3,2] row_mask:0xf bank_mask:0xf
	s_delay_alu instid0(VALU_DEP_1) | instskip(SKIP_1) | instid1(VALU_DEP_1)
	v_cmp_gt_f32_e32 vcc_lo, v38, v1
	v_cndmask_b32_e32 v1, v1, v38, vcc_lo
	v_mov_b32_dpp v2, v1 quad_perm:[2,3,0,1] row_mask:0xf bank_mask:0xf
	s_delay_alu instid0(VALU_DEP_1) | instskip(SKIP_1) | instid1(VALU_DEP_1)
	v_cmp_gt_f32_e32 vcc_lo, v1, v2
	v_cndmask_b32_e32 v1, v2, v1, vcc_lo
	v_mov_b32_dpp v2, v1 row_xmask:7 row_mask:0xf bank_mask:0xf
	s_delay_alu instid0(VALU_DEP_1) | instskip(SKIP_1) | instid1(VALU_DEP_1)
	v_cmp_gt_f32_e32 vcc_lo, v1, v2
	v_cndmask_b32_e32 v1, v2, v1, vcc_lo
	v_mov_b32_dpp v2, v1 row_xmask:15 row_mask:0xf bank_mask:0xf
	s_delay_alu instid0(VALU_DEP_1)
	v_cmp_gt_f32_e32 vcc_lo, v1, v2
	s_and_saveexec_b32 s3, s2
	s_cbranch_execz .LBB110_40
; %bb.39:
	v_cndmask_b32_e32 v1, v2, v1, vcc_lo
	v_lshrrev_b32_e32 v2, 3, v0
	s_mov_b32 s2, 0x76543210
	s_delay_alu instid0(VALU_DEP_1) | instskip(NEXT) | instid1(VALU_DEP_3)
	v_and_b32_e32 v2, 0x7c, v2
	v_permlanex16_b32 v29, v1, s2, 0xfedcba98 op_sel:[1,1]
	s_delay_alu instid0(VALU_DEP_1)
	v_cmp_gt_f32_e32 vcc_lo, v1, v29
	v_cndmask_b32_e32 v1, v29, v1, vcc_lo
	ds_store_b32 v2, v1
.LBB110_40:
	s_or_b32 exec_lo, exec_lo, s3
	s_waitcnt lgkmcnt(0)
	s_barrier
	buffer_gl0_inv
	ds_load_b32 v1, v18
	v_cmp_eq_u32_e64 s3, 0, v0
	s_waitcnt lgkmcnt(0)
	v_mov_b32_dpp v2, v1 quad_perm:[1,0,3,2] row_mask:0xf bank_mask:0xf
	s_delay_alu instid0(VALU_DEP_1) | instskip(SKIP_1) | instid1(VALU_DEP_1)
	v_cmp_gt_f32_e32 vcc_lo, v1, v2
	v_cndmask_b32_e32 v1, v2, v1, vcc_lo
	v_mov_b32_dpp v2, v1 quad_perm:[2,3,0,1] row_mask:0xf bank_mask:0xf
	s_delay_alu instid0(VALU_DEP_1) | instskip(SKIP_1) | instid1(VALU_DEP_1)
	v_cmp_gt_f32_e32 vcc_lo, v1, v2
	v_cndmask_b32_e32 v1, v2, v1, vcc_lo
	v_mov_b32_dpp v2, v1 row_xmask:7 row_mask:0xf bank_mask:0xf
	s_delay_alu instid0(VALU_DEP_1) | instskip(SKIP_1) | instid1(VALU_DEP_1)
	v_cmp_gt_f32_e32 vcc_lo, v1, v2
	v_cndmask_b32_e32 v1, v2, v1, vcc_lo
	v_mul_f32_e32 v29, 0x3c010204, v1
	v_dual_mov_b32 v1, s20 :: v_dual_mov_b32 v2, s21
.LBB110_41:
	s_and_saveexec_b32 s2, s3
	s_cbranch_execz .LBB110_43
; %bb.42:
	s_delay_alu instid0(VALU_DEP_1) | instskip(NEXT) | instid1(VALU_DEP_1)
	v_lshlrev_b64 v[0:1], 2, v[1:2]
	v_add_co_u32 v0, vcc_lo, s8, v0
	s_delay_alu instid0(VALU_DEP_2)
	v_add_co_ci_u32_e32 v1, vcc_lo, s9, v1, vcc_lo
	global_store_b32 v[0:1], v29, off
.LBB110_43:
	s_or_b32 exec_lo, exec_lo, s2
	;;#ASMSTART
	v_rcp_f32 v2, v29
	;;#ASMEND
	v_mul_f32_e32 v1, v2, v35
	v_mul_f32_e32 v29, v2, v33
	;; [unrolled: 1-line block ×4, first 2 shown]
	s_load_b64 s[0:1], s[0:1], 0x0
	v_cvt_i32_f32_e32 v1, v1
	v_mul_f32_e32 v18, v2, v36
	v_cvt_i32_f32_e32 v33, v33
	v_cvt_i32_f32_e32 v29, v29
	s_delay_alu instid0(VALU_DEP_4) | instskip(NEXT) | instid1(VALU_DEP_4)
	v_dual_mul_f32 v32, v2, v32 :: v_dual_and_b32 v1, 0xff, v1
	v_cvt_i32_f32_e32 v18, v18
	s_delay_alu instid0(VALU_DEP_4) | instskip(NEXT) | instid1(VALU_DEP_4)
	v_lshlrev_b16 v33, 8, v33
	v_and_b32_e32 v29, 0xff, v29
	v_cvt_i32_f32_e32 v12, v12
	v_mul_f32_e32 v21, v2, v21
	v_lshlrev_b16 v18, 8, v18
	v_cvt_i32_f32_e32 v32, v32
	s_delay_alu instid0(VALU_DEP_4) | instskip(NEXT) | instid1(VALU_DEP_4)
	v_dual_mul_f32 v23, v2, v23 :: v_dual_and_b32 v12, 0xff, v12
	v_cvt_i32_f32_e32 v21, v21
	s_delay_alu instid0(VALU_DEP_4) | instskip(SKIP_2) | instid1(VALU_DEP_4)
	v_or_b32_e32 v1, v1, v18
	v_or_b32_e32 v18, v29, v33
	v_mul_f32_e32 v29, v2, v30
	v_dual_mul_f32 v24, v2, v24 :: v_dual_and_b32 v21, 0xff, v21
	s_delay_alu instid0(VALU_DEP_4) | instskip(NEXT) | instid1(VALU_DEP_4)
	v_and_b32_e32 v1, 0xffff, v1
	v_lshlrev_b32_e32 v18, 16, v18
	s_delay_alu instid0(VALU_DEP_4)
	v_cvt_i32_f32_e32 v29, v29
	v_lshlrev_b16 v30, 8, v32
	v_cvt_i32_f32_e32 v24, v24
	v_cvt_i32_f32_e32 v23, v23
	v_or_b32_e32 v1, v1, v18
	v_mul_f32_e32 v18, v2, v27
	v_mul_f32_e32 v27, v2, v28
	v_lshlrev_b16 v28, 8, v29
	v_dual_mul_f32 v26, v2, v26 :: v_dual_and_b32 v23, 0xff, v23
	s_delay_alu instid0(VALU_DEP_4)
	v_cvt_i32_f32_e32 v18, v18
	v_mul_f32_e32 v31, v2, v31
	v_lshlrev_b16 v24, 8, v24
	s_add_i32 s2, s5, 3
	s_ashr_i32 s3, s6, 31
	v_and_b32_e32 v18, 0xff, v18
	v_cvt_i32_f32_e32 v31, v31
	v_mul_f32_e32 v0, v2, v37
	s_mul_hi_u32 s4, s6, s20
	s_mul_i32 s5, s6, s20
	s_ashr_i32 s6, s2, 31
	v_and_b32_e32 v29, 0xff, v31
	v_cvt_i32_f32_e32 v0, v0
	s_lshr_b32 s6, s6, 30
	v_or_b32_e32 v23, v23, v24
	s_mul_i32 s3, s3, s20
	v_or_b32_e32 v28, v29, v28
	v_and_b32_e32 v0, 0xff, v0
	s_add_i32 s2, s2, s6
	s_add_i32 s4, s4, s3
	s_and_b32 s2, s2, -4
	v_lshlrev_b32_e32 v24, 16, v28
	v_or_b32_e32 v0, v0, v30
	s_waitcnt lgkmcnt(0)
	s_add_u32 s0, s0, s5
	s_addc_u32 s1, s1, s4
	s_mov_b32 s3, -1
	s_and_b32 s1, s1, 0xffff
	v_and_b32_e32 v0, 0xffff, v0
	v_and_b32_e32 v23, 0xffff, v23
	v_mul_f32_e32 v9, v2, v9
	v_cvt_i32_f32_e32 v26, v26
	v_mul_f32_e32 v5, v2, v5
	v_or_b32_e32 v0, v0, v24
	v_mul_f32_e32 v7, v2, v7
	v_cvt_i32_f32_e32 v9, v9
	v_mul_f32_e32 v6, v2, v6
	v_lshlrev_b16 v26, 8, v26
	buffer_store_b64 v[0:1], v17, s[0:3], 0 offen
	v_dual_mul_f32 v0, v2, v20 :: v_dual_and_b32 v9, 0xff, v9
	v_cvt_i32_f32_e32 v6, v6
	v_cvt_i32_f32_e32 v5, v5
	v_mul_f32_e32 v10, v2, v10
	s_delay_alu instid0(VALU_DEP_4) | instskip(SKIP_3) | instid1(VALU_DEP_4)
	v_cvt_i32_f32_e32 v0, v0
	v_mul_f32_e32 v25, v2, v25
	v_lshlrev_b16 v6, 8, v6
	v_and_b32_e32 v5, 0xff, v5
	v_dual_mul_f32 v1, v2, v19 :: v_dual_and_b32 v0, 0xff, v0
	s_delay_alu instid0(VALU_DEP_4)
	v_cvt_i32_f32_e32 v25, v25
	v_mul_f32_e32 v22, v2, v22
	v_mul_f32_e32 v15, v2, v15
	;; [unrolled: 1-line block ×4, first 2 shown]
	v_and_b32_e32 v25, 0xff, v25
	v_cvt_i32_f32_e32 v22, v22
	v_mul_f32_e32 v11, v2, v11
	v_mul_f32_e32 v4, v2, v4
	v_or_b32_e32 v5, v5, v6
	v_cvt_i32_f32_e32 v10, v10
	v_lshlrev_b16 v22, 8, v22
	v_mul_f32_e32 v16, v2, v16
	v_mul_f32_e32 v8, v2, v8
	v_dual_mul_f32 v2, v2, v3 :: v_dual_and_b32 v5, 0xffff, v5
	s_delay_alu instid0(VALU_DEP_4) | instskip(SKIP_2) | instid1(VALU_DEP_4)
	v_or_b32_e32 v21, v21, v22
	v_or_b32_e32 v22, v25, v26
	v_cvt_i32_f32_e32 v3, v7
	v_cvt_i32_f32_e32 v2, v2
	;; [unrolled: 1-line block ×3, first 2 shown]
	v_lshlrev_b32_e32 v21, 16, v21
	v_lshlrev_b32_e32 v25, 16, v22
	v_and_b32_e32 v3, 0xff, v3
	v_cvt_i32_f32_e32 v4, v4
	v_and_b32_e32 v2, 0xff, v2
	v_lshlrev_b16 v8, 8, v10
	v_cvt_i32_f32_e32 v27, v27
	v_cvt_i32_f32_e32 v1, v1
	v_lshlrev_b16 v4, 8, v4
	v_cvt_i32_f32_e32 v16, v16
	v_lshlrev_b16 v7, 8, v7
	v_lshlrev_b16 v27, 8, v27
	v_lshlrev_b16 v1, 8, v1
	v_or_b32_e32 v2, v2, v4
	v_or_b32_e32 v4, v9, v8
	v_lshlrev_b16 v16, 8, v16
	v_or_b32_e32 v18, v18, v27
	v_or_b32_e32 v0, v0, v1
	v_lshlrev_b32_e32 v2, 16, v2
	v_and_b32_e32 v4, 0xffff, v4
	v_cvt_i32_f32_e32 v11, v11
	v_cvt_i32_f32_e32 v13, v13
	v_or_b32_e32 v3, v3, v7
	v_and_b32_e32 v18, 0xffff, v18
	v_and_b32_e32 v0, 0xffff, v0
	v_lshlrev_b16 v11, 8, v11
	v_and_b32_e32 v13, 0xff, v13
	v_lshlrev_b32_e32 v7, 16, v3
	v_or_b32_e32 v22, v23, v21
	v_or_b32_e32 v21, v18, v25
	;; [unrolled: 1-line block ×3, first 2 shown]
	s_movk_i32 s4, 0x100
	v_or_b32_e32 v3, v5, v2
	v_or_b32_e32 v2, v4, v7
	;;#ASMSTART
	s_nop 0
	;;#ASMEND
	v_lshlrev_b32_e32 v6, 16, v10
	v_cvt_i32_f32_e32 v15, v15
	buffer_store_b64 v[21:22], v17, s[0:3], s4 offen
	s_movk_i32 s4, 0x200
	;;#ASMSTART
	s_nop 0
	;;#ASMEND
	v_or_b32_e32 v0, v0, v6
	v_and_b32_e32 v15, 0xff, v15
	v_cvt_i32_f32_e32 v14, v14
	s_delay_alu instid0(VALU_DEP_2) | instskip(NEXT) | instid1(VALU_DEP_2)
	v_or_b32_e32 v15, v15, v16
	v_lshlrev_b16 v14, 8, v14
	s_delay_alu instid0(VALU_DEP_2) | instskip(NEXT) | instid1(VALU_DEP_2)
	v_and_b32_e32 v1, 0xffff, v15
	v_or_b32_e32 v13, v13, v14
	s_delay_alu instid0(VALU_DEP_1) | instskip(NEXT) | instid1(VALU_DEP_1)
	v_lshlrev_b32_e32 v13, 16, v13
	v_or_b32_e32 v1, v1, v13
	buffer_store_b64 v[0:1], v17, s[0:3], s4 offen
	s_movk_i32 s4, 0x300
	;;#ASMSTART
	s_nop 0
	;;#ASMEND
	buffer_store_b64 v[2:3], v17, s[0:3], s4 offen
	;;#ASMSTART
	s_nop 0
	;;#ASMEND
.LBB110_44:
	s_nop 0
	s_sendmsg sendmsg(MSG_DEALLOC_VGPRS)
	s_endpgm
.LBB110_45:
                                        ; implicit-def: $vgpr1_vgpr2
	s_branch .LBB110_32
	.section	.rodata,"a",@progbits
	.p2align	6, 0x0
	.amdhsa_kernel _ZN5aiter24add_rmsnorm_quant_kernelItaLi256ELi32ELb0ELb1ELb1ELi1EEEvPT0_PT_PfS4_S4_S4_diiiiiiib
		.amdhsa_group_segment_fixed_size 64
		.amdhsa_private_segment_fixed_size 0
		.amdhsa_kernarg_size 88
		.amdhsa_user_sgpr_count 15
		.amdhsa_user_sgpr_dispatch_ptr 0
		.amdhsa_user_sgpr_queue_ptr 0
		.amdhsa_user_sgpr_kernarg_segment_ptr 1
		.amdhsa_user_sgpr_dispatch_id 0
		.amdhsa_user_sgpr_private_segment_size 0
		.amdhsa_wavefront_size32 1
		.amdhsa_uses_dynamic_stack 0
		.amdhsa_enable_private_segment 0
		.amdhsa_system_sgpr_workgroup_id_x 1
		.amdhsa_system_sgpr_workgroup_id_y 0
		.amdhsa_system_sgpr_workgroup_id_z 0
		.amdhsa_system_sgpr_workgroup_info 0
		.amdhsa_system_vgpr_workitem_id 0
		.amdhsa_next_free_vgpr 78
		.amdhsa_next_free_sgpr 29
		.amdhsa_reserve_vcc 1
		.amdhsa_float_round_mode_32 0
		.amdhsa_float_round_mode_16_64 0
		.amdhsa_float_denorm_mode_32 3
		.amdhsa_float_denorm_mode_16_64 3
		.amdhsa_dx10_clamp 1
		.amdhsa_ieee_mode 1
		.amdhsa_fp16_overflow 0
		.amdhsa_workgroup_processor_mode 1
		.amdhsa_memory_ordered 1
		.amdhsa_forward_progress 0
		.amdhsa_shared_vgpr_count 0
		.amdhsa_exception_fp_ieee_invalid_op 0
		.amdhsa_exception_fp_denorm_src 0
		.amdhsa_exception_fp_ieee_div_zero 0
		.amdhsa_exception_fp_ieee_overflow 0
		.amdhsa_exception_fp_ieee_underflow 0
		.amdhsa_exception_fp_ieee_inexact 0
		.amdhsa_exception_int_div_zero 0
	.end_amdhsa_kernel
	.section	.text._ZN5aiter24add_rmsnorm_quant_kernelItaLi256ELi32ELb0ELb1ELb1ELi1EEEvPT0_PT_PfS4_S4_S4_diiiiiiib,"axG",@progbits,_ZN5aiter24add_rmsnorm_quant_kernelItaLi256ELi32ELb0ELb1ELb1ELi1EEEvPT0_PT_PfS4_S4_S4_diiiiiiib,comdat
.Lfunc_end110:
	.size	_ZN5aiter24add_rmsnorm_quant_kernelItaLi256ELi32ELb0ELb1ELb1ELi1EEEvPT0_PT_PfS4_S4_S4_diiiiiiib, .Lfunc_end110-_ZN5aiter24add_rmsnorm_quant_kernelItaLi256ELi32ELb0ELb1ELb1ELi1EEEvPT0_PT_PfS4_S4_S4_diiiiiiib
                                        ; -- End function
	.section	.AMDGPU.csdata,"",@progbits
; Kernel info:
; codeLenInByte = 5296
; NumSgprs: 31
; NumVgprs: 78
; ScratchSize: 0
; MemoryBound: 0
; FloatMode: 240
; IeeeMode: 1
; LDSByteSize: 64 bytes/workgroup (compile time only)
; SGPRBlocks: 3
; VGPRBlocks: 9
; NumSGPRsForWavesPerEU: 31
; NumVGPRsForWavesPerEU: 78
; Occupancy: 16
; WaveLimiterHint : 0
; COMPUTE_PGM_RSRC2:SCRATCH_EN: 0
; COMPUTE_PGM_RSRC2:USER_SGPR: 15
; COMPUTE_PGM_RSRC2:TRAP_HANDLER: 0
; COMPUTE_PGM_RSRC2:TGID_X_EN: 1
; COMPUTE_PGM_RSRC2:TGID_Y_EN: 0
; COMPUTE_PGM_RSRC2:TGID_Z_EN: 0
; COMPUTE_PGM_RSRC2:TIDIG_COMP_CNT: 0
	.section	.text._ZN5aiter24add_rmsnorm_quant_kernelIDF16_aLi256ELi32ELb0ELb1ELb0ELi1EEEvPT0_PT_PfS4_S4_S4_diiiiiiib,"axG",@progbits,_ZN5aiter24add_rmsnorm_quant_kernelIDF16_aLi256ELi32ELb0ELb1ELb0ELi1EEEvPT0_PT_PfS4_S4_S4_diiiiiiib,comdat
	.protected	_ZN5aiter24add_rmsnorm_quant_kernelIDF16_aLi256ELi32ELb0ELb1ELb0ELi1EEEvPT0_PT_PfS4_S4_S4_diiiiiiib ; -- Begin function _ZN5aiter24add_rmsnorm_quant_kernelIDF16_aLi256ELi32ELb0ELb1ELb0ELi1EEEvPT0_PT_PfS4_S4_S4_diiiiiiib
	.globl	_ZN5aiter24add_rmsnorm_quant_kernelIDF16_aLi256ELi32ELb0ELb1ELb0ELi1EEEvPT0_PT_PfS4_S4_S4_diiiiiiib
	.p2align	8
	.type	_ZN5aiter24add_rmsnorm_quant_kernelIDF16_aLi256ELi32ELb0ELb1ELb0ELi1EEEvPT0_PT_PfS4_S4_S4_diiiiiiib,@function
_ZN5aiter24add_rmsnorm_quant_kernelIDF16_aLi256ELi32ELb0ELb1ELb0ELi1EEEvPT0_PT_PfS4_S4_S4_diiiiiiib: ; @_ZN5aiter24add_rmsnorm_quant_kernelIDF16_aLi256ELi32ELb0ELb1ELb0ELi1EEEvPT0_PT_PfS4_S4_S4_diiiiiiib
; %bb.0:
	s_load_b128 s[4:7], s[0:1], 0x38
	s_mov_b32 s20, s15
	s_mov_b32 s21, 0
	s_waitcnt lgkmcnt(0)
	s_ashr_i32 s3, s4, 31
	s_mov_b32 s2, s4
	s_delay_alu instid0(SALU_CYCLE_1) | instskip(NEXT) | instid1(VALU_DEP_1)
	v_cmp_ge_i64_e64 s2, s[20:21], s[2:3]
	s_and_b32 vcc_lo, exec_lo, s2
	s_cbranch_vccnz .LBB111_44
; %bb.1:
	s_clause 0x1
	s_load_b128 s[8:11], s[0:1], 0x10
	s_load_b128 s[16:19], s[0:1], 0x28
	s_ashr_i32 s2, s6, 31
	s_mul_hi_u32 s3, s6, s20
	s_mul_i32 s7, s2, s20
	s_mul_i32 s2, s6, s20
	s_add_i32 s3, s3, s7
	v_lshlrev_b32_e32 v1, 6, v0
	s_lshl_b64 s[2:3], s[2:3], 1
	s_mov_b32 s15, -1
	v_and_b32_e32 v51, 31, v0
	s_mov_b32 s27, s15
	s_waitcnt lgkmcnt(0)
	s_add_u32 s12, s10, s2
	s_addc_u32 s2, s11, s3
	s_add_i32 s3, s5, 1
	s_and_b32 s13, s2, 0xffff
	s_lshr_b32 s6, s3, 31
	s_mov_b32 s24, s16
	s_add_i32 s3, s3, s6
	s_and_b32 s25, s17, 0xffff
	s_lshl_b32 s3, s3, 1
	v_cmp_eq_u32_e64 s2, 31, v51
	s_and_b32 s14, s3, -4
	s_clause 0x3
	buffer_load_b128 v[21:24], v1, s[12:15], 0 offen
	buffer_load_b128 v[25:28], v1, s[12:15], 16 offen
	;; [unrolled: 1-line block ×4, first 2 shown]
	s_mov_b32 s26, s14
	s_clause 0x3
	buffer_load_b128 v[13:16], v1, s[24:27], 0 offen
	buffer_load_b128 v[9:12], v1, s[24:27], 16 offen
	;; [unrolled: 1-line block ×4, first 2 shown]
	s_waitcnt vmcnt(7)
	v_lshrrev_b32_e32 v17, 16, v21
	v_lshrrev_b32_e32 v18, 16, v22
	v_cvt_f32_f16_e32 v20, v22
	v_lshrrev_b32_e32 v37, 16, v23
	v_lshrrev_b32_e32 v38, 16, v24
	v_cvt_f32_f16_e32 v19, v17
	v_cvt_f32_f16_e32 v50, v18
	s_waitcnt vmcnt(6)
	v_lshrrev_b32_e32 v39, 16, v25
	v_lshrrev_b32_e32 v40, 16, v26
	;; [unrolled: 1-line block ×3, first 2 shown]
	v_mul_f32_e32 v17, v19, v19
	v_lshrrev_b32_e32 v42, 16, v28
	s_waitcnt vmcnt(5)
	v_lshrrev_b32_e32 v44, 16, v29
	v_lshrrev_b32_e32 v52, 16, v30
	;; [unrolled: 1-line block ×3, first 2 shown]
	v_fma_mix_f32 v17, v21, v21, v17 op_sel_hi:[1,1,0]
	v_lshrrev_b32_e32 v54, 16, v32
	s_waitcnt vmcnt(4)
	v_lshrrev_b32_e32 v55, 16, v33
	v_lshrrev_b32_e32 v56, 16, v34
	;; [unrolled: 1-line block ×3, first 2 shown]
	v_fma_mix_f32 v17, v22, v22, v17 op_sel_hi:[1,1,0]
	v_cvt_f32_f16_e32 v21, v21
	v_cvt_f32_f16_e32 v49, v37
	;; [unrolled: 1-line block ×4, first 2 shown]
	v_fma_mix_f32 v17, v22, v22, v17 op_sel:[1,1,0] op_sel_hi:[1,1,0]
	v_cvt_f32_f16_e32 v22, v23
	v_cvt_f32_f16_e32 v46, v40
	;; [unrolled: 1-line block ×4, first 2 shown]
	v_fma_mix_f32 v17, v23, v23, v17 op_sel_hi:[1,1,0]
	v_cvt_f32_f16_e32 v41, v53
	v_cvt_f32_f16_e32 v39, v54
	;; [unrolled: 1-line block ×4, first 2 shown]
	v_fma_mix_f32 v17, v23, v23, v17 op_sel:[1,1,0] op_sel_hi:[1,1,0]
	v_cvt_f32_f16_e32 v23, v24
	v_cvt_f32_f16_e32 v37, v57
	s_delay_alu instid0(VALU_DEP_3) | instskip(NEXT) | instid1(VALU_DEP_1)
	v_fma_mix_f32 v17, v24, v24, v17 op_sel_hi:[1,1,0]
	v_fma_mix_f32 v17, v24, v24, v17 op_sel:[1,1,0] op_sel_hi:[1,1,0]
	v_cvt_f32_f16_e32 v24, v25
	s_delay_alu instid0(VALU_DEP_2) | instskip(NEXT) | instid1(VALU_DEP_1)
	v_fma_mix_f32 v17, v25, v25, v17 op_sel_hi:[1,1,0]
	v_fma_mix_f32 v17, v25, v25, v17 op_sel:[1,1,0] op_sel_hi:[1,1,0]
	v_cvt_f32_f16_e32 v25, v26
	s_delay_alu instid0(VALU_DEP_2) | instskip(NEXT) | instid1(VALU_DEP_1)
	;; [unrolled: 4-line block ×12, first 2 shown]
	v_fma_mix_f32 v17, v36, v36, v17 op_sel_hi:[1,1,0]
	v_fma_mix_f32 v17, v36, v36, v17 op_sel:[1,1,0] op_sel_hi:[1,1,0]
	v_lshrrev_b32_e32 v36, 16, v36
	s_delay_alu instid0(VALU_DEP_2) | instskip(NEXT) | instid1(VALU_DEP_2)
	v_mov_b32_dpp v43, v17 quad_perm:[1,0,3,2] row_mask:0xf bank_mask:0xf
	v_cvt_f32_f16_e32 v36, v36
	s_delay_alu instid0(VALU_DEP_2) | instskip(NEXT) | instid1(VALU_DEP_1)
	v_add_f32_e32 v17, v17, v43
	v_mov_b32_dpp v43, v17 quad_perm:[2,3,0,1] row_mask:0xf bank_mask:0xf
	s_delay_alu instid0(VALU_DEP_1) | instskip(SKIP_2) | instid1(VALU_DEP_3)
	v_add_f32_e32 v17, v17, v43
	v_cvt_f32_f16_e32 v43, v42
	v_cvt_f32_f16_e32 v42, v52
	v_mov_b32_dpp v18, v17 row_xmask:7 row_mask:0xf bank_mask:0xf
	s_delay_alu instid0(VALU_DEP_1) | instskip(NEXT) | instid1(VALU_DEP_1)
	v_add_f32_e32 v17, v17, v18
	v_mov_b32_dpp v18, v17 row_xmask:15 row_mask:0xf bank_mask:0xf
	s_and_saveexec_b32 s3, s2
	s_cbranch_execz .LBB111_3
; %bb.2:
	s_delay_alu instid0(VALU_DEP_1) | instskip(SKIP_2) | instid1(VALU_DEP_2)
	v_add_f32_e32 v17, v17, v18
	s_mov_b32 s6, 0x76543210
	v_lshrrev_b32_e32 v18, 3, v0
	v_permlanex16_b32 v51, v17, s6, 0xfedcba98 op_sel:[1,1]
	s_delay_alu instid0(VALU_DEP_1)
	v_dual_add_f32 v17, v17, v51 :: v_dual_and_b32 v18, 0x7c, v18
	ds_store_b32 v18, v17 offset:32
.LBB111_3:
	s_or_b32 exec_lo, exec_lo, s3
	v_and_b32_e32 v17, 7, v0
	s_waitcnt vmcnt(0) lgkmcnt(0)
	s_barrier
	buffer_gl0_inv
	v_cvt_f32_i32_e32 v52, s5
	v_lshlrev_b32_e32 v18, 2, v17
	v_cvt_f32_f16_e32 v57, v10
	v_lshrrev_b32_e32 v10, 16, v10
	v_cvt_f32_f16_e32 v67, v4
	v_lshrrev_b32_e32 v4, 16, v4
	ds_load_b32 v17, v18 offset:32
	v_cvt_f32_f16_e32 v58, v11
	v_cvt_f32_f16_e32 v10, v10
	v_lshrrev_b32_e32 v11, 16, v11
	v_cvt_f32_f16_e32 v62, v7
	v_lshrrev_b32_e32 v7, 16, v7
	v_cvt_f32_f16_e32 v70, v4
	v_cvt_f32_f16_e32 v61, v6
	;; [unrolled: 1-line block ×3, first 2 shown]
	v_lshrrev_b32_e32 v6, 16, v6
	v_cvt_f32_f16_e32 v7, v7
	v_cvt_f32_f16_e32 v64, v1
	v_lshrrev_b32_e32 v1, 16, v1
	v_cvt_f32_f16_e32 v66, v2
	v_cvt_f32_f16_e32 v60, v5
	;; [unrolled: 3-line block ×3, first 2 shown]
	v_lshrrev_b32_e32 v2, 16, v2
	v_cvt_f32_f16_e32 v59, v12
	s_waitcnt lgkmcnt(0)
	v_mov_b32_dpp v51, v17 quad_perm:[1,0,3,2] row_mask:0xf bank_mask:0xf
	v_lshrrev_b32_e32 v12, 16, v12
	v_cvt_f32_f16_e32 v63, v8
	v_lshrrev_b32_e32 v8, 16, v8
	s_clause 0x1
	s_load_b64 s[6:7], s[0:1], 0x4c
	s_load_b32 s10, s[0:1], 0x54
	v_add_f32_e32 v17, v17, v51
	v_cvt_f32_f16_e32 v5, v5
	v_cvt_f32_f16_e32 v2, v2
	;; [unrolled: 1-line block ×4, first 2 shown]
	v_mov_b32_dpp v51, v17 quad_perm:[2,3,0,1] row_mask:0xf bank_mask:0xf
	s_delay_alu instid0(VALU_DEP_1) | instskip(NEXT) | instid1(VALU_DEP_1)
	v_dual_mov_b32 v68, 0x2edbe6ff :: v_dual_add_f32 v17, v17, v51
	v_mov_b32_dpp v51, v17 row_xmask:7 row_mask:0xf bank_mask:0xf
	s_waitcnt lgkmcnt(0)
	s_cmp_lg_u32 s7, 0
	s_delay_alu instid0(VALU_DEP_1) | instskip(NEXT) | instid1(VALU_DEP_1)
	v_add_f32_e32 v17, v17, v51
	v_div_scale_f32 v51, null, v52, v52, v17
	v_div_scale_f32 v55, vcc_lo, v17, v52, v17
	s_delay_alu instid0(VALU_DEP_2) | instskip(SKIP_2) | instid1(VALU_DEP_1)
	v_rcp_f32_e32 v53, v51
	s_waitcnt_depctr 0xfff
	v_fma_f32 v54, -v51, v53, 1.0
	v_fmac_f32_e32 v53, v54, v53
	s_delay_alu instid0(VALU_DEP_1) | instskip(NEXT) | instid1(VALU_DEP_1)
	v_mul_f32_e32 v54, v55, v53
	v_fma_f32 v56, -v51, v54, v55
	s_delay_alu instid0(VALU_DEP_1) | instskip(SKIP_2) | instid1(VALU_DEP_3)
	v_fmac_f32_e32 v54, v56, v53
	v_cvt_f32_f16_e32 v56, v9
	v_lshrrev_b32_e32 v9, 16, v9
	v_fma_f32 v51, -v51, v54, v55
	v_cvt_f32_f16_e32 v55, v16
	s_delay_alu instid0(VALU_DEP_3) | instskip(SKIP_1) | instid1(VALU_DEP_4)
	v_cvt_f32_f16_e32 v9, v9
	v_lshrrev_b32_e32 v16, 16, v16
	v_div_fmas_f32 v51, v51, v53, v54
	v_cvt_f32_f16_e32 v53, v14
	v_lshrrev_b32_e32 v14, 16, v14
	v_cvt_f32_f16_e32 v54, v15
	v_lshrrev_b32_e32 v15, 16, v15
	v_div_fixup_f32 v17, v51, v52, v17
	v_cvt_f32_f16_e32 v16, v16
	v_cvt_f32_f16_e32 v14, v14
	s_delay_alu instid0(VALU_DEP_4) | instskip(NEXT) | instid1(VALU_DEP_4)
	v_cvt_f32_f16_e32 v15, v15
	v_cvt_f64_f32_e32 v[51:52], v17
	s_delay_alu instid0(VALU_DEP_1) | instskip(NEXT) | instid1(VALU_DEP_1)
	v_add_f64 v[51:52], v[51:52], s[18:19]
	v_cvt_f32_f64_e32 v51, v[51:52]
	v_cvt_f32_f16_e32 v52, v13
	v_lshrrev_b32_e32 v13, 16, v13
	s_delay_alu instid0(VALU_DEP_1) | instskip(NEXT) | instid1(VALU_DEP_4)
	v_cvt_f32_f16_e32 v13, v13
	v_mul_f32_e32 v65, 0x4b800000, v51
	v_cmp_gt_f32_e32 vcc_lo, 0x800000, v51
	s_delay_alu instid0(VALU_DEP_2) | instskip(SKIP_2) | instid1(VALU_DEP_3)
	v_cndmask_b32_e32 v51, v51, v65, vcc_lo
	v_cvt_f32_f16_e32 v65, v3
	v_lshrrev_b32_e32 v3, 16, v3
	v_rsq_f32_e32 v51, v51
	s_waitcnt_depctr 0xfff
	v_mul_f32_e32 v69, 0x45800000, v51
	s_delay_alu instid0(VALU_DEP_1) | instskip(SKIP_1) | instid1(VALU_DEP_2)
	v_cndmask_b32_e32 v51, v51, v69, vcc_lo
	v_cvt_f32_f16_e32 v69, v3
	v_mul_f32_e32 v3, v51, v21
	v_mul_f32_e32 v21, v51, v22
	;; [unrolled: 1-line block ×4, first 2 shown]
	s_delay_alu instid0(VALU_DEP_2)
	v_dual_mul_f32 v32, v22, v15 :: v_dual_lshlrev_b32 v17, 5, v0
	v_mul_f32_e32 v4, v51, v19
	v_mul_f32_e32 v19, v51, v20
	v_mul_f32_e32 v20, v51, v50
	v_mul_f32_e32 v24, v51, v24
	v_mul_f32_e32 v48, v51, v48
	v_mul_f32_e32 v46, v51, v46
	v_mul_f32_e32 v78, v51, v34
	v_dual_mul_f32 v34, v20, v14 :: v_dual_mul_f32 v41, v51, v41
	v_mul_f32_e32 v45, v51, v45
	v_mul_f32_e32 v72, v51, v28
	;; [unrolled: 1-line block ×4, first 2 shown]
	v_dual_mul_f32 v14, v41, v7 :: v_dual_mul_f32 v49, v51, v25
	v_mul_f32_e32 v28, v45, v11
	v_dual_mul_f32 v50, v51, v26 :: v_dual_mul_f32 v25, v24, v56
	v_mul_f32_e32 v26, v48, v9
	v_dual_mul_f32 v77, v51, v33 :: v_dual_mul_f32 v22, v46, v10
	v_mul_f32_e32 v40, v51, v40
	v_mul_f32_e32 v37, v51, v37
	v_mul_f32_e32 v29, v47, v16
	;; [unrolled: 1-line block ×3, first 2 shown]
	v_dual_mul_f32 v35, v3, v52 :: v_dual_and_b32 v56, 0x7fffffff, v14
	v_mul_f32_e32 v3, v77, v66
	v_dual_mul_f32 v71, v51, v27 :: v_dual_mul_f32 v10, v40, v1
	v_dual_mul_f32 v75, v51, v31 :: v_dual_and_b32 v46, 0x7fffffff, v22
	v_mul_f32_e32 v31, v21, v54
	v_mul_f32_e32 v21, v49, v57
	;; [unrolled: 1-line block ×5, first 2 shown]
	v_dual_mul_f32 v74, v51, v30 :: v_dual_mul_f32 v9, v76, v64
	v_dual_mul_f32 v39, v51, v39 :: v_dual_and_b32 v40, 0x7fffffff, v32
	s_delay_alu instid0(VALU_DEP_4) | instskip(NEXT) | instid1(VALU_DEP_4)
	v_mul_f32_e32 v15, v42, v6
	v_dual_mul_f32 v23, v51, v23 :: v_dual_mul_f32 v20, v44, v5
	v_dual_mul_f32 v38, v51, v38 :: v_dual_and_b32 v1, 0x7fffffff, v35
	v_mul_f32_e32 v7, v78, v65
	v_mul_f32_e32 v43, v51, v43
	v_dual_mul_f32 v51, v51, v36 :: v_dual_and_b32 v54, 0x7fffffff, v15
	v_mul_f32_e32 v36, v4, v13
	v_dual_mul_f32 v33, v19, v53 :: v_dual_and_b32 v48, 0x7fffffff, v28
	v_mul_f32_e32 v30, v23, v55
	v_mul_f32_e32 v4, v38, v2
	s_delay_alu instid0(VALU_DEP_4)
	v_and_b32_e32 v2, 0x7fffffff, v36
	;;#ASMSTART
	v_max3_f32 v1, v68, v1, v2

	;;#ASMEND
	v_mul_f32_e32 v24, v43, v12
	v_mul_f32_e32 v12, v39, v8
	;; [unrolled: 1-line block ×3, first 2 shown]
	v_and_b32_e32 v37, 0x7fffffff, v33
	v_and_b32_e32 v41, 0x7fffffff, v30
	;; [unrolled: 1-line block ×3, first 2 shown]
	;;#ASMSTART
	v_max3_f32 v1, v1, v37, v38

	;;#ASMEND
	v_and_b32_e32 v39, 0x7fffffff, v31
	v_dual_mul_f32 v23, v71, v59 :: v_dual_and_b32 v50, 0x7fffffff, v24
	;;#ASMSTART
	v_max3_f32 v1, v1, v39, v40

	;;#ASMEND
	v_dual_mul_f32 v19, v72, v60 :: v_dual_and_b32 v60, 0x7fffffff, v10
	v_and_b32_e32 v42, 0x7fffffff, v29
	;;#ASMSTART
	v_max3_f32 v1, v1, v41, v42

	;;#ASMEND
	v_mul_f32_e32 v16, v73, v61
	v_dual_mul_f32 v6, v51, v70 :: v_dual_and_b32 v43, 0x7fffffff, v25
	v_and_b32_e32 v44, 0x7fffffff, v26
	;;#ASMSTART
	v_max3_f32 v1, v1, v43, v44

	;;#ASMEND
	v_mul_f32_e32 v13, v74, v62
	v_and_b32_e32 v45, 0x7fffffff, v21
	;;#ASMSTART
	v_max3_f32 v1, v1, v45, v46

	;;#ASMEND
	v_dual_mul_f32 v11, v75, v63 :: v_dual_and_b32 v52, 0x7fffffff, v20
	v_and_b32_e32 v47, 0x7fffffff, v27
	;;#ASMSTART
	v_max3_f32 v1, v1, v47, v48

	;;#ASMEND
	v_and_b32_e32 v49, 0x7fffffff, v23
	;;#ASMSTART
	v_max3_f32 v1, v1, v49, v50

	;;#ASMEND
	;; [unrolled: 5-line block ×3, first 2 shown]
	v_dual_mul_f32 v5, v79, v67 :: v_dual_and_b32 v58, 0x7fffffff, v12
	v_and_b32_e32 v53, 0x7fffffff, v16
	;;#ASMSTART
	v_max3_f32 v1, v1, v53, v54

	;;#ASMEND
	v_and_b32_e32 v55, 0x7fffffff, v13
	;;#ASMSTART
	v_max3_f32 v1, v1, v55, v56

	;;#ASMEND
	;; [unrolled: 5-line block ×4, first 2 shown]
	v_and_b32_e32 v61, 0x7fffffff, v3
	v_and_b32_e32 v62, 0x7fffffff, v4
	;;#ASMSTART
	v_max3_f32 v1, v1, v61, v62

	;;#ASMEND
	v_and_b32_e32 v63, 0x7fffffff, v7
	v_and_b32_e32 v64, 0x7fffffff, v8
	;; [unrolled: 1-line block ×4, first 2 shown]
	;;#ASMSTART
	v_max3_f32 v1, v1, v63, v64

	;;#ASMEND
	;;#ASMSTART
	v_max3_f32 v37, v1, v65, v66

	;;#ASMEND
	s_cbranch_scc0 .LBB111_10
; %bb.4:
	s_ashr_i32 s11, s7, 31
	s_delay_alu instid0(SALU_CYCLE_1) | instskip(NEXT) | instid1(SALU_CYCLE_1)
	s_lshr_b32 s3, s11, 27
	s_add_i32 s3, s7, s3
	s_delay_alu instid0(SALU_CYCLE_1) | instskip(NEXT) | instid1(SALU_CYCLE_1)
	s_ashr_i32 s3, s3, 5
	s_cmp_lt_i32 s3, 8
	s_cbranch_scc1 .LBB111_11
; %bb.5:
	s_cmp_lt_i32 s3, 16
	s_cbranch_scc1 .LBB111_12
; %bb.6:
	;; [unrolled: 3-line block ×3, first 2 shown]
	v_mov_b32_e32 v1, v37
	s_cmp_eq_u32 s3, 32
	s_cbranch_scc0 .LBB111_9
; %bb.8:
	s_delay_alu instid0(VALU_DEP_1) | instskip(SKIP_1) | instid1(VALU_DEP_1)
	v_mov_b32_dpp v1, v37 quad_perm:[1,0,3,2] row_mask:0xf bank_mask:0xf
	s_mov_b32 s12, 0x76543210
	v_cmp_gt_f32_e32 vcc_lo, v37, v1
	v_cndmask_b32_e32 v1, v1, v37, vcc_lo
	s_delay_alu instid0(VALU_DEP_1) | instskip(NEXT) | instid1(VALU_DEP_1)
	v_mov_b32_dpp v2, v1 quad_perm:[2,3,0,1] row_mask:0xf bank_mask:0xf
	v_cmp_gt_f32_e32 vcc_lo, v1, v2
	v_cndmask_b32_e32 v1, v2, v1, vcc_lo
	s_delay_alu instid0(VALU_DEP_1) | instskip(NEXT) | instid1(VALU_DEP_1)
	v_mov_b32_dpp v2, v1 row_xmask:7 row_mask:0xf bank_mask:0xf
	v_cmp_gt_f32_e32 vcc_lo, v1, v2
	v_cndmask_b32_e32 v1, v2, v1, vcc_lo
	s_delay_alu instid0(VALU_DEP_1) | instskip(NEXT) | instid1(VALU_DEP_1)
	v_mov_b32_dpp v2, v1 row_xmask:15 row_mask:0xf bank_mask:0xf
	v_cmp_gt_f32_e32 vcc_lo, v1, v2
	v_cndmask_b32_e32 v1, v2, v1, vcc_lo
	s_delay_alu instid0(VALU_DEP_1) | instskip(NEXT) | instid1(VALU_DEP_1)
	v_permlanex16_b32 v2, v1, s12, 0xfedcba98 op_sel:[1,1]
	v_cmp_gt_f32_e32 vcc_lo, v1, v2
	v_cndmask_b32_e32 v1, v2, v1, vcc_lo
.LBB111_9:
	s_mov_b32 s12, 0
	s_branch .LBB111_14
.LBB111_10:
	s_mov_b32 s3, 0
                                        ; implicit-def: $vgpr38
                                        ; implicit-def: $vgpr1_vgpr2
	s_and_b32 vcc_lo, exec_lo, s15
	s_cbranch_vccnz .LBB111_38
	s_branch .LBB111_41
.LBB111_11:
                                        ; implicit-def: $vgpr1
	s_branch .LBB111_21
.LBB111_12:
                                        ; implicit-def: $vgpr1
	s_branch .LBB111_18
.LBB111_13:
	s_mov_b32 s12, -1
                                        ; implicit-def: $vgpr1
.LBB111_14:
	s_delay_alu instid0(SALU_CYCLE_1)
	s_and_not1_b32 vcc_lo, exec_lo, s12
	s_cbranch_vccnz .LBB111_17
; %bb.15:
	v_mov_b32_e32 v1, v37
	s_cmp_eq_u32 s3, 16
	s_cbranch_scc0 .LBB111_17
; %bb.16:
	s_delay_alu instid0(VALU_DEP_1) | instskip(NEXT) | instid1(VALU_DEP_1)
	v_mov_b32_dpp v1, v37 quad_perm:[1,0,3,2] row_mask:0xf bank_mask:0xf
	v_cmp_gt_f32_e32 vcc_lo, v37, v1
	v_cndmask_b32_e32 v1, v1, v37, vcc_lo
	s_delay_alu instid0(VALU_DEP_1) | instskip(NEXT) | instid1(VALU_DEP_1)
	v_mov_b32_dpp v2, v1 quad_perm:[2,3,0,1] row_mask:0xf bank_mask:0xf
	v_cmp_gt_f32_e32 vcc_lo, v1, v2
	v_cndmask_b32_e32 v1, v2, v1, vcc_lo
	s_delay_alu instid0(VALU_DEP_1) | instskip(NEXT) | instid1(VALU_DEP_1)
	v_mov_b32_dpp v2, v1 row_half_mirror row_mask:0xf bank_mask:0xf
	v_cmp_gt_f32_e32 vcc_lo, v1, v2
	v_cndmask_b32_e32 v1, v2, v1, vcc_lo
	s_delay_alu instid0(VALU_DEP_1) | instskip(NEXT) | instid1(VALU_DEP_1)
	v_mov_b32_dpp v2, v1 row_mirror row_mask:0xf bank_mask:0xf
	v_cmp_gt_f32_e32 vcc_lo, v1, v2
	v_cndmask_b32_e32 v1, v2, v1, vcc_lo
.LBB111_17:
	s_cbranch_execnz .LBB111_20
.LBB111_18:
	v_mov_b32_e32 v1, v37
	s_cmp_eq_u32 s3, 8
	s_cbranch_scc0 .LBB111_20
; %bb.19:
	s_delay_alu instid0(VALU_DEP_1) | instskip(NEXT) | instid1(VALU_DEP_1)
	v_mov_b32_dpp v1, v37 quad_perm:[1,0,3,2] row_mask:0xf bank_mask:0xf
	v_cmp_gt_f32_e32 vcc_lo, v37, v1
	v_cndmask_b32_e32 v1, v1, v37, vcc_lo
	s_delay_alu instid0(VALU_DEP_1) | instskip(NEXT) | instid1(VALU_DEP_1)
	v_mov_b32_dpp v2, v1 quad_perm:[2,3,0,1] row_mask:0xf bank_mask:0xf
	v_cmp_gt_f32_e32 vcc_lo, v1, v2
	v_cndmask_b32_e32 v1, v2, v1, vcc_lo
	s_delay_alu instid0(VALU_DEP_1) | instskip(NEXT) | instid1(VALU_DEP_1)
	v_mov_b32_dpp v2, v1 row_half_mirror row_mask:0xf bank_mask:0xf
	v_cmp_gt_f32_e32 vcc_lo, v1, v2
	v_cndmask_b32_e32 v1, v2, v1, vcc_lo
.LBB111_20:
	s_cbranch_execnz .LBB111_28
.LBB111_21:
	s_cmp_lt_i32 s3, 4
	s_cbranch_scc1 .LBB111_24
; %bb.22:
	v_mov_b32_e32 v1, v37
	s_cmp_eq_u32 s3, 4
	s_cbranch_scc0 .LBB111_25
; %bb.23:
	s_delay_alu instid0(VALU_DEP_1) | instskip(NEXT) | instid1(VALU_DEP_1)
	v_mov_b32_dpp v1, v37 quad_perm:[1,0,3,2] row_mask:0xf bank_mask:0xf
	v_cmp_gt_f32_e32 vcc_lo, v37, v1
	v_cndmask_b32_e32 v1, v1, v37, vcc_lo
	s_delay_alu instid0(VALU_DEP_1) | instskip(NEXT) | instid1(VALU_DEP_1)
	v_mov_b32_dpp v2, v1 quad_perm:[2,3,0,1] row_mask:0xf bank_mask:0xf
	v_cmp_gt_f32_e32 vcc_lo, v1, v2
	v_cndmask_b32_e32 v1, v2, v1, vcc_lo
	s_cbranch_execz .LBB111_26
	s_branch .LBB111_28
.LBB111_24:
                                        ; implicit-def: $vgpr1
	s_branch .LBB111_26
.LBB111_25:
	s_cbranch_execnz .LBB111_28
.LBB111_26:
	v_mov_b32_e32 v1, v37
	s_cmp_lg_u32 s3, 2
	s_cbranch_scc1 .LBB111_28
; %bb.27:
	s_delay_alu instid0(VALU_DEP_1) | instskip(NEXT) | instid1(VALU_DEP_1)
	v_mov_b32_dpp v1, v37 quad_perm:[1,0,3,2] row_mask:0xf bank_mask:0xf
	v_cmp_gt_f32_e32 vcc_lo, v37, v1
	v_cndmask_b32_e32 v1, v1, v37, vcc_lo
.LBB111_28:
	v_cvt_f32_u32_e32 v2, s3
	s_sub_i32 s12, 0, s3
	s_mov_b32 s15, 0
	s_delay_alu instid0(VALU_DEP_1) | instskip(SKIP_2) | instid1(VALU_DEP_1)
	v_rcp_iflag_f32_e32 v2, v2
	s_waitcnt_depctr 0xfff
	v_mul_f32_e32 v2, 0x4f7ffffe, v2
	v_cvt_u32_f32_e32 v2, v2
	s_delay_alu instid0(VALU_DEP_1) | instskip(NEXT) | instid1(VALU_DEP_1)
	v_mul_lo_u32 v38, s12, v2
	v_mul_hi_u32 v38, v2, v38
	s_delay_alu instid0(VALU_DEP_1) | instskip(NEXT) | instid1(VALU_DEP_1)
	v_add_nc_u32_e32 v2, v2, v38
	v_mul_hi_u32 v2, v0, v2
	s_delay_alu instid0(VALU_DEP_1) | instskip(NEXT) | instid1(VALU_DEP_1)
	v_mul_lo_u32 v38, v2, s3
	v_sub_nc_u32_e32 v38, v0, v38
	s_delay_alu instid0(VALU_DEP_1) | instskip(SKIP_1) | instid1(VALU_DEP_2)
	v_subrev_nc_u32_e32 v40, s3, v38
	v_cmp_le_u32_e32 vcc_lo, s3, v38
	v_dual_cndmask_b32 v38, v38, v40 :: v_dual_add_nc_u32 v39, 1, v2
	s_delay_alu instid0(VALU_DEP_1) | instskip(NEXT) | instid1(VALU_DEP_2)
	v_cndmask_b32_e32 v2, v2, v39, vcc_lo
	v_cmp_le_u32_e32 vcc_lo, s3, v38
	s_delay_alu instid0(VALU_DEP_2) | instskip(NEXT) | instid1(VALU_DEP_1)
	v_dual_mul_f32 v38, 0x3c010204, v1 :: v_dual_add_nc_u32 v39, 1, v2
	v_cndmask_b32_e32 v39, v2, v39, vcc_lo
	v_cmp_gt_u32_e32 vcc_lo, s5, v17
	s_delay_alu instid0(VALU_DEP_2) | instskip(NEXT) | instid1(VALU_DEP_1)
	v_mul_lo_u32 v2, v39, s3
	v_sub_nc_u32_e32 v2, v0, v2
	s_delay_alu instid0(VALU_DEP_1) | instskip(NEXT) | instid1(VALU_DEP_1)
	v_cmp_eq_u32_e64 s3, 0, v2
                                        ; implicit-def: $vgpr1_vgpr2
	s_and_b32 s12, s3, vcc_lo
	s_mov_b32 s3, 0
	s_and_saveexec_b32 s13, s12
	s_delay_alu instid0(SALU_CYCLE_1)
	s_xor_b32 s14, exec_lo, s13
	s_cbranch_execz .LBB111_37
; %bb.29:
	s_bitcmp0_b32 s10, 0
	s_mov_b32 s16, 0
	s_cbranch_scc0 .LBB111_34
; %bb.30:
	s_ashr_i32 s3, s5, 31
	s_mul_hi_u32 s10, s5, s20
	s_mul_i32 s3, s3, s20
	s_mul_i32 s12, s5, s20
	s_add_i32 s13, s10, s3
	s_mov_b32 s10, s7
	s_delay_alu instid0(SALU_CYCLE_1) | instskip(NEXT) | instid1(SALU_CYCLE_1)
	s_or_b64 s[18:19], s[12:13], s[10:11]
	s_mov_b32 s17, s19
	s_delay_alu instid0(SALU_CYCLE_1)
	s_cmp_lg_u64 s[16:17], 0
	s_cbranch_scc0 .LBB111_45
; %bb.31:
	s_add_u32 s18, s10, s11
	s_mov_b32 s16, s11
	s_mov_b32 s17, s11
	s_addc_u32 s19, s11, s11
	s_delay_alu instid0(SALU_CYCLE_1) | instskip(NEXT) | instid1(SALU_CYCLE_1)
	s_xor_b64 s[18:19], s[18:19], s[16:17]
	v_cvt_f32_u32_e32 v1, s18
	v_cvt_f32_u32_e32 v2, s19
	s_sub_u32 s11, 0, s18
	s_subb_u32 s22, 0, s19
	s_delay_alu instid0(VALU_DEP_1) | instskip(NEXT) | instid1(VALU_DEP_1)
	v_fmamk_f32 v1, v2, 0x4f800000, v1
	v_rcp_f32_e32 v1, v1
	s_waitcnt_depctr 0xfff
	v_mul_f32_e32 v1, 0x5f7ffffc, v1
	s_delay_alu instid0(VALU_DEP_1) | instskip(NEXT) | instid1(VALU_DEP_1)
	v_mul_f32_e32 v2, 0x2f800000, v1
	v_trunc_f32_e32 v2, v2
	s_delay_alu instid0(VALU_DEP_1) | instskip(SKIP_1) | instid1(VALU_DEP_2)
	v_fmamk_f32 v1, v2, 0xcf800000, v1
	v_cvt_u32_f32_e32 v2, v2
	v_cvt_u32_f32_e32 v1, v1
	s_delay_alu instid0(VALU_DEP_2) | instskip(NEXT) | instid1(VALU_DEP_2)
	v_readfirstlane_b32 s3, v2
	v_readfirstlane_b32 s7, v1
	s_delay_alu instid0(VALU_DEP_2) | instskip(NEXT) | instid1(VALU_DEP_1)
	s_mul_i32 s23, s11, s3
	s_mul_hi_u32 s25, s11, s7
	s_mul_i32 s24, s22, s7
	s_add_i32 s23, s25, s23
	s_mul_i32 s26, s11, s7
	s_add_i32 s23, s23, s24
	s_mul_hi_u32 s25, s7, s26
	s_mul_hi_u32 s27, s3, s26
	s_mul_i32 s24, s3, s26
	s_mul_hi_u32 s26, s7, s23
	s_mul_i32 s7, s7, s23
	s_mul_hi_u32 s28, s3, s23
	s_add_u32 s7, s25, s7
	s_addc_u32 s25, 0, s26
	s_add_u32 s7, s7, s24
	s_mul_i32 s23, s3, s23
	s_addc_u32 s7, s25, s27
	s_addc_u32 s24, s28, 0
	s_add_u32 s7, s7, s23
	s_addc_u32 s23, 0, s24
	v_add_co_u32 v1, s7, v1, s7
	s_delay_alu instid0(VALU_DEP_1) | instskip(SKIP_1) | instid1(VALU_DEP_1)
	s_cmp_lg_u32 s7, 0
	s_addc_u32 s3, s3, s23
	v_readfirstlane_b32 s7, v1
	s_mul_i32 s23, s11, s3
	s_delay_alu instid0(VALU_DEP_1)
	s_mul_hi_u32 s24, s11, s7
	s_mul_i32 s22, s22, s7
	s_add_i32 s23, s24, s23
	s_mul_i32 s11, s11, s7
	s_add_i32 s23, s23, s22
	s_mul_hi_u32 s24, s3, s11
	s_mul_i32 s25, s3, s11
	s_mul_hi_u32 s11, s7, s11
	s_mul_hi_u32 s26, s7, s23
	s_mul_i32 s7, s7, s23
	s_mul_hi_u32 s22, s3, s23
	s_add_u32 s7, s11, s7
	s_addc_u32 s11, 0, s26
	s_add_u32 s7, s7, s25
	s_mul_i32 s23, s3, s23
	s_addc_u32 s7, s11, s24
	s_addc_u32 s11, s22, 0
	s_add_u32 s7, s7, s23
	s_addc_u32 s11, 0, s11
	v_add_co_u32 v1, s7, v1, s7
	s_delay_alu instid0(VALU_DEP_1) | instskip(SKIP_2) | instid1(VALU_DEP_1)
	s_cmp_lg_u32 s7, 0
	s_addc_u32 s3, s3, s11
	s_ashr_i32 s22, s13, 31
	v_readfirstlane_b32 s7, v1
	s_add_u32 s24, s12, s22
	s_mov_b32 s23, s22
	s_addc_u32 s25, s13, s22
	s_delay_alu instid0(SALU_CYCLE_1) | instskip(NEXT) | instid1(SALU_CYCLE_1)
	s_xor_b64 s[24:25], s[24:25], s[22:23]
	s_mul_i32 s13, s24, s3
	s_mul_hi_u32 s26, s24, s7
	s_mul_hi_u32 s11, s24, s3
	;; [unrolled: 1-line block ×3, first 2 shown]
	s_mul_i32 s7, s25, s7
	s_add_u32 s13, s26, s13
	s_addc_u32 s11, 0, s11
	s_mul_hi_u32 s27, s25, s3
	s_add_u32 s7, s13, s7
	s_mul_i32 s3, s25, s3
	s_addc_u32 s7, s11, s28
	s_addc_u32 s11, s27, 0
	s_add_u32 s7, s7, s3
	s_addc_u32 s11, 0, s11
	s_mul_i32 s27, s18, s7
	s_mul_hi_u32 s3, s18, s7
	s_mul_i32 s26, s18, s11
	v_sub_co_u32 v1, s24, s24, s27
	s_mul_i32 s13, s19, s7
	s_add_i32 s3, s3, s26
	s_delay_alu instid0(SALU_CYCLE_1) | instskip(NEXT) | instid1(VALU_DEP_1)
	s_add_i32 s3, s3, s13
	v_sub_co_u32 v2, s26, v1, s18
	s_sub_i32 s13, s25, s3
	s_cmp_lg_u32 s24, 0
	s_subb_u32 s13, s13, s19
	s_cmp_lg_u32 s26, 0
	v_cmp_le_u32_e32 vcc_lo, s18, v2
	s_subb_u32 s13, s13, 0
	s_delay_alu instid0(SALU_CYCLE_1)
	s_cmp_ge_u32 s13, s19
	v_cndmask_b32_e64 v2, 0, -1, vcc_lo
	s_cselect_b32 s26, -1, 0
	s_cmp_eq_u32 s13, s19
	s_cselect_b32 vcc_lo, -1, 0
	s_add_u32 s13, s7, 1
	v_cndmask_b32_e32 v2, s26, v2, vcc_lo
	s_addc_u32 s26, s11, 0
	s_add_u32 s27, s7, 2
	s_addc_u32 s28, s11, 0
	s_cmp_lg_u32 s24, 0
	v_cmp_le_u32_e32 vcc_lo, s18, v1
	s_subb_u32 s3, s25, s3
	v_mov_b32_e32 v40, s27
	s_cmp_ge_u32 s3, s19
	v_cndmask_b32_e64 v1, 0, -1, vcc_lo
	s_cselect_b32 s18, -1, 0
	s_cmp_eq_u32 s3, s19
	v_cmp_ne_u32_e32 vcc_lo, 0, v2
	v_mov_b32_e32 v2, s28
	s_cselect_b32 s3, -1, 0
	s_xor_b64 s[16:17], s[22:23], s[16:17]
	v_cndmask_b32_e64 v1, s18, v1, s3
	v_cndmask_b32_e32 v40, s13, v40, vcc_lo
	v_cndmask_b32_e32 v2, s26, v2, vcc_lo
	s_delay_alu instid0(VALU_DEP_3) | instskip(NEXT) | instid1(VALU_DEP_2)
	v_cmp_ne_u32_e32 vcc_lo, 0, v1
	v_cndmask_b32_e32 v1, s11, v2, vcc_lo
	s_delay_alu instid0(VALU_DEP_4) | instskip(NEXT) | instid1(VALU_DEP_2)
	v_cndmask_b32_e32 v2, s7, v40, vcc_lo
	v_xor_b32_e32 v40, s17, v1
	s_delay_alu instid0(VALU_DEP_2) | instskip(NEXT) | instid1(VALU_DEP_1)
	v_xor_b32_e32 v2, s16, v2
	v_sub_co_u32 v1, vcc_lo, v2, s16
	s_delay_alu instid0(VALU_DEP_3)
	v_subrev_co_ci_u32_e32 v2, vcc_lo, s17, v40, vcc_lo
	s_cbranch_execnz .LBB111_33
.LBB111_32:
	v_cvt_f32_u32_e32 v1, s10
	s_sub_i32 s7, 0, s10
	s_delay_alu instid0(VALU_DEP_1) | instskip(SKIP_2) | instid1(VALU_DEP_1)
	v_rcp_iflag_f32_e32 v1, v1
	s_waitcnt_depctr 0xfff
	v_mul_f32_e32 v1, 0x4f7ffffe, v1
	v_cvt_u32_f32_e32 v1, v1
	s_delay_alu instid0(VALU_DEP_1) | instskip(NEXT) | instid1(VALU_DEP_1)
	v_readfirstlane_b32 s3, v1
	s_mul_i32 s7, s7, s3
	s_delay_alu instid0(SALU_CYCLE_1) | instskip(NEXT) | instid1(SALU_CYCLE_1)
	s_mul_hi_u32 s7, s3, s7
	s_add_i32 s3, s3, s7
	s_delay_alu instid0(SALU_CYCLE_1) | instskip(NEXT) | instid1(SALU_CYCLE_1)
	s_mul_hi_u32 s3, s12, s3
	s_mul_i32 s7, s3, s10
	s_add_i32 s11, s3, 1
	s_sub_i32 s7, s12, s7
	s_delay_alu instid0(SALU_CYCLE_1)
	s_sub_i32 s12, s7, s10
	s_cmp_ge_u32 s7, s10
	s_cselect_b32 s3, s11, s3
	s_cselect_b32 s7, s12, s7
	s_add_i32 s12, s3, 1
	s_cmp_ge_u32 s7, s10
	s_mov_b32 s11, 0
	s_cselect_b32 s10, s12, s3
	s_delay_alu instid0(SALU_CYCLE_1)
	v_dual_mov_b32 v1, s10 :: v_dual_mov_b32 v2, s11
.LBB111_33:
	s_delay_alu instid0(VALU_DEP_1) | instskip(NEXT) | instid1(VALU_DEP_2)
	v_add_co_u32 v1, vcc_lo, v1, v39
	v_add_co_ci_u32_e32 v2, vcc_lo, 0, v2, vcc_lo
	s_branch .LBB111_36
.LBB111_34:
                                        ; implicit-def: $vgpr1_vgpr2
	s_cbranch_execz .LBB111_36
; %bb.35:
	v_mul_lo_u32 v1, v39, s4
	s_delay_alu instid0(VALU_DEP_1) | instskip(SKIP_1) | instid1(VALU_DEP_2)
	v_ashrrev_i32_e32 v2, 31, v1
	v_add_co_u32 v1, vcc_lo, v1, s20
	v_add_co_ci_u32_e32 v2, vcc_lo, 0, v2, vcc_lo
.LBB111_36:
	s_mov_b32 s3, exec_lo
.LBB111_37:
	s_or_b32 exec_lo, exec_lo, s14
	s_delay_alu instid0(SALU_CYCLE_1)
	s_and_b32 vcc_lo, exec_lo, s15
	s_cbranch_vccz .LBB111_41
.LBB111_38:
	v_mov_b32_dpp v1, v37 quad_perm:[1,0,3,2] row_mask:0xf bank_mask:0xf
	s_delay_alu instid0(VALU_DEP_1) | instskip(SKIP_1) | instid1(VALU_DEP_1)
	v_cmp_gt_f32_e32 vcc_lo, v37, v1
	v_cndmask_b32_e32 v1, v1, v37, vcc_lo
	v_mov_b32_dpp v2, v1 quad_perm:[2,3,0,1] row_mask:0xf bank_mask:0xf
	s_delay_alu instid0(VALU_DEP_1) | instskip(SKIP_1) | instid1(VALU_DEP_1)
	v_cmp_gt_f32_e32 vcc_lo, v1, v2
	v_cndmask_b32_e32 v1, v2, v1, vcc_lo
	v_mov_b32_dpp v2, v1 row_xmask:7 row_mask:0xf bank_mask:0xf
	s_delay_alu instid0(VALU_DEP_1) | instskip(SKIP_1) | instid1(VALU_DEP_1)
	v_cmp_gt_f32_e32 vcc_lo, v1, v2
	v_cndmask_b32_e32 v1, v2, v1, vcc_lo
	v_mov_b32_dpp v2, v1 row_xmask:15 row_mask:0xf bank_mask:0xf
	s_delay_alu instid0(VALU_DEP_1)
	v_cmp_gt_f32_e32 vcc_lo, v1, v2
	s_and_saveexec_b32 s3, s2
	s_cbranch_execz .LBB111_40
; %bb.39:
	v_cndmask_b32_e32 v1, v2, v1, vcc_lo
	v_lshrrev_b32_e32 v2, 3, v0
	s_mov_b32 s2, 0x76543210
	s_delay_alu instid0(VALU_DEP_1) | instskip(NEXT) | instid1(VALU_DEP_3)
	v_and_b32_e32 v2, 0x7c, v2
	v_permlanex16_b32 v37, v1, s2, 0xfedcba98 op_sel:[1,1]
	s_delay_alu instid0(VALU_DEP_1)
	v_cmp_gt_f32_e32 vcc_lo, v1, v37
	v_cndmask_b32_e32 v1, v37, v1, vcc_lo
	ds_store_b32 v2, v1
.LBB111_40:
	s_or_b32 exec_lo, exec_lo, s3
	s_waitcnt lgkmcnt(0)
	s_barrier
	buffer_gl0_inv
	ds_load_b32 v1, v18
	v_cmp_eq_u32_e64 s3, 0, v0
	s_waitcnt lgkmcnt(0)
	v_mov_b32_dpp v2, v1 quad_perm:[1,0,3,2] row_mask:0xf bank_mask:0xf
	s_delay_alu instid0(VALU_DEP_1) | instskip(SKIP_1) | instid1(VALU_DEP_1)
	v_cmp_gt_f32_e32 vcc_lo, v1, v2
	v_cndmask_b32_e32 v1, v2, v1, vcc_lo
	v_mov_b32_dpp v2, v1 quad_perm:[2,3,0,1] row_mask:0xf bank_mask:0xf
	s_delay_alu instid0(VALU_DEP_1) | instskip(SKIP_1) | instid1(VALU_DEP_1)
	v_cmp_gt_f32_e32 vcc_lo, v1, v2
	v_cndmask_b32_e32 v1, v2, v1, vcc_lo
	v_mov_b32_dpp v2, v1 row_xmask:7 row_mask:0xf bank_mask:0xf
	s_delay_alu instid0(VALU_DEP_1) | instskip(SKIP_1) | instid1(VALU_DEP_1)
	v_cmp_gt_f32_e32 vcc_lo, v1, v2
	v_cndmask_b32_e32 v1, v2, v1, vcc_lo
	v_dual_mul_f32 v38, 0x3c010204, v1 :: v_dual_mov_b32 v1, s20
	v_mov_b32_e32 v2, s21
.LBB111_41:
	s_and_saveexec_b32 s2, s3
	s_cbranch_execz .LBB111_43
; %bb.42:
	s_delay_alu instid0(VALU_DEP_1) | instskip(NEXT) | instid1(VALU_DEP_1)
	v_lshlrev_b64 v[0:1], 2, v[1:2]
	v_add_co_u32 v0, vcc_lo, s8, v0
	s_delay_alu instid0(VALU_DEP_2)
	v_add_co_ci_u32_e32 v1, vcc_lo, s9, v1, vcc_lo
	global_store_b32 v[0:1], v38, off
.LBB111_43:
	s_or_b32 exec_lo, exec_lo, s2
	;;#ASMSTART
	v_rcp_f32 v0, v38
	;;#ASMEND
	v_mul_f32_e32 v5, v0, v5
	v_mul_f32_e32 v9, v0, v9
	;; [unrolled: 1-line block ×5, first 2 shown]
	v_cvt_i32_f32_e32 v5, v5
	v_mul_f32_e32 v10, v0, v10
	v_cvt_i32_f32_e32 v9, v9
	v_cvt_i32_f32_e32 v6, v6
	;; [unrolled: 1-line block ×3, first 2 shown]
	v_and_b32_e32 v5, 0xff, v5
	v_cvt_i32_f32_e32 v10, v10
	v_mul_f32_e32 v21, v0, v21
	v_dual_mul_f32 v8, v0, v8 :: v_dual_and_b32 v9, 0xff, v9
	v_lshlrev_b16 v6, 8, v6
	s_delay_alu instid0(VALU_DEP_4)
	v_lshlrev_b16 v10, 8, v10
	v_mul_f32_e32 v31, v0, v31
	v_cvt_i32_f32_e32 v27, v27
	v_mul_f32_e32 v2, v0, v36
	v_or_b32_e32 v5, v5, v6
	v_or_b32_e32 v6, v9, v10
	v_and_b32_e32 v10, 0xff, v11
	v_and_b32_e32 v27, 0xff, v27
	v_cvt_i32_f32_e32 v21, v21
	v_mul_f32_e32 v28, v0, v28
	v_cvt_i32_f32_e32 v31, v31
	v_dual_mul_f32 v25, v0, v25 :: v_dual_and_b32 v6, 0xffff, v6
	s_delay_alu instid0(VALU_DEP_4) | instskip(NEXT) | instid1(VALU_DEP_4)
	v_and_b32_e32 v21, 0xff, v21
	v_cvt_i32_f32_e32 v28, v28
	s_delay_alu instid0(VALU_DEP_4) | instskip(SKIP_2) | instid1(VALU_DEP_4)
	v_dual_mul_f32 v26, v0, v26 :: v_dual_and_b32 v31, 0xff, v31
	v_mul_f32_e32 v24, v0, v24
	v_mul_f32_e32 v23, v0, v23
	v_lshlrev_b16 v28, 8, v28
	v_cvt_i32_f32_e32 v25, v25
	v_cvt_i32_f32_e32 v26, v26
	;; [unrolled: 1-line block ×4, first 2 shown]
	v_or_b32_e32 v27, v27, v28
	v_mul_f32_e32 v18, v0, v33
	v_mul_f32_e32 v32, v0, v32
	v_dual_mul_f32 v30, v0, v30 :: v_dual_and_b32 v25, 0xff, v25
	s_delay_alu instid0(VALU_DEP_4) | instskip(NEXT) | instid1(VALU_DEP_4)
	v_dual_mul_f32 v22, v0, v22 :: v_dual_and_b32 v27, 0xffff, v27
	v_cvt_i32_f32_e32 v18, v18
	v_mul_f32_e32 v29, v0, v29
	v_lshlrev_b16 v24, 8, v24
	v_and_b32_e32 v23, 0xff, v23
	v_lshlrev_b16 v26, 8, v26
	v_and_b32_e32 v18, 0xff, v18
	v_cvt_i32_f32_e32 v32, v32
	v_cvt_i32_f32_e32 v30, v30
	v_mul_f32_e32 v1, v0, v35
	v_cvt_i32_f32_e32 v29, v29
	v_cvt_i32_f32_e32 v22, v22
	v_or_b32_e32 v23, v23, v24
	v_and_b32_e32 v30, 0xff, v30
	v_or_b32_e32 v24, v25, v26
	v_mul_f32_e32 v33, v0, v34
	v_cvt_i32_f32_e32 v1, v1
	v_cvt_i32_f32_e32 v2, v2
	v_lshlrev_b16 v22, 8, v22
	v_and_b32_e32 v24, 0xffff, v24
	v_cvt_i32_f32_e32 v33, v33
	v_lshlrev_b16 v28, 8, v32
	v_lshlrev_b16 v29, 8, v29
	v_or_b32_e32 v21, v21, v22
	v_lshlrev_b16 v2, 8, v2
	v_dual_mul_f32 v16, v0, v16 :: v_dual_and_b32 v1, 0xff, v1
	v_or_b32_e32 v22, v31, v28
	v_or_b32_e32 v25, v30, v29
	v_lshlrev_b16 v28, 8, v33
	v_mul_f32_e32 v7, v0, v7
	v_or_b32_e32 v1, v1, v2
	v_cvt_i32_f32_e32 v16, v16
	v_lshlrev_b32_e32 v25, 16, v25
	v_or_b32_e32 v2, v18, v28
	v_mul_f32_e32 v18, v0, v19
	v_mul_f32_e32 v13, v0, v13
	v_cvt_i32_f32_e32 v8, v8
	v_cvt_i32_f32_e32 v7, v7
	v_dual_mul_f32 v12, v0, v12 :: v_dual_and_b32 v1, 0xffff, v1
	v_mul_f32_e32 v14, v0, v14
	v_cvt_i32_f32_e32 v18, v18
	v_mul_f32_e32 v15, v0, v15
	v_cvt_i32_f32_e32 v13, v13
	v_mul_f32_e32 v19, v0, v20
	v_lshlrev_b16 v8, 8, v8
	v_and_b32_e32 v7, 0xff, v7
	v_cvt_i32_f32_e32 v12, v12
	v_dual_mul_f32 v4, v0, v4 :: v_dual_lshlrev_b32 v5, 16, v5
	v_mul_f32_e32 v0, v0, v3
	s_load_b64 s[0:1], s[0:1], 0x0
	v_cvt_i32_f32_e32 v14, v14
	v_or_b32_e32 v3, v7, v8
	v_cvt_i32_f32_e32 v4, v4
	v_cvt_i32_f32_e32 v0, v0
	v_and_b32_e32 v8, 0xff, v13
	v_cvt_i32_f32_e32 v19, v19
	v_lshlrev_b16 v9, 8, v12
	v_and_b32_e32 v12, 0xff, v18
	v_cvt_i32_f32_e32 v15, v15
	v_lshlrev_b16 v4, 8, v4
	v_and_b32_e32 v0, 0xff, v0
	v_lshlrev_b16 v7, 8, v14
	v_lshlrev_b16 v11, 8, v19
	;; [unrolled: 1-line block ×3, first 2 shown]
	v_and_b32_e32 v14, 0xff, v16
	v_or_b32_e32 v0, v0, v4
	v_or_b32_e32 v4, v8, v7
	;; [unrolled: 1-line block ×5, first 2 shown]
	s_add_i32 s2, s5, 3
	s_ashr_i32 s3, s6, 31
	s_mul_hi_u32 s4, s6, s20
	s_mul_i32 s5, s6, s20
	v_lshlrev_b32_e32 v9, 16, v9
	s_ashr_i32 s6, s2, 31
	v_lshlrev_b32_e32 v23, 16, v23
	s_lshr_b32 s6, s6, 30
	v_lshlrev_b32_e32 v21, 16, v21
	v_and_b32_e32 v26, 0xffff, v22
	v_lshlrev_b32_e32 v2, 16, v2
	v_and_b32_e32 v3, 0xffff, v3
	;; [unrolled: 2-line block ×4, first 2 shown]
	s_mul_i32 s3, s3, s20
	s_add_i32 s2, s2, s6
	s_add_i32 s4, s4, s3
	s_and_b32 s2, s2, -4
	s_waitcnt lgkmcnt(0)
	s_add_u32 s0, s0, s5
	v_or_b32_e32 v23, v27, v23
	v_or_b32_e32 v22, v24, v21
	;; [unrolled: 1-line block ×8, first 2 shown]
	s_addc_u32 s1, s1, s4
	s_mov_b32 s3, -1
	s_and_b32 s1, s1, 0xffff
	buffer_store_b128 v[20:23], v17, s[0:3], 0 offen
	;;#ASMSTART
	s_nop 0
	;;#ASMEND
	buffer_store_b128 v[0:3], v17, s[0:3], 16 offen
	;;#ASMSTART
	s_nop 0
	;;#ASMEND
.LBB111_44:
	s_nop 0
	s_sendmsg sendmsg(MSG_DEALLOC_VGPRS)
	s_endpgm
.LBB111_45:
                                        ; implicit-def: $vgpr1_vgpr2
	s_branch .LBB111_32
	.section	.rodata,"a",@progbits
	.p2align	6, 0x0
	.amdhsa_kernel _ZN5aiter24add_rmsnorm_quant_kernelIDF16_aLi256ELi32ELb0ELb1ELb0ELi1EEEvPT0_PT_PfS4_S4_S4_diiiiiiib
		.amdhsa_group_segment_fixed_size 64
		.amdhsa_private_segment_fixed_size 0
		.amdhsa_kernarg_size 88
		.amdhsa_user_sgpr_count 15
		.amdhsa_user_sgpr_dispatch_ptr 0
		.amdhsa_user_sgpr_queue_ptr 0
		.amdhsa_user_sgpr_kernarg_segment_ptr 1
		.amdhsa_user_sgpr_dispatch_id 0
		.amdhsa_user_sgpr_private_segment_size 0
		.amdhsa_wavefront_size32 1
		.amdhsa_uses_dynamic_stack 0
		.amdhsa_enable_private_segment 0
		.amdhsa_system_sgpr_workgroup_id_x 1
		.amdhsa_system_sgpr_workgroup_id_y 0
		.amdhsa_system_sgpr_workgroup_id_z 0
		.amdhsa_system_sgpr_workgroup_info 0
		.amdhsa_system_vgpr_workitem_id 0
		.amdhsa_next_free_vgpr 80
		.amdhsa_next_free_sgpr 29
		.amdhsa_reserve_vcc 1
		.amdhsa_float_round_mode_32 0
		.amdhsa_float_round_mode_16_64 0
		.amdhsa_float_denorm_mode_32 3
		.amdhsa_float_denorm_mode_16_64 3
		.amdhsa_dx10_clamp 1
		.amdhsa_ieee_mode 1
		.amdhsa_fp16_overflow 0
		.amdhsa_workgroup_processor_mode 1
		.amdhsa_memory_ordered 1
		.amdhsa_forward_progress 0
		.amdhsa_shared_vgpr_count 0
		.amdhsa_exception_fp_ieee_invalid_op 0
		.amdhsa_exception_fp_denorm_src 0
		.amdhsa_exception_fp_ieee_div_zero 0
		.amdhsa_exception_fp_ieee_overflow 0
		.amdhsa_exception_fp_ieee_underflow 0
		.amdhsa_exception_fp_ieee_inexact 0
		.amdhsa_exception_int_div_zero 0
	.end_amdhsa_kernel
	.section	.text._ZN5aiter24add_rmsnorm_quant_kernelIDF16_aLi256ELi32ELb0ELb1ELb0ELi1EEEvPT0_PT_PfS4_S4_S4_diiiiiiib,"axG",@progbits,_ZN5aiter24add_rmsnorm_quant_kernelIDF16_aLi256ELi32ELb0ELb1ELb0ELi1EEEvPT0_PT_PfS4_S4_S4_diiiiiiib,comdat
.Lfunc_end111:
	.size	_ZN5aiter24add_rmsnorm_quant_kernelIDF16_aLi256ELi32ELb0ELb1ELb0ELi1EEEvPT0_PT_PfS4_S4_S4_diiiiiiib, .Lfunc_end111-_ZN5aiter24add_rmsnorm_quant_kernelIDF16_aLi256ELi32ELb0ELb1ELb0ELi1EEEvPT0_PT_PfS4_S4_S4_diiiiiiib
                                        ; -- End function
	.section	.AMDGPU.csdata,"",@progbits
; Kernel info:
; codeLenInByte = 5008
; NumSgprs: 31
; NumVgprs: 80
; ScratchSize: 0
; MemoryBound: 0
; FloatMode: 240
; IeeeMode: 1
; LDSByteSize: 64 bytes/workgroup (compile time only)
; SGPRBlocks: 3
; VGPRBlocks: 9
; NumSGPRsForWavesPerEU: 31
; NumVGPRsForWavesPerEU: 80
; Occupancy: 16
; WaveLimiterHint : 0
; COMPUTE_PGM_RSRC2:SCRATCH_EN: 0
; COMPUTE_PGM_RSRC2:USER_SGPR: 15
; COMPUTE_PGM_RSRC2:TRAP_HANDLER: 0
; COMPUTE_PGM_RSRC2:TGID_X_EN: 1
; COMPUTE_PGM_RSRC2:TGID_Y_EN: 0
; COMPUTE_PGM_RSRC2:TGID_Z_EN: 0
; COMPUTE_PGM_RSRC2:TIDIG_COMP_CNT: 0
	.section	.text._ZN5aiter24add_rmsnorm_quant_kernelItaLi256ELi32ELb0ELb1ELb0ELi1EEEvPT0_PT_PfS4_S4_S4_diiiiiiib,"axG",@progbits,_ZN5aiter24add_rmsnorm_quant_kernelItaLi256ELi32ELb0ELb1ELb0ELi1EEEvPT0_PT_PfS4_S4_S4_diiiiiiib,comdat
	.protected	_ZN5aiter24add_rmsnorm_quant_kernelItaLi256ELi32ELb0ELb1ELb0ELi1EEEvPT0_PT_PfS4_S4_S4_diiiiiiib ; -- Begin function _ZN5aiter24add_rmsnorm_quant_kernelItaLi256ELi32ELb0ELb1ELb0ELi1EEEvPT0_PT_PfS4_S4_S4_diiiiiiib
	.globl	_ZN5aiter24add_rmsnorm_quant_kernelItaLi256ELi32ELb0ELb1ELb0ELi1EEEvPT0_PT_PfS4_S4_S4_diiiiiiib
	.p2align	8
	.type	_ZN5aiter24add_rmsnorm_quant_kernelItaLi256ELi32ELb0ELb1ELb0ELi1EEEvPT0_PT_PfS4_S4_S4_diiiiiiib,@function
_ZN5aiter24add_rmsnorm_quant_kernelItaLi256ELi32ELb0ELb1ELb0ELi1EEEvPT0_PT_PfS4_S4_S4_diiiiiiib: ; @_ZN5aiter24add_rmsnorm_quant_kernelItaLi256ELi32ELb0ELb1ELb0ELi1EEEvPT0_PT_PfS4_S4_S4_diiiiiiib
; %bb.0:
	s_load_b128 s[4:7], s[0:1], 0x38
	s_mov_b32 s20, s15
	s_mov_b32 s21, 0
	s_waitcnt lgkmcnt(0)
	s_ashr_i32 s3, s4, 31
	s_mov_b32 s2, s4
	s_delay_alu instid0(SALU_CYCLE_1) | instskip(NEXT) | instid1(VALU_DEP_1)
	v_cmp_ge_i64_e64 s2, s[20:21], s[2:3]
	s_and_b32 vcc_lo, exec_lo, s2
	s_cbranch_vccnz .LBB112_44
; %bb.1:
	s_clause 0x1
	s_load_b128 s[8:11], s[0:1], 0x10
	s_load_b128 s[16:19], s[0:1], 0x28
	s_ashr_i32 s2, s6, 31
	s_mul_hi_u32 s3, s6, s20
	s_mul_i32 s7, s2, s20
	s_mul_i32 s2, s6, s20
	s_add_i32 s3, s3, s7
	v_lshlrev_b32_e32 v1, 6, v0
	s_lshl_b64 s[2:3], s[2:3], 1
	s_mov_b32 s15, -1
	v_and_b32_e32 v51, 31, v0
	s_mov_b32 s27, s15
	s_waitcnt lgkmcnt(0)
	s_add_u32 s12, s10, s2
	s_addc_u32 s2, s11, s3
	s_add_i32 s3, s5, 1
	s_and_b32 s13, s2, 0xffff
	s_lshr_b32 s6, s3, 31
	s_mov_b32 s24, s16
	s_add_i32 s3, s3, s6
	s_and_b32 s25, s17, 0xffff
	s_lshl_b32 s3, s3, 1
	v_cmp_eq_u32_e64 s2, 31, v51
	s_and_b32 s14, s3, -4
	s_clause 0x3
	buffer_load_b128 v[22:25], v1, s[12:15], 0 offen
	buffer_load_b128 v[30:33], v1, s[12:15], 16 offen
	;; [unrolled: 1-line block ×4, first 2 shown]
	s_mov_b32 s26, s14
	s_waitcnt vmcnt(3)
	v_lshrrev_b32_e32 v17, 16, v22
	v_and_b32_e32 v18, 0xffff, v22
	v_lshrrev_b32_e32 v22, 16, v23
	v_lshrrev_b32_e32 v26, 16, v25
	s_waitcnt vmcnt(2)
	v_lshrrev_b32_e32 v28, 16, v30
	v_cvt_f32_u32_e32 v19, v17
	v_cvt_f32_u32_e32 v20, v18
	;; [unrolled: 1-line block ×5, first 2 shown]
	v_mul_f32_e32 v18, v19, v19
	s_clause 0x3
	buffer_load_b128 v[13:16], v1, s[24:27], 0 offen
	buffer_load_b128 v[9:12], v1, s[24:27], 16 offen
	;; [unrolled: 1-line block ×4, first 2 shown]
	v_and_b32_e32 v17, 0xffff, v23
	v_lshrrev_b32_e32 v34, 16, v33
	s_waitcnt vmcnt(5)
	v_lshrrev_b32_e32 v36, 16, v38
	v_fmac_f32_e32 v18, v20, v20
	v_lshrrev_b32_e32 v42, 16, v41
	v_cvt_f32_u32_e32 v21, v17
	v_and_b32_e32 v17, 0xffff, v24
	v_lshrrev_b32_e32 v24, 16, v24
	v_cvt_f32_u32_e32 v34, v34
	v_cvt_f32_u32_e32 v36, v36
	v_fmac_f32_e32 v18, v21, v21
	v_cvt_f32_u32_e32 v23, v17
	v_and_b32_e32 v17, 0xffff, v25
	v_cvt_f32_u32_e32 v24, v24
	s_waitcnt vmcnt(4)
	v_lshrrev_b32_e32 v44, 16, v46
	v_fmac_f32_e32 v18, v22, v22
	v_cvt_f32_u32_e32 v42, v42
	v_cvt_f32_u32_e32 v25, v17
	v_and_b32_e32 v17, 0xffff, v30
	v_lshrrev_b32_e32 v30, 16, v31
	v_fmac_f32_e32 v18, v23, v23
	v_cvt_f32_u32_e32 v44, v44
	v_lshrrev_b32_e32 v50, 16, v49
	v_cvt_f32_u32_e32 v27, v17
	s_delay_alu instid0(VALU_DEP_4) | instskip(SKIP_1) | instid1(VALU_DEP_4)
	v_dual_fmac_f32 v18, v24, v24 :: v_dual_and_b32 v17, 0xffff, v31
	v_cvt_f32_u32_e32 v30, v30
	v_cvt_f32_u32_e32 v50, v50
	s_delay_alu instid0(VALU_DEP_3) | instskip(NEXT) | instid1(VALU_DEP_4)
	v_cvt_f32_u32_e32 v29, v17
	v_dual_fmac_f32 v18, v25, v25 :: v_dual_and_b32 v17, 0xffff, v32
	v_lshrrev_b32_e32 v32, 16, v32
	s_delay_alu instid0(VALU_DEP_2) | instskip(NEXT) | instid1(VALU_DEP_3)
	v_fmac_f32_e32 v18, v26, v26
	v_cvt_f32_u32_e32 v31, v17
	v_and_b32_e32 v17, 0xffff, v33
	s_delay_alu instid0(VALU_DEP_4) | instskip(NEXT) | instid1(VALU_DEP_4)
	v_cvt_f32_u32_e32 v32, v32
	v_fmac_f32_e32 v18, v27, v27
	s_delay_alu instid0(VALU_DEP_3) | instskip(SKIP_2) | instid1(VALU_DEP_4)
	v_cvt_f32_u32_e32 v33, v17
	v_and_b32_e32 v17, 0xffff, v38
	v_lshrrev_b32_e32 v38, 16, v39
	v_fmac_f32_e32 v18, v28, v28
	s_delay_alu instid0(VALU_DEP_3) | instskip(NEXT) | instid1(VALU_DEP_2)
	v_cvt_f32_u32_e32 v35, v17
	v_dual_fmac_f32 v18, v29, v29 :: v_dual_and_b32 v17, 0xffff, v39
	s_delay_alu instid0(VALU_DEP_4) | instskip(NEXT) | instid1(VALU_DEP_2)
	v_cvt_f32_u32_e32 v38, v38
	v_cvt_f32_u32_e32 v37, v17
	s_delay_alu instid0(VALU_DEP_3) | instskip(SKIP_1) | instid1(VALU_DEP_2)
	v_dual_fmac_f32 v18, v30, v30 :: v_dual_and_b32 v17, 0xffff, v40
	v_lshrrev_b32_e32 v40, 16, v40
	v_cvt_f32_u32_e32 v39, v17
	s_delay_alu instid0(VALU_DEP_3) | instskip(NEXT) | instid1(VALU_DEP_3)
	v_dual_fmac_f32 v18, v31, v31 :: v_dual_and_b32 v17, 0xffff, v41
	v_cvt_f32_u32_e32 v40, v40
	s_delay_alu instid0(VALU_DEP_2) | instskip(NEXT) | instid1(VALU_DEP_3)
	v_cvt_f32_u32_e32 v41, v17
	v_dual_fmac_f32 v18, v32, v32 :: v_dual_and_b32 v17, 0xffff, v46
	v_lshrrev_b32_e32 v46, 16, v47
	s_delay_alu instid0(VALU_DEP_2) | instskip(NEXT) | instid1(VALU_DEP_3)
	v_cvt_f32_u32_e32 v43, v17
	v_dual_fmac_f32 v18, v33, v33 :: v_dual_and_b32 v17, 0xffff, v47
	s_delay_alu instid0(VALU_DEP_3) | instskip(NEXT) | instid1(VALU_DEP_2)
	v_cvt_f32_u32_e32 v46, v46
	v_cvt_f32_u32_e32 v45, v17
	s_delay_alu instid0(VALU_DEP_3) | instskip(SKIP_1) | instid1(VALU_DEP_2)
	v_dual_fmac_f32 v18, v34, v34 :: v_dual_and_b32 v17, 0xffff, v48
	v_lshrrev_b32_e32 v48, 16, v48
	v_cvt_f32_u32_e32 v47, v17
	s_delay_alu instid0(VALU_DEP_3) | instskip(NEXT) | instid1(VALU_DEP_3)
	v_dual_fmac_f32 v18, v35, v35 :: v_dual_and_b32 v17, 0xffff, v49
	v_cvt_f32_u32_e32 v48, v48
	s_delay_alu instid0(VALU_DEP_2) | instskip(NEXT) | instid1(VALU_DEP_3)
	v_cvt_f32_u32_e32 v49, v17
	v_fmac_f32_e32 v18, v36, v36
	s_delay_alu instid0(VALU_DEP_1) | instskip(NEXT) | instid1(VALU_DEP_1)
	v_fmac_f32_e32 v18, v37, v37
	v_fmac_f32_e32 v18, v38, v38
	s_delay_alu instid0(VALU_DEP_1) | instskip(NEXT) | instid1(VALU_DEP_1)
	v_fmac_f32_e32 v18, v39, v39
	;; [unrolled: 3-line block ×7, first 2 shown]
	v_fmac_f32_e32 v18, v50, v50
	s_delay_alu instid0(VALU_DEP_1) | instskip(NEXT) | instid1(VALU_DEP_1)
	v_mov_b32_dpp v17, v18 quad_perm:[1,0,3,2] row_mask:0xf bank_mask:0xf
	v_add_f32_e32 v17, v18, v17
	s_delay_alu instid0(VALU_DEP_1) | instskip(NEXT) | instid1(VALU_DEP_1)
	v_mov_b32_dpp v18, v17 quad_perm:[2,3,0,1] row_mask:0xf bank_mask:0xf
	v_add_f32_e32 v17, v17, v18
	s_delay_alu instid0(VALU_DEP_1) | instskip(NEXT) | instid1(VALU_DEP_1)
	v_mov_b32_dpp v18, v17 row_xmask:7 row_mask:0xf bank_mask:0xf
	v_add_f32_e32 v17, v17, v18
	s_delay_alu instid0(VALU_DEP_1)
	v_mov_b32_dpp v18, v17 row_xmask:15 row_mask:0xf bank_mask:0xf
	s_and_saveexec_b32 s3, s2
	s_cbranch_execz .LBB112_3
; %bb.2:
	s_delay_alu instid0(VALU_DEP_1) | instskip(SKIP_2) | instid1(VALU_DEP_2)
	v_add_f32_e32 v17, v17, v18
	s_mov_b32 s6, 0x76543210
	v_lshrrev_b32_e32 v18, 3, v0
	v_permlanex16_b32 v51, v17, s6, 0xfedcba98 op_sel:[1,1]
	s_delay_alu instid0(VALU_DEP_1)
	v_dual_add_f32 v17, v17, v51 :: v_dual_and_b32 v18, 0x7c, v18
	ds_store_b32 v18, v17 offset:32
.LBB112_3:
	s_or_b32 exec_lo, exec_lo, s3
	v_and_b32_e32 v17, 7, v0
	s_waitcnt vmcnt(0) lgkmcnt(0)
	s_barrier
	buffer_gl0_inv
	v_cvt_f32_i32_e32 v52, s5
	v_lshlrev_b32_e32 v18, 2, v17
	v_mov_b32_e32 v68, 0x2edbe6ff
	ds_load_b32 v17, v18 offset:32
	s_clause 0x1
	s_load_b64 s[6:7], s[0:1], 0x4c
	s_load_b32 s10, s[0:1], 0x54
	s_waitcnt lgkmcnt(0)
	v_mov_b32_dpp v51, v17 quad_perm:[1,0,3,2] row_mask:0xf bank_mask:0xf
	s_cmp_lg_u32 s7, 0
	s_delay_alu instid0(VALU_DEP_1) | instskip(NEXT) | instid1(VALU_DEP_1)
	v_add_f32_e32 v17, v17, v51
	v_mov_b32_dpp v51, v17 quad_perm:[2,3,0,1] row_mask:0xf bank_mask:0xf
	s_delay_alu instid0(VALU_DEP_1) | instskip(NEXT) | instid1(VALU_DEP_1)
	v_add_f32_e32 v17, v17, v51
	v_mov_b32_dpp v51, v17 row_xmask:7 row_mask:0xf bank_mask:0xf
	s_delay_alu instid0(VALU_DEP_1) | instskip(NEXT) | instid1(VALU_DEP_1)
	v_add_f32_e32 v17, v17, v51
	v_div_scale_f32 v51, null, v52, v52, v17
	v_div_scale_f32 v55, vcc_lo, v17, v52, v17
	s_delay_alu instid0(VALU_DEP_2) | instskip(SKIP_2) | instid1(VALU_DEP_1)
	v_rcp_f32_e32 v53, v51
	s_waitcnt_depctr 0xfff
	v_fma_f32 v54, -v51, v53, 1.0
	v_fmac_f32_e32 v53, v54, v53
	s_delay_alu instid0(VALU_DEP_1) | instskip(NEXT) | instid1(VALU_DEP_1)
	v_mul_f32_e32 v54, v55, v53
	v_fma_f32 v56, -v51, v54, v55
	s_delay_alu instid0(VALU_DEP_1) | instskip(NEXT) | instid1(VALU_DEP_1)
	v_fmac_f32_e32 v54, v56, v53
	v_fma_f32 v51, -v51, v54, v55
	s_delay_alu instid0(VALU_DEP_1) | instskip(SKIP_2) | instid1(VALU_DEP_3)
	v_div_fmas_f32 v51, v51, v53, v54
	v_and_b32_e32 v54, 0xffff, v14
	v_lshrrev_b32_e32 v14, 16, v14
	v_div_fixup_f32 v17, v51, v52, v17
	s_delay_alu instid0(VALU_DEP_3) | instskip(NEXT) | instid1(VALU_DEP_3)
	v_cvt_f32_u32_e32 v54, v54
	v_cvt_f32_u32_e32 v14, v14
	s_delay_alu instid0(VALU_DEP_3) | instskip(SKIP_1) | instid1(VALU_DEP_2)
	v_cvt_f64_f32_e32 v[51:52], v17
	v_lshlrev_b32_e32 v17, 5, v0
	v_add_f64 v[51:52], v[51:52], s[18:19]
	s_delay_alu instid0(VALU_DEP_1) | instskip(SKIP_2) | instid1(VALU_DEP_2)
	v_cvt_f32_f64_e32 v51, v[51:52]
	v_and_b32_e32 v52, 0xffff, v15
	v_lshrrev_b32_e32 v15, 16, v15
	v_cvt_f32_u32_e32 v52, v52
	s_delay_alu instid0(VALU_DEP_2) | instskip(SKIP_4) | instid1(VALU_DEP_4)
	v_cvt_f32_u32_e32 v15, v15
	v_mul_f32_e32 v69, 0x4b800000, v51
	v_cmp_gt_f32_e32 vcc_lo, 0x800000, v51
	v_and_b32_e32 v58, 0xffff, v11
	v_lshrrev_b32_e32 v11, 16, v11
	v_cndmask_b32_e32 v51, v51, v69, vcc_lo
	s_delay_alu instid0(VALU_DEP_3) | instskip(NEXT) | instid1(VALU_DEP_3)
	v_cvt_f32_u32_e32 v58, v58
	v_cvt_f32_u32_e32 v11, v11
	s_delay_alu instid0(VALU_DEP_3) | instskip(SKIP_4) | instid1(VALU_DEP_3)
	v_rsq_f32_e32 v51, v51
	s_waitcnt_depctr 0xfff
	v_mul_f32_e32 v69, 0x45800000, v51
	v_and_b32_e32 v62, 0xffff, v7
	v_lshrrev_b32_e32 v7, 16, v7
	v_cndmask_b32_e32 v51, v51, v69, vcc_lo
	v_and_b32_e32 v53, 0xffff, v13
	v_and_b32_e32 v56, 0xffff, v9
	;; [unrolled: 1-line block ×3, first 2 shown]
	v_lshrrev_b32_e32 v3, 16, v3
	v_dual_mul_f32 v74, v51, v34 :: v_dual_and_b32 v67, 0xffff, v4
	v_lshrrev_b32_e32 v4, 16, v4
	v_lshrrev_b32_e32 v13, 16, v13
	v_and_b32_e32 v55, 0xffff, v16
	v_lshrrev_b32_e32 v16, 16, v16
	v_and_b32_e32 v57, 0xffff, v10
	;; [unrolled: 2-line block ×5, first 2 shown]
	v_lshrrev_b32_e32 v8, 16, v8
	v_lshrrev_b32_e32 v9, 16, v9
	v_and_b32_e32 v60, 0xffff, v5
	v_and_b32_e32 v64, 0xffff, v1
	v_lshrrev_b32_e32 v1, 16, v1
	v_cvt_f32_u32_e32 v69, v3
	v_cvt_f32_u32_e32 v70, v4
	v_mul_f32_e32 v3, v51, v20
	v_cvt_f32_u32_e32 v56, v56
	v_mul_f32_e32 v4, v51, v19
	;; [unrolled: 2-line block ×3, first 2 shown]
	v_mul_f32_e32 v20, v51, v22
	v_mul_f32_e32 v21, v51, v23
	v_mul_f32_e32 v23, v51, v25
	v_mul_f32_e32 v25, v51, v27
	v_dual_mul_f32 v72, v51, v32 :: v_dual_and_b32 v65, 0xffff, v2
	v_lshrrev_b32_e32 v2, 16, v2
	v_cvt_f32_u32_e32 v13, v13
	v_cvt_f32_u32_e32 v55, v55
	;; [unrolled: 1-line block ×7, first 2 shown]
	v_mul_f32_e32 v22, v51, v24
	v_mul_f32_e32 v24, v51, v26
	v_cvt_f32_u32_e32 v59, v59
	v_mul_f32_e32 v26, v51, v28
	v_mul_f32_e32 v28, v51, v30
	;; [unrolled: 1-line block ×5, first 2 shown]
	v_lshrrev_b32_e32 v5, 16, v5
	v_cvt_f32_u32_e32 v9, v9
	v_cvt_f32_u32_e32 v1, v1
	v_mul_f32_e32 v75, v51, v35
	v_mul_f32_e32 v44, v51, v44
	v_dual_mul_f32 v50, v51, v50 :: v_dual_mul_f32 v25, v25, v56
	v_mul_f32_e32 v35, v3, v53
	v_cvt_f32_u32_e32 v57, v57
	v_cvt_f32_u32_e32 v2, v2
	v_dual_mul_f32 v27, v51, v29 :: v_dual_mul_f32 v32, v22, v15
	v_mul_f32_e32 v71, v51, v31
	v_mul_f32_e32 v76, v51, v36
	;; [unrolled: 1-line block ×3, first 2 shown]
	v_dual_mul_f32 v46, v51, v46 :: v_dual_mul_f32 v29, v24, v16
	v_cvt_f32_u32_e32 v60, v60
	v_cvt_f32_u32_e32 v61, v61
	;; [unrolled: 1-line block ×5, first 2 shown]
	v_mul_f32_e32 v37, v51, v37
	v_dual_mul_f32 v39, v51, v39 :: v_dual_mul_f32 v24, v74, v12
	v_dual_mul_f32 v34, v20, v14 :: v_dual_mul_f32 v31, v21, v52
	;; [unrolled: 1-line block ×3, first 2 shown]
	v_mul_f32_e32 v30, v23, v55
	v_mul_f32_e32 v22, v28, v10
	v_dual_mul_f32 v40, v51, v40 :: v_dual_mul_f32 v23, v73, v59
	v_mul_f32_e32 v41, v51, v41
	v_mul_f32_e32 v15, v38, v6
	v_dual_mul_f32 v33, v19, v54 :: v_dual_mul_f32 v10, v44, v1
	v_cvt_f32_u32_e32 v62, v62
	v_cvt_f32_u32_e32 v5, v5
	;; [unrolled: 1-line block ×3, first 2 shown]
	v_mul_f32_e32 v43, v51, v43
	v_cvt_f32_u32_e32 v67, v67
	v_dual_mul_f32 v49, v51, v49 :: v_dual_mul_f32 v4, v46, v2
	v_mul_f32_e32 v26, v26, v9
	v_dual_mul_f32 v6, v50, v70 :: v_dual_and_b32 v1, 0x7fffffff, v35
	v_dual_mul_f32 v21, v27, v57 :: v_dual_and_b32 v2, 0x7fffffff, v36
	;;#ASMSTART
	v_max3_f32 v1, v68, v1, v2

	;;#ASMEND
	v_cvt_f32_u32_e32 v66, v66
	v_mul_f32_e32 v28, v72, v11
	v_dual_mul_f32 v47, v51, v47 :: v_dual_mul_f32 v16, v37, v61
	v_dual_mul_f32 v19, v75, v60 :: v_dual_and_b32 v38, 0x7fffffff, v34
	v_mul_f32_e32 v14, v40, v7
	v_dual_mul_f32 v48, v51, v48 :: v_dual_mul_f32 v11, v41, v63
	v_mul_f32_e32 v27, v71, v58
	v_and_b32_e32 v37, 0x7fffffff, v33
	;;#ASMSTART
	v_max3_f32 v1, v1, v37, v38

	;;#ASMEND
	s_delay_alu instid0(VALU_DEP_3)
	v_dual_mul_f32 v8, v48, v69 :: v_dual_mul_f32 v13, v39, v62
	v_and_b32_e32 v40, 0x7fffffff, v32
	v_and_b32_e32 v39, 0x7fffffff, v31
	;;#ASMSTART
	v_max3_f32 v1, v1, v39, v40

	;;#ASMEND
	v_dual_mul_f32 v20, v76, v5 :: v_dual_mul_f32 v9, v43, v64
	v_and_b32_e32 v42, 0x7fffffff, v29
	v_mul_f32_e32 v3, v45, v65
	v_and_b32_e32 v41, 0x7fffffff, v30
	;;#ASMSTART
	v_max3_f32 v1, v1, v41, v42

	;;#ASMEND
	v_dual_mul_f32 v5, v49, v67 :: v_dual_and_b32 v44, 0x7fffffff, v26
	v_and_b32_e32 v43, 0x7fffffff, v25
	;;#ASMSTART
	v_max3_f32 v1, v1, v43, v44

	;;#ASMEND
	v_and_b32_e32 v45, 0x7fffffff, v21
	v_and_b32_e32 v46, 0x7fffffff, v22
	;;#ASMSTART
	v_max3_f32 v1, v1, v45, v46

	;;#ASMEND
	v_dual_mul_f32 v7, v47, v66 :: v_dual_and_b32 v48, 0x7fffffff, v28
	v_and_b32_e32 v47, 0x7fffffff, v27
	;;#ASMSTART
	v_max3_f32 v1, v1, v47, v48

	;;#ASMEND
	v_and_b32_e32 v49, 0x7fffffff, v23
	v_and_b32_e32 v50, 0x7fffffff, v24
	;;#ASMSTART
	v_max3_f32 v1, v1, v49, v50

	;;#ASMEND
	v_and_b32_e32 v51, 0x7fffffff, v19
	;; [unrolled: 6-line block ×8, first 2 shown]
	v_and_b32_e32 v64, 0x7fffffff, v8
	v_and_b32_e32 v65, 0x7fffffff, v5
	v_and_b32_e32 v66, 0x7fffffff, v6
	;;#ASMSTART
	v_max3_f32 v1, v1, v63, v64

	;;#ASMEND
	;;#ASMSTART
	v_max3_f32 v37, v1, v65, v66

	;;#ASMEND
	s_cbranch_scc0 .LBB112_10
; %bb.4:
	s_ashr_i32 s11, s7, 31
	s_delay_alu instid0(SALU_CYCLE_1) | instskip(NEXT) | instid1(SALU_CYCLE_1)
	s_lshr_b32 s3, s11, 27
	s_add_i32 s3, s7, s3
	s_delay_alu instid0(SALU_CYCLE_1) | instskip(NEXT) | instid1(SALU_CYCLE_1)
	s_ashr_i32 s3, s3, 5
	s_cmp_lt_i32 s3, 8
	s_cbranch_scc1 .LBB112_11
; %bb.5:
	s_cmp_lt_i32 s3, 16
	s_cbranch_scc1 .LBB112_12
; %bb.6:
	;; [unrolled: 3-line block ×3, first 2 shown]
	v_mov_b32_e32 v1, v37
	s_cmp_eq_u32 s3, 32
	s_cbranch_scc0 .LBB112_9
; %bb.8:
	s_delay_alu instid0(VALU_DEP_1) | instskip(SKIP_1) | instid1(VALU_DEP_1)
	v_mov_b32_dpp v1, v37 quad_perm:[1,0,3,2] row_mask:0xf bank_mask:0xf
	s_mov_b32 s12, 0x76543210
	v_cmp_gt_f32_e32 vcc_lo, v37, v1
	v_cndmask_b32_e32 v1, v1, v37, vcc_lo
	s_delay_alu instid0(VALU_DEP_1) | instskip(NEXT) | instid1(VALU_DEP_1)
	v_mov_b32_dpp v2, v1 quad_perm:[2,3,0,1] row_mask:0xf bank_mask:0xf
	v_cmp_gt_f32_e32 vcc_lo, v1, v2
	v_cndmask_b32_e32 v1, v2, v1, vcc_lo
	s_delay_alu instid0(VALU_DEP_1) | instskip(NEXT) | instid1(VALU_DEP_1)
	v_mov_b32_dpp v2, v1 row_xmask:7 row_mask:0xf bank_mask:0xf
	v_cmp_gt_f32_e32 vcc_lo, v1, v2
	v_cndmask_b32_e32 v1, v2, v1, vcc_lo
	s_delay_alu instid0(VALU_DEP_1) | instskip(NEXT) | instid1(VALU_DEP_1)
	v_mov_b32_dpp v2, v1 row_xmask:15 row_mask:0xf bank_mask:0xf
	v_cmp_gt_f32_e32 vcc_lo, v1, v2
	v_cndmask_b32_e32 v1, v2, v1, vcc_lo
	s_delay_alu instid0(VALU_DEP_1) | instskip(NEXT) | instid1(VALU_DEP_1)
	v_permlanex16_b32 v2, v1, s12, 0xfedcba98 op_sel:[1,1]
	v_cmp_gt_f32_e32 vcc_lo, v1, v2
	v_cndmask_b32_e32 v1, v2, v1, vcc_lo
.LBB112_9:
	s_mov_b32 s12, 0
	s_branch .LBB112_14
.LBB112_10:
	s_mov_b32 s3, 0
                                        ; implicit-def: $vgpr38
                                        ; implicit-def: $vgpr1_vgpr2
	s_and_b32 vcc_lo, exec_lo, s15
	s_cbranch_vccnz .LBB112_38
	s_branch .LBB112_41
.LBB112_11:
                                        ; implicit-def: $vgpr1
	s_branch .LBB112_21
.LBB112_12:
                                        ; implicit-def: $vgpr1
	s_branch .LBB112_18
.LBB112_13:
	s_mov_b32 s12, -1
                                        ; implicit-def: $vgpr1
.LBB112_14:
	s_delay_alu instid0(SALU_CYCLE_1)
	s_and_not1_b32 vcc_lo, exec_lo, s12
	s_cbranch_vccnz .LBB112_17
; %bb.15:
	v_mov_b32_e32 v1, v37
	s_cmp_eq_u32 s3, 16
	s_cbranch_scc0 .LBB112_17
; %bb.16:
	s_delay_alu instid0(VALU_DEP_1) | instskip(NEXT) | instid1(VALU_DEP_1)
	v_mov_b32_dpp v1, v37 quad_perm:[1,0,3,2] row_mask:0xf bank_mask:0xf
	v_cmp_gt_f32_e32 vcc_lo, v37, v1
	v_cndmask_b32_e32 v1, v1, v37, vcc_lo
	s_delay_alu instid0(VALU_DEP_1) | instskip(NEXT) | instid1(VALU_DEP_1)
	v_mov_b32_dpp v2, v1 quad_perm:[2,3,0,1] row_mask:0xf bank_mask:0xf
	v_cmp_gt_f32_e32 vcc_lo, v1, v2
	v_cndmask_b32_e32 v1, v2, v1, vcc_lo
	s_delay_alu instid0(VALU_DEP_1) | instskip(NEXT) | instid1(VALU_DEP_1)
	v_mov_b32_dpp v2, v1 row_half_mirror row_mask:0xf bank_mask:0xf
	v_cmp_gt_f32_e32 vcc_lo, v1, v2
	v_cndmask_b32_e32 v1, v2, v1, vcc_lo
	s_delay_alu instid0(VALU_DEP_1) | instskip(NEXT) | instid1(VALU_DEP_1)
	v_mov_b32_dpp v2, v1 row_mirror row_mask:0xf bank_mask:0xf
	v_cmp_gt_f32_e32 vcc_lo, v1, v2
	v_cndmask_b32_e32 v1, v2, v1, vcc_lo
.LBB112_17:
	s_cbranch_execnz .LBB112_20
.LBB112_18:
	v_mov_b32_e32 v1, v37
	s_cmp_eq_u32 s3, 8
	s_cbranch_scc0 .LBB112_20
; %bb.19:
	s_delay_alu instid0(VALU_DEP_1) | instskip(NEXT) | instid1(VALU_DEP_1)
	v_mov_b32_dpp v1, v37 quad_perm:[1,0,3,2] row_mask:0xf bank_mask:0xf
	v_cmp_gt_f32_e32 vcc_lo, v37, v1
	v_cndmask_b32_e32 v1, v1, v37, vcc_lo
	s_delay_alu instid0(VALU_DEP_1) | instskip(NEXT) | instid1(VALU_DEP_1)
	v_mov_b32_dpp v2, v1 quad_perm:[2,3,0,1] row_mask:0xf bank_mask:0xf
	v_cmp_gt_f32_e32 vcc_lo, v1, v2
	v_cndmask_b32_e32 v1, v2, v1, vcc_lo
	s_delay_alu instid0(VALU_DEP_1) | instskip(NEXT) | instid1(VALU_DEP_1)
	v_mov_b32_dpp v2, v1 row_half_mirror row_mask:0xf bank_mask:0xf
	v_cmp_gt_f32_e32 vcc_lo, v1, v2
	v_cndmask_b32_e32 v1, v2, v1, vcc_lo
.LBB112_20:
	s_cbranch_execnz .LBB112_28
.LBB112_21:
	s_cmp_lt_i32 s3, 4
	s_cbranch_scc1 .LBB112_24
; %bb.22:
	v_mov_b32_e32 v1, v37
	s_cmp_eq_u32 s3, 4
	s_cbranch_scc0 .LBB112_25
; %bb.23:
	s_delay_alu instid0(VALU_DEP_1) | instskip(NEXT) | instid1(VALU_DEP_1)
	v_mov_b32_dpp v1, v37 quad_perm:[1,0,3,2] row_mask:0xf bank_mask:0xf
	v_cmp_gt_f32_e32 vcc_lo, v37, v1
	v_cndmask_b32_e32 v1, v1, v37, vcc_lo
	s_delay_alu instid0(VALU_DEP_1) | instskip(NEXT) | instid1(VALU_DEP_1)
	v_mov_b32_dpp v2, v1 quad_perm:[2,3,0,1] row_mask:0xf bank_mask:0xf
	v_cmp_gt_f32_e32 vcc_lo, v1, v2
	v_cndmask_b32_e32 v1, v2, v1, vcc_lo
	s_cbranch_execz .LBB112_26
	s_branch .LBB112_28
.LBB112_24:
                                        ; implicit-def: $vgpr1
	s_branch .LBB112_26
.LBB112_25:
	s_cbranch_execnz .LBB112_28
.LBB112_26:
	v_mov_b32_e32 v1, v37
	s_cmp_lg_u32 s3, 2
	s_cbranch_scc1 .LBB112_28
; %bb.27:
	s_delay_alu instid0(VALU_DEP_1) | instskip(NEXT) | instid1(VALU_DEP_1)
	v_mov_b32_dpp v1, v37 quad_perm:[1,0,3,2] row_mask:0xf bank_mask:0xf
	v_cmp_gt_f32_e32 vcc_lo, v37, v1
	v_cndmask_b32_e32 v1, v1, v37, vcc_lo
.LBB112_28:
	v_cvt_f32_u32_e32 v2, s3
	s_sub_i32 s12, 0, s3
	s_mov_b32 s15, 0
	s_delay_alu instid0(VALU_DEP_1) | instskip(SKIP_2) | instid1(VALU_DEP_1)
	v_rcp_iflag_f32_e32 v2, v2
	s_waitcnt_depctr 0xfff
	v_mul_f32_e32 v2, 0x4f7ffffe, v2
	v_cvt_u32_f32_e32 v2, v2
	s_delay_alu instid0(VALU_DEP_1) | instskip(NEXT) | instid1(VALU_DEP_1)
	v_mul_lo_u32 v38, s12, v2
	v_mul_hi_u32 v38, v2, v38
	s_delay_alu instid0(VALU_DEP_1) | instskip(NEXT) | instid1(VALU_DEP_1)
	v_add_nc_u32_e32 v2, v2, v38
	v_mul_hi_u32 v2, v0, v2
	s_delay_alu instid0(VALU_DEP_1) | instskip(NEXT) | instid1(VALU_DEP_1)
	v_mul_lo_u32 v38, v2, s3
	v_sub_nc_u32_e32 v38, v0, v38
	s_delay_alu instid0(VALU_DEP_1) | instskip(SKIP_1) | instid1(VALU_DEP_2)
	v_subrev_nc_u32_e32 v40, s3, v38
	v_cmp_le_u32_e32 vcc_lo, s3, v38
	v_dual_cndmask_b32 v38, v38, v40 :: v_dual_add_nc_u32 v39, 1, v2
	s_delay_alu instid0(VALU_DEP_1) | instskip(NEXT) | instid1(VALU_DEP_2)
	v_cndmask_b32_e32 v2, v2, v39, vcc_lo
	v_cmp_le_u32_e32 vcc_lo, s3, v38
	s_delay_alu instid0(VALU_DEP_2) | instskip(NEXT) | instid1(VALU_DEP_1)
	v_dual_mul_f32 v38, 0x3c010204, v1 :: v_dual_add_nc_u32 v39, 1, v2
	v_cndmask_b32_e32 v39, v2, v39, vcc_lo
	v_cmp_gt_u32_e32 vcc_lo, s5, v17
	s_delay_alu instid0(VALU_DEP_2) | instskip(NEXT) | instid1(VALU_DEP_1)
	v_mul_lo_u32 v2, v39, s3
	v_sub_nc_u32_e32 v2, v0, v2
	s_delay_alu instid0(VALU_DEP_1) | instskip(NEXT) | instid1(VALU_DEP_1)
	v_cmp_eq_u32_e64 s3, 0, v2
                                        ; implicit-def: $vgpr1_vgpr2
	s_and_b32 s12, s3, vcc_lo
	s_mov_b32 s3, 0
	s_and_saveexec_b32 s13, s12
	s_delay_alu instid0(SALU_CYCLE_1)
	s_xor_b32 s14, exec_lo, s13
	s_cbranch_execz .LBB112_37
; %bb.29:
	s_bitcmp0_b32 s10, 0
	s_mov_b32 s16, 0
	s_cbranch_scc0 .LBB112_34
; %bb.30:
	s_ashr_i32 s3, s5, 31
	s_mul_hi_u32 s10, s5, s20
	s_mul_i32 s3, s3, s20
	s_mul_i32 s12, s5, s20
	s_add_i32 s13, s10, s3
	s_mov_b32 s10, s7
	s_delay_alu instid0(SALU_CYCLE_1) | instskip(NEXT) | instid1(SALU_CYCLE_1)
	s_or_b64 s[18:19], s[12:13], s[10:11]
	s_mov_b32 s17, s19
	s_delay_alu instid0(SALU_CYCLE_1)
	s_cmp_lg_u64 s[16:17], 0
	s_cbranch_scc0 .LBB112_45
; %bb.31:
	s_add_u32 s18, s10, s11
	s_mov_b32 s16, s11
	s_mov_b32 s17, s11
	s_addc_u32 s19, s11, s11
	s_delay_alu instid0(SALU_CYCLE_1) | instskip(NEXT) | instid1(SALU_CYCLE_1)
	s_xor_b64 s[18:19], s[18:19], s[16:17]
	v_cvt_f32_u32_e32 v1, s18
	v_cvt_f32_u32_e32 v2, s19
	s_sub_u32 s11, 0, s18
	s_subb_u32 s22, 0, s19
	s_delay_alu instid0(VALU_DEP_1) | instskip(NEXT) | instid1(VALU_DEP_1)
	v_fmamk_f32 v1, v2, 0x4f800000, v1
	v_rcp_f32_e32 v1, v1
	s_waitcnt_depctr 0xfff
	v_mul_f32_e32 v1, 0x5f7ffffc, v1
	s_delay_alu instid0(VALU_DEP_1) | instskip(NEXT) | instid1(VALU_DEP_1)
	v_mul_f32_e32 v2, 0x2f800000, v1
	v_trunc_f32_e32 v2, v2
	s_delay_alu instid0(VALU_DEP_1) | instskip(SKIP_1) | instid1(VALU_DEP_2)
	v_fmamk_f32 v1, v2, 0xcf800000, v1
	v_cvt_u32_f32_e32 v2, v2
	v_cvt_u32_f32_e32 v1, v1
	s_delay_alu instid0(VALU_DEP_2) | instskip(NEXT) | instid1(VALU_DEP_2)
	v_readfirstlane_b32 s3, v2
	v_readfirstlane_b32 s7, v1
	s_delay_alu instid0(VALU_DEP_2) | instskip(NEXT) | instid1(VALU_DEP_1)
	s_mul_i32 s23, s11, s3
	s_mul_hi_u32 s25, s11, s7
	s_mul_i32 s24, s22, s7
	s_add_i32 s23, s25, s23
	s_mul_i32 s26, s11, s7
	s_add_i32 s23, s23, s24
	s_mul_hi_u32 s25, s7, s26
	s_mul_hi_u32 s27, s3, s26
	s_mul_i32 s24, s3, s26
	s_mul_hi_u32 s26, s7, s23
	s_mul_i32 s7, s7, s23
	s_mul_hi_u32 s28, s3, s23
	s_add_u32 s7, s25, s7
	s_addc_u32 s25, 0, s26
	s_add_u32 s7, s7, s24
	s_mul_i32 s23, s3, s23
	s_addc_u32 s7, s25, s27
	s_addc_u32 s24, s28, 0
	s_add_u32 s7, s7, s23
	s_addc_u32 s23, 0, s24
	v_add_co_u32 v1, s7, v1, s7
	s_delay_alu instid0(VALU_DEP_1) | instskip(SKIP_1) | instid1(VALU_DEP_1)
	s_cmp_lg_u32 s7, 0
	s_addc_u32 s3, s3, s23
	v_readfirstlane_b32 s7, v1
	s_mul_i32 s23, s11, s3
	s_delay_alu instid0(VALU_DEP_1)
	s_mul_hi_u32 s24, s11, s7
	s_mul_i32 s22, s22, s7
	s_add_i32 s23, s24, s23
	s_mul_i32 s11, s11, s7
	s_add_i32 s23, s23, s22
	s_mul_hi_u32 s24, s3, s11
	s_mul_i32 s25, s3, s11
	s_mul_hi_u32 s11, s7, s11
	s_mul_hi_u32 s26, s7, s23
	s_mul_i32 s7, s7, s23
	s_mul_hi_u32 s22, s3, s23
	s_add_u32 s7, s11, s7
	s_addc_u32 s11, 0, s26
	s_add_u32 s7, s7, s25
	s_mul_i32 s23, s3, s23
	s_addc_u32 s7, s11, s24
	s_addc_u32 s11, s22, 0
	s_add_u32 s7, s7, s23
	s_addc_u32 s11, 0, s11
	v_add_co_u32 v1, s7, v1, s7
	s_delay_alu instid0(VALU_DEP_1) | instskip(SKIP_2) | instid1(VALU_DEP_1)
	s_cmp_lg_u32 s7, 0
	s_addc_u32 s3, s3, s11
	s_ashr_i32 s22, s13, 31
	v_readfirstlane_b32 s7, v1
	s_add_u32 s24, s12, s22
	s_mov_b32 s23, s22
	s_addc_u32 s25, s13, s22
	s_delay_alu instid0(SALU_CYCLE_1) | instskip(NEXT) | instid1(SALU_CYCLE_1)
	s_xor_b64 s[24:25], s[24:25], s[22:23]
	s_mul_i32 s13, s24, s3
	s_mul_hi_u32 s26, s24, s7
	s_mul_hi_u32 s11, s24, s3
	;; [unrolled: 1-line block ×3, first 2 shown]
	s_mul_i32 s7, s25, s7
	s_add_u32 s13, s26, s13
	s_addc_u32 s11, 0, s11
	s_mul_hi_u32 s27, s25, s3
	s_add_u32 s7, s13, s7
	s_mul_i32 s3, s25, s3
	s_addc_u32 s7, s11, s28
	s_addc_u32 s11, s27, 0
	s_add_u32 s7, s7, s3
	s_addc_u32 s11, 0, s11
	s_mul_i32 s27, s18, s7
	s_mul_hi_u32 s3, s18, s7
	s_mul_i32 s26, s18, s11
	v_sub_co_u32 v1, s24, s24, s27
	s_mul_i32 s13, s19, s7
	s_add_i32 s3, s3, s26
	s_delay_alu instid0(SALU_CYCLE_1) | instskip(NEXT) | instid1(VALU_DEP_1)
	s_add_i32 s3, s3, s13
	v_sub_co_u32 v2, s26, v1, s18
	s_sub_i32 s13, s25, s3
	s_cmp_lg_u32 s24, 0
	s_subb_u32 s13, s13, s19
	s_cmp_lg_u32 s26, 0
	v_cmp_le_u32_e32 vcc_lo, s18, v2
	s_subb_u32 s13, s13, 0
	s_delay_alu instid0(SALU_CYCLE_1)
	s_cmp_ge_u32 s13, s19
	v_cndmask_b32_e64 v2, 0, -1, vcc_lo
	s_cselect_b32 s26, -1, 0
	s_cmp_eq_u32 s13, s19
	s_cselect_b32 vcc_lo, -1, 0
	s_add_u32 s13, s7, 1
	v_cndmask_b32_e32 v2, s26, v2, vcc_lo
	s_addc_u32 s26, s11, 0
	s_add_u32 s27, s7, 2
	s_addc_u32 s28, s11, 0
	s_cmp_lg_u32 s24, 0
	v_cmp_le_u32_e32 vcc_lo, s18, v1
	s_subb_u32 s3, s25, s3
	v_mov_b32_e32 v40, s27
	s_cmp_ge_u32 s3, s19
	v_cndmask_b32_e64 v1, 0, -1, vcc_lo
	s_cselect_b32 s18, -1, 0
	s_cmp_eq_u32 s3, s19
	v_cmp_ne_u32_e32 vcc_lo, 0, v2
	v_mov_b32_e32 v2, s28
	s_cselect_b32 s3, -1, 0
	s_xor_b64 s[16:17], s[22:23], s[16:17]
	v_cndmask_b32_e64 v1, s18, v1, s3
	v_cndmask_b32_e32 v40, s13, v40, vcc_lo
	v_cndmask_b32_e32 v2, s26, v2, vcc_lo
	s_delay_alu instid0(VALU_DEP_3) | instskip(NEXT) | instid1(VALU_DEP_2)
	v_cmp_ne_u32_e32 vcc_lo, 0, v1
	v_cndmask_b32_e32 v1, s11, v2, vcc_lo
	s_delay_alu instid0(VALU_DEP_4) | instskip(NEXT) | instid1(VALU_DEP_2)
	v_cndmask_b32_e32 v2, s7, v40, vcc_lo
	v_xor_b32_e32 v40, s17, v1
	s_delay_alu instid0(VALU_DEP_2) | instskip(NEXT) | instid1(VALU_DEP_1)
	v_xor_b32_e32 v2, s16, v2
	v_sub_co_u32 v1, vcc_lo, v2, s16
	s_delay_alu instid0(VALU_DEP_3)
	v_subrev_co_ci_u32_e32 v2, vcc_lo, s17, v40, vcc_lo
	s_cbranch_execnz .LBB112_33
.LBB112_32:
	v_cvt_f32_u32_e32 v1, s10
	s_sub_i32 s7, 0, s10
	s_delay_alu instid0(VALU_DEP_1) | instskip(SKIP_2) | instid1(VALU_DEP_1)
	v_rcp_iflag_f32_e32 v1, v1
	s_waitcnt_depctr 0xfff
	v_mul_f32_e32 v1, 0x4f7ffffe, v1
	v_cvt_u32_f32_e32 v1, v1
	s_delay_alu instid0(VALU_DEP_1) | instskip(NEXT) | instid1(VALU_DEP_1)
	v_readfirstlane_b32 s3, v1
	s_mul_i32 s7, s7, s3
	s_delay_alu instid0(SALU_CYCLE_1) | instskip(NEXT) | instid1(SALU_CYCLE_1)
	s_mul_hi_u32 s7, s3, s7
	s_add_i32 s3, s3, s7
	s_delay_alu instid0(SALU_CYCLE_1) | instskip(NEXT) | instid1(SALU_CYCLE_1)
	s_mul_hi_u32 s3, s12, s3
	s_mul_i32 s7, s3, s10
	s_add_i32 s11, s3, 1
	s_sub_i32 s7, s12, s7
	s_delay_alu instid0(SALU_CYCLE_1)
	s_sub_i32 s12, s7, s10
	s_cmp_ge_u32 s7, s10
	s_cselect_b32 s3, s11, s3
	s_cselect_b32 s7, s12, s7
	s_add_i32 s12, s3, 1
	s_cmp_ge_u32 s7, s10
	s_mov_b32 s11, 0
	s_cselect_b32 s10, s12, s3
	s_delay_alu instid0(SALU_CYCLE_1)
	v_dual_mov_b32 v1, s10 :: v_dual_mov_b32 v2, s11
.LBB112_33:
	s_delay_alu instid0(VALU_DEP_1) | instskip(NEXT) | instid1(VALU_DEP_2)
	v_add_co_u32 v1, vcc_lo, v1, v39
	v_add_co_ci_u32_e32 v2, vcc_lo, 0, v2, vcc_lo
	s_branch .LBB112_36
.LBB112_34:
                                        ; implicit-def: $vgpr1_vgpr2
	s_cbranch_execz .LBB112_36
; %bb.35:
	v_mul_lo_u32 v1, v39, s4
	s_delay_alu instid0(VALU_DEP_1) | instskip(SKIP_1) | instid1(VALU_DEP_2)
	v_ashrrev_i32_e32 v2, 31, v1
	v_add_co_u32 v1, vcc_lo, v1, s20
	v_add_co_ci_u32_e32 v2, vcc_lo, 0, v2, vcc_lo
.LBB112_36:
	s_mov_b32 s3, exec_lo
.LBB112_37:
	s_or_b32 exec_lo, exec_lo, s14
	s_delay_alu instid0(SALU_CYCLE_1)
	s_and_b32 vcc_lo, exec_lo, s15
	s_cbranch_vccz .LBB112_41
.LBB112_38:
	v_mov_b32_dpp v1, v37 quad_perm:[1,0,3,2] row_mask:0xf bank_mask:0xf
	s_delay_alu instid0(VALU_DEP_1) | instskip(SKIP_1) | instid1(VALU_DEP_1)
	v_cmp_gt_f32_e32 vcc_lo, v37, v1
	v_cndmask_b32_e32 v1, v1, v37, vcc_lo
	v_mov_b32_dpp v2, v1 quad_perm:[2,3,0,1] row_mask:0xf bank_mask:0xf
	s_delay_alu instid0(VALU_DEP_1) | instskip(SKIP_1) | instid1(VALU_DEP_1)
	v_cmp_gt_f32_e32 vcc_lo, v1, v2
	v_cndmask_b32_e32 v1, v2, v1, vcc_lo
	v_mov_b32_dpp v2, v1 row_xmask:7 row_mask:0xf bank_mask:0xf
	s_delay_alu instid0(VALU_DEP_1) | instskip(SKIP_1) | instid1(VALU_DEP_1)
	v_cmp_gt_f32_e32 vcc_lo, v1, v2
	v_cndmask_b32_e32 v1, v2, v1, vcc_lo
	v_mov_b32_dpp v2, v1 row_xmask:15 row_mask:0xf bank_mask:0xf
	s_delay_alu instid0(VALU_DEP_1)
	v_cmp_gt_f32_e32 vcc_lo, v1, v2
	s_and_saveexec_b32 s3, s2
	s_cbranch_execz .LBB112_40
; %bb.39:
	v_cndmask_b32_e32 v1, v2, v1, vcc_lo
	v_lshrrev_b32_e32 v2, 3, v0
	s_mov_b32 s2, 0x76543210
	s_delay_alu instid0(VALU_DEP_1) | instskip(NEXT) | instid1(VALU_DEP_3)
	v_and_b32_e32 v2, 0x7c, v2
	v_permlanex16_b32 v37, v1, s2, 0xfedcba98 op_sel:[1,1]
	s_delay_alu instid0(VALU_DEP_1)
	v_cmp_gt_f32_e32 vcc_lo, v1, v37
	v_cndmask_b32_e32 v1, v37, v1, vcc_lo
	ds_store_b32 v2, v1
.LBB112_40:
	s_or_b32 exec_lo, exec_lo, s3
	s_waitcnt lgkmcnt(0)
	s_barrier
	buffer_gl0_inv
	ds_load_b32 v1, v18
	v_cmp_eq_u32_e64 s3, 0, v0
	s_waitcnt lgkmcnt(0)
	v_mov_b32_dpp v2, v1 quad_perm:[1,0,3,2] row_mask:0xf bank_mask:0xf
	s_delay_alu instid0(VALU_DEP_1) | instskip(SKIP_1) | instid1(VALU_DEP_1)
	v_cmp_gt_f32_e32 vcc_lo, v1, v2
	v_cndmask_b32_e32 v1, v2, v1, vcc_lo
	v_mov_b32_dpp v2, v1 quad_perm:[2,3,0,1] row_mask:0xf bank_mask:0xf
	s_delay_alu instid0(VALU_DEP_1) | instskip(SKIP_1) | instid1(VALU_DEP_1)
	v_cmp_gt_f32_e32 vcc_lo, v1, v2
	v_cndmask_b32_e32 v1, v2, v1, vcc_lo
	v_mov_b32_dpp v2, v1 row_xmask:7 row_mask:0xf bank_mask:0xf
	s_delay_alu instid0(VALU_DEP_1) | instskip(SKIP_1) | instid1(VALU_DEP_1)
	v_cmp_gt_f32_e32 vcc_lo, v1, v2
	v_cndmask_b32_e32 v1, v2, v1, vcc_lo
	v_dual_mul_f32 v38, 0x3c010204, v1 :: v_dual_mov_b32 v1, s20
	v_mov_b32_e32 v2, s21
.LBB112_41:
	s_and_saveexec_b32 s2, s3
	s_cbranch_execz .LBB112_43
; %bb.42:
	s_delay_alu instid0(VALU_DEP_1) | instskip(NEXT) | instid1(VALU_DEP_1)
	v_lshlrev_b64 v[0:1], 2, v[1:2]
	v_add_co_u32 v0, vcc_lo, s8, v0
	s_delay_alu instid0(VALU_DEP_2)
	v_add_co_ci_u32_e32 v1, vcc_lo, s9, v1, vcc_lo
	global_store_b32 v[0:1], v38, off
.LBB112_43:
	s_or_b32 exec_lo, exec_lo, s2
	;;#ASMSTART
	v_rcp_f32 v0, v38
	;;#ASMEND
	v_mul_f32_e32 v5, v0, v5
	v_mul_f32_e32 v9, v0, v9
	;; [unrolled: 1-line block ×5, first 2 shown]
	v_cvt_i32_f32_e32 v5, v5
	v_mul_f32_e32 v10, v0, v10
	v_cvt_i32_f32_e32 v9, v9
	v_cvt_i32_f32_e32 v6, v6
	v_cvt_i32_f32_e32 v11, v11
	v_and_b32_e32 v5, 0xff, v5
	v_cvt_i32_f32_e32 v10, v10
	v_mul_f32_e32 v21, v0, v21
	v_dual_mul_f32 v8, v0, v8 :: v_dual_and_b32 v9, 0xff, v9
	v_lshlrev_b16 v6, 8, v6
	s_delay_alu instid0(VALU_DEP_4)
	v_lshlrev_b16 v10, 8, v10
	v_mul_f32_e32 v31, v0, v31
	v_cvt_i32_f32_e32 v27, v27
	v_mul_f32_e32 v2, v0, v36
	v_or_b32_e32 v5, v5, v6
	v_or_b32_e32 v6, v9, v10
	v_and_b32_e32 v10, 0xff, v11
	v_and_b32_e32 v27, 0xff, v27
	v_cvt_i32_f32_e32 v21, v21
	v_mul_f32_e32 v28, v0, v28
	v_cvt_i32_f32_e32 v31, v31
	v_dual_mul_f32 v25, v0, v25 :: v_dual_and_b32 v6, 0xffff, v6
	s_delay_alu instid0(VALU_DEP_4) | instskip(NEXT) | instid1(VALU_DEP_4)
	v_and_b32_e32 v21, 0xff, v21
	v_cvt_i32_f32_e32 v28, v28
	s_delay_alu instid0(VALU_DEP_4) | instskip(SKIP_2) | instid1(VALU_DEP_4)
	v_dual_mul_f32 v26, v0, v26 :: v_dual_and_b32 v31, 0xff, v31
	v_mul_f32_e32 v24, v0, v24
	v_mul_f32_e32 v23, v0, v23
	v_lshlrev_b16 v28, 8, v28
	v_cvt_i32_f32_e32 v25, v25
	v_cvt_i32_f32_e32 v26, v26
	;; [unrolled: 1-line block ×4, first 2 shown]
	v_or_b32_e32 v27, v27, v28
	v_mul_f32_e32 v18, v0, v33
	v_mul_f32_e32 v32, v0, v32
	v_dual_mul_f32 v30, v0, v30 :: v_dual_and_b32 v25, 0xff, v25
	s_delay_alu instid0(VALU_DEP_4) | instskip(NEXT) | instid1(VALU_DEP_4)
	v_dual_mul_f32 v22, v0, v22 :: v_dual_and_b32 v27, 0xffff, v27
	v_cvt_i32_f32_e32 v18, v18
	v_mul_f32_e32 v29, v0, v29
	v_lshlrev_b16 v24, 8, v24
	v_and_b32_e32 v23, 0xff, v23
	v_lshlrev_b16 v26, 8, v26
	v_and_b32_e32 v18, 0xff, v18
	v_cvt_i32_f32_e32 v32, v32
	v_cvt_i32_f32_e32 v30, v30
	v_mul_f32_e32 v1, v0, v35
	v_cvt_i32_f32_e32 v29, v29
	v_cvt_i32_f32_e32 v22, v22
	v_or_b32_e32 v23, v23, v24
	v_and_b32_e32 v30, 0xff, v30
	v_or_b32_e32 v24, v25, v26
	v_mul_f32_e32 v33, v0, v34
	v_cvt_i32_f32_e32 v1, v1
	v_cvt_i32_f32_e32 v2, v2
	v_lshlrev_b16 v22, 8, v22
	v_and_b32_e32 v24, 0xffff, v24
	v_cvt_i32_f32_e32 v33, v33
	v_lshlrev_b16 v28, 8, v32
	v_lshlrev_b16 v29, 8, v29
	v_or_b32_e32 v21, v21, v22
	v_lshlrev_b16 v2, 8, v2
	v_dual_mul_f32 v16, v0, v16 :: v_dual_and_b32 v1, 0xff, v1
	v_or_b32_e32 v22, v31, v28
	v_or_b32_e32 v25, v30, v29
	v_lshlrev_b16 v28, 8, v33
	v_mul_f32_e32 v7, v0, v7
	v_or_b32_e32 v1, v1, v2
	v_cvt_i32_f32_e32 v16, v16
	v_lshlrev_b32_e32 v25, 16, v25
	v_or_b32_e32 v2, v18, v28
	v_mul_f32_e32 v18, v0, v19
	v_mul_f32_e32 v13, v0, v13
	v_cvt_i32_f32_e32 v8, v8
	v_cvt_i32_f32_e32 v7, v7
	v_dual_mul_f32 v12, v0, v12 :: v_dual_and_b32 v1, 0xffff, v1
	v_mul_f32_e32 v14, v0, v14
	v_cvt_i32_f32_e32 v18, v18
	v_mul_f32_e32 v15, v0, v15
	v_cvt_i32_f32_e32 v13, v13
	v_mul_f32_e32 v19, v0, v20
	v_lshlrev_b16 v8, 8, v8
	v_and_b32_e32 v7, 0xff, v7
	v_cvt_i32_f32_e32 v12, v12
	v_dual_mul_f32 v4, v0, v4 :: v_dual_lshlrev_b32 v5, 16, v5
	v_mul_f32_e32 v0, v0, v3
	s_load_b64 s[0:1], s[0:1], 0x0
	v_cvt_i32_f32_e32 v14, v14
	v_or_b32_e32 v3, v7, v8
	v_cvt_i32_f32_e32 v4, v4
	v_cvt_i32_f32_e32 v0, v0
	v_and_b32_e32 v8, 0xff, v13
	v_cvt_i32_f32_e32 v19, v19
	v_lshlrev_b16 v9, 8, v12
	v_and_b32_e32 v12, 0xff, v18
	v_cvt_i32_f32_e32 v15, v15
	v_lshlrev_b16 v4, 8, v4
	v_and_b32_e32 v0, 0xff, v0
	v_lshlrev_b16 v7, 8, v14
	v_lshlrev_b16 v11, 8, v19
	;; [unrolled: 1-line block ×3, first 2 shown]
	v_and_b32_e32 v14, 0xff, v16
	v_or_b32_e32 v0, v0, v4
	v_or_b32_e32 v4, v8, v7
	v_or_b32_e32 v7, v10, v9
	v_or_b32_e32 v8, v12, v11
	v_or_b32_e32 v9, v14, v13
	s_add_i32 s2, s5, 3
	s_ashr_i32 s3, s6, 31
	s_mul_hi_u32 s4, s6, s20
	s_mul_i32 s5, s6, s20
	v_lshlrev_b32_e32 v9, 16, v9
	s_ashr_i32 s6, s2, 31
	v_lshlrev_b32_e32 v23, 16, v23
	s_lshr_b32 s6, s6, 30
	v_lshlrev_b32_e32 v21, 16, v21
	v_and_b32_e32 v26, 0xffff, v22
	v_lshlrev_b32_e32 v2, 16, v2
	v_and_b32_e32 v3, 0xffff, v3
	;; [unrolled: 2-line block ×4, first 2 shown]
	s_mul_i32 s3, s3, s20
	s_add_i32 s2, s2, s6
	s_add_i32 s4, s4, s3
	s_and_b32 s2, s2, -4
	s_waitcnt lgkmcnt(0)
	s_add_u32 s0, s0, s5
	v_or_b32_e32 v23, v27, v23
	v_or_b32_e32 v22, v24, v21
	;; [unrolled: 1-line block ×8, first 2 shown]
	s_addc_u32 s1, s1, s4
	s_mov_b32 s3, -1
	s_and_b32 s1, s1, 0xffff
	buffer_store_b128 v[20:23], v17, s[0:3], 0 offen
	;;#ASMSTART
	s_nop 0
	;;#ASMEND
	buffer_store_b128 v[0:3], v17, s[0:3], 16 offen
	;;#ASMSTART
	s_nop 0
	;;#ASMEND
.LBB112_44:
	s_nop 0
	s_sendmsg sendmsg(MSG_DEALLOC_VGPRS)
	s_endpgm
.LBB112_45:
                                        ; implicit-def: $vgpr1_vgpr2
	s_branch .LBB112_32
	.section	.rodata,"a",@progbits
	.p2align	6, 0x0
	.amdhsa_kernel _ZN5aiter24add_rmsnorm_quant_kernelItaLi256ELi32ELb0ELb1ELb0ELi1EEEvPT0_PT_PfS4_S4_S4_diiiiiiib
		.amdhsa_group_segment_fixed_size 64
		.amdhsa_private_segment_fixed_size 0
		.amdhsa_kernarg_size 88
		.amdhsa_user_sgpr_count 15
		.amdhsa_user_sgpr_dispatch_ptr 0
		.amdhsa_user_sgpr_queue_ptr 0
		.amdhsa_user_sgpr_kernarg_segment_ptr 1
		.amdhsa_user_sgpr_dispatch_id 0
		.amdhsa_user_sgpr_private_segment_size 0
		.amdhsa_wavefront_size32 1
		.amdhsa_uses_dynamic_stack 0
		.amdhsa_enable_private_segment 0
		.amdhsa_system_sgpr_workgroup_id_x 1
		.amdhsa_system_sgpr_workgroup_id_y 0
		.amdhsa_system_sgpr_workgroup_id_z 0
		.amdhsa_system_sgpr_workgroup_info 0
		.amdhsa_system_vgpr_workitem_id 0
		.amdhsa_next_free_vgpr 77
		.amdhsa_next_free_sgpr 29
		.amdhsa_reserve_vcc 1
		.amdhsa_float_round_mode_32 0
		.amdhsa_float_round_mode_16_64 0
		.amdhsa_float_denorm_mode_32 3
		.amdhsa_float_denorm_mode_16_64 3
		.amdhsa_dx10_clamp 1
		.amdhsa_ieee_mode 1
		.amdhsa_fp16_overflow 0
		.amdhsa_workgroup_processor_mode 1
		.amdhsa_memory_ordered 1
		.amdhsa_forward_progress 0
		.amdhsa_shared_vgpr_count 0
		.amdhsa_exception_fp_ieee_invalid_op 0
		.amdhsa_exception_fp_denorm_src 0
		.amdhsa_exception_fp_ieee_div_zero 0
		.amdhsa_exception_fp_ieee_overflow 0
		.amdhsa_exception_fp_ieee_underflow 0
		.amdhsa_exception_fp_ieee_inexact 0
		.amdhsa_exception_int_div_zero 0
	.end_amdhsa_kernel
	.section	.text._ZN5aiter24add_rmsnorm_quant_kernelItaLi256ELi32ELb0ELb1ELb0ELi1EEEvPT0_PT_PfS4_S4_S4_diiiiiiib,"axG",@progbits,_ZN5aiter24add_rmsnorm_quant_kernelItaLi256ELi32ELb0ELb1ELb0ELi1EEEvPT0_PT_PfS4_S4_S4_diiiiiiib,comdat
.Lfunc_end112:
	.size	_ZN5aiter24add_rmsnorm_quant_kernelItaLi256ELi32ELb0ELb1ELb0ELi1EEEvPT0_PT_PfS4_S4_S4_diiiiiiib, .Lfunc_end112-_ZN5aiter24add_rmsnorm_quant_kernelItaLi256ELi32ELb0ELb1ELb0ELi1EEEvPT0_PT_PfS4_S4_S4_diiiiiiib
                                        ; -- End function
	.section	.AMDGPU.csdata,"",@progbits
; Kernel info:
; codeLenInByte = 5172
; NumSgprs: 31
; NumVgprs: 77
; ScratchSize: 0
; MemoryBound: 0
; FloatMode: 240
; IeeeMode: 1
; LDSByteSize: 64 bytes/workgroup (compile time only)
; SGPRBlocks: 3
; VGPRBlocks: 9
; NumSGPRsForWavesPerEU: 31
; NumVGPRsForWavesPerEU: 77
; Occupancy: 16
; WaveLimiterHint : 0
; COMPUTE_PGM_RSRC2:SCRATCH_EN: 0
; COMPUTE_PGM_RSRC2:USER_SGPR: 15
; COMPUTE_PGM_RSRC2:TRAP_HANDLER: 0
; COMPUTE_PGM_RSRC2:TGID_X_EN: 1
; COMPUTE_PGM_RSRC2:TGID_Y_EN: 0
; COMPUTE_PGM_RSRC2:TGID_Z_EN: 0
; COMPUTE_PGM_RSRC2:TIDIG_COMP_CNT: 0
	.section	.text._ZN5aiter24add_rmsnorm_quant_kernelIDF16_DF16_Li64ELi8ELb1ELb0ELb1ELi1EEEvPT0_PT_PfS4_S4_S4_diiiiiiib,"axG",@progbits,_ZN5aiter24add_rmsnorm_quant_kernelIDF16_DF16_Li64ELi8ELb1ELb0ELb1ELi1EEEvPT0_PT_PfS4_S4_S4_diiiiiiib,comdat
	.protected	_ZN5aiter24add_rmsnorm_quant_kernelIDF16_DF16_Li64ELi8ELb1ELb0ELb1ELi1EEEvPT0_PT_PfS4_S4_S4_diiiiiiib ; -- Begin function _ZN5aiter24add_rmsnorm_quant_kernelIDF16_DF16_Li64ELi8ELb1ELb0ELb1ELi1EEEvPT0_PT_PfS4_S4_S4_diiiiiiib
	.globl	_ZN5aiter24add_rmsnorm_quant_kernelIDF16_DF16_Li64ELi8ELb1ELb0ELb1ELi1EEEvPT0_PT_PfS4_S4_S4_diiiiiiib
	.p2align	8
	.type	_ZN5aiter24add_rmsnorm_quant_kernelIDF16_DF16_Li64ELi8ELb1ELb0ELb1ELi1EEEvPT0_PT_PfS4_S4_S4_diiiiiiib,@function
_ZN5aiter24add_rmsnorm_quant_kernelIDF16_DF16_Li64ELi8ELb1ELb0ELb1ELi1EEEvPT0_PT_PfS4_S4_S4_diiiiiiib: ; @_ZN5aiter24add_rmsnorm_quant_kernelIDF16_DF16_Li64ELi8ELb1ELb0ELb1ELi1EEEvPT0_PT_PfS4_S4_S4_diiiiiiib
; %bb.0:
	s_load_b128 s[16:19], s[0:1], 0x38
	s_mov_b32 s20, s15
	s_mov_b32 s21, 0
	s_waitcnt lgkmcnt(0)
	s_ashr_i32 s3, s16, 31
	s_mov_b32 s2, s16
	s_delay_alu instid0(SALU_CYCLE_1) | instskip(NEXT) | instid1(VALU_DEP_1)
	v_cmp_ge_i64_e64 s2, s[20:21], s[2:3]
	s_and_b32 vcc_lo, exec_lo, s2
	s_cbranch_vccnz .LBB113_4
; %bb.1:
	s_load_b256 s[4:11], s[0:1], 0x18
	s_ashr_i32 s3, s18, 31
	s_mul_hi_u32 s12, s18, s20
	s_mul_i32 s3, s3, s20
	s_mul_i32 s2, s18, s20
	s_add_i32 s3, s12, s3
	s_mul_hi_u32 s14, s19, s20
	s_lshl_b64 s[2:3], s[2:3], 1
	v_lshlrev_b32_e32 v5, 4, v0
	s_mul_i32 s18, s19, s20
	s_mov_b32 s15, -1
	v_and_b32_e32 v20, 31, v0
	s_waitcnt lgkmcnt(0)
	s_add_u32 s12, s4, s2
	s_addc_u32 s2, s5, s3
	s_add_i32 s3, s17, 1
	s_and_b32 s5, s9, 0xffff
	s_ashr_i32 s4, s19, 31
	s_lshr_b32 s9, s3, 31
	s_mul_i32 s4, s4, s20
	s_add_i32 s3, s3, s9
	s_and_b32 s13, s2, 0xffff
	s_lshl_b32 s2, s3, 1
	s_add_i32 s19, s14, s4
	s_and_b32 s14, s2, -4
	s_lshl_b64 s[2:3], s[18:19], 1
	buffer_load_b128 v[8:11], v5, s[12:15], 0 offen glc slc
	s_add_u32 s12, s6, s2
	s_addc_u32 s2, s7, s3
	s_mov_b32 s7, s15
	s_and_b32 s13, s2, 0xffff
	s_mov_b32 s4, s8
	buffer_load_b128 v[12:15], v5, s[12:15], 0 offen glc slc
	s_mov_b32 s6, s14
	s_waitcnt vmcnt(1)
	v_lshrrev_b32_e32 v6, 16, v8
	v_cvt_f32_f16_e32 v8, v8
	v_lshrrev_b32_e32 v16, 16, v9
	v_cvt_f32_f16_e32 v9, v9
	s_delay_alu instid0(VALU_DEP_4)
	v_cvt_f32_f16_e32 v6, v6
	s_waitcnt vmcnt(0)
	v_lshrrev_b32_e32 v7, 16, v12
	v_cvt_f32_f16_e32 v12, v12
	v_lshrrev_b32_e32 v17, 16, v13
	v_cvt_f32_f16_e32 v13, v13
	v_cvt_f32_f16_e32 v16, v16
	;; [unrolled: 1-line block ×3, first 2 shown]
	s_delay_alu instid0(VALU_DEP_4) | instskip(NEXT) | instid1(VALU_DEP_2)
	v_cvt_f32_f16_e32 v17, v17
	v_add_f32_e32 v6, v6, v7
	buffer_load_b128 v[1:4], v5, s[4:7], 0 offen
	v_add_f32_e32 v7, v8, v12
	v_lshrrev_b32_e32 v12, 16, v10
	v_add_f32_e32 v8, v9, v13
	v_mul_f32_e32 v18, v6, v6
	v_cvt_f32_f16_e32 v9, v10
	v_lshrrev_b32_e32 v13, 16, v14
	v_cvt_f32_f16_e32 v14, v14
	v_add_f32_e32 v10, v16, v17
	v_fmac_f32_e32 v18, v7, v7
	v_cvt_f32_f16_e32 v12, v12
	v_cvt_f32_f16_e32 v13, v13
	v_add_f32_e32 v9, v9, v14
	v_cvt_f32_f16_e32 v14, v11
	v_lshrrev_b32_e32 v17, 16, v15
	v_cvt_f32_f16_e32 v15, v15
	v_lshrrev_b32_e32 v16, 16, v11
	v_add_f32_e32 v11, v12, v13
	s_clause 0x1
	s_load_b64 s[4:5], s[0:1], 0x48
	s_load_b128 s[0:3], s[0:1], 0x0
	v_dual_add_f32 v13, v14, v15 :: v_dual_fmac_f32 v18, v8, v8
	v_cvt_f32_f16_e32 v12, v16
	v_cvt_f32_f16_e32 v16, v17
	v_cvt_f16_f32_e32 v17, v9
	v_cvt_f16_f32_e32 v23, v10
	v_fmac_f32_e32 v18, v10, v10
	v_cvt_f16_f32_e32 v24, v6
	v_add_f32_e32 v12, v12, v16
	v_cvt_f16_f32_e32 v16, v8
	s_delay_alu instid0(VALU_DEP_4) | instskip(NEXT) | instid1(VALU_DEP_3)
	v_fmac_f32_e32 v18, v9, v9
	v_cvt_f16_f32_e32 v21, v12
	s_delay_alu instid0(VALU_DEP_2)
	v_fmac_f32_e32 v18, v11, v11
	s_waitcnt lgkmcnt(0)
	s_ashr_i32 s6, s4, 31
	s_mul_hi_u32 s7, s4, s20
	s_mul_i32 s8, s6, s20
	v_fmac_f32_e32 v18, v13, v13
	s_mul_i32 s6, s4, s20
	s_add_i32 s7, s7, s8
	s_delay_alu instid0(SALU_CYCLE_1) | instskip(NEXT) | instid1(VALU_DEP_1)
	s_lshl_b64 s[6:7], s[6:7], 1
	v_fmac_f32_e32 v18, v12, v12
	s_add_u32 s12, s2, s6
	s_addc_u32 s2, s3, s7
	s_delay_alu instid0(SALU_CYCLE_1) | instskip(NEXT) | instid1(VALU_DEP_1)
	s_and_b32 s13, s2, 0xffff
	v_mov_b32_dpp v14, v18 quad_perm:[1,0,3,2] row_mask:0xf bank_mask:0xf
	s_mov_b32 s2, exec_lo
	s_delay_alu instid0(VALU_DEP_1) | instskip(SKIP_2) | instid1(VALU_DEP_3)
	v_add_f32_e32 v14, v18, v14
	v_cvt_f16_f32_e32 v18, v13
	v_cvt_f16_f32_e32 v22, v11
	v_mov_b32_dpp v15, v14 quad_perm:[2,3,0,1] row_mask:0xf bank_mask:0xf
	s_delay_alu instid0(VALU_DEP_1) | instskip(SKIP_1) | instid1(VALU_DEP_2)
	v_add_f32_e32 v14, v14, v15
	v_cvt_f16_f32_e32 v15, v7
	v_mov_b32_dpp v19, v14 row_xmask:7 row_mask:0xf bank_mask:0xf
	s_delay_alu instid0(VALU_DEP_1)
	v_add_f32_e32 v14, v14, v19
	v_pack_b32_f16 v19, v18, v21
	v_pack_b32_f16 v18, v17, v22
	;; [unrolled: 1-line block ×4, first 2 shown]
	v_mov_b32_dpp v15, v14 row_xmask:15 row_mask:0xf bank_mask:0xf
	buffer_store_b128 v[16:19], v5, s[12:15], 0 offen glc slc
	;;#ASMSTART
	s_nop 0
	;;#ASMEND
	v_cmpx_eq_u32_e32 31, v20
	s_cbranch_execz .LBB113_3
; %bb.2:
	v_add_f32_e32 v14, v14, v15
	s_mov_b32 s3, 0x76543210
	v_lshrrev_b32_e32 v15, 3, v0
	s_delay_alu instid0(VALU_DEP_2) | instskip(NEXT) | instid1(VALU_DEP_1)
	v_permlanex16_b32 v16, v14, s3, 0xfedcba98 op_sel:[1,1]
	v_dual_add_f32 v14, v14, v16 :: v_dual_and_b32 v15, 0x7c, v15
	ds_store_b32 v15, v14
.LBB113_3:
	s_or_b32 exec_lo, exec_lo, s2
	v_and_b32_e32 v0, 1, v0
	s_waitcnt vmcnt(0) lgkmcnt(0)
	s_waitcnt_vscnt null, 0x0
	s_barrier
	buffer_gl0_inv
	v_cvt_f32_i32_e32 v15, s17
	v_lshlrev_b32_e32 v0, 2, v0
	s_ashr_i32 s2, s5, 31
	s_mul_hi_u32 s3, s5, s20
	s_mul_i32 s4, s2, s20
	s_mul_i32 s2, s5, s20
	ds_load_b32 v0, v0
	s_add_i32 s3, s3, s4
	s_delay_alu instid0(SALU_CYCLE_1) | instskip(NEXT) | instid1(SALU_CYCLE_1)
	s_lshl_b64 s[2:3], s[2:3], 1
	s_add_u32 s12, s0, s2
	s_addc_u32 s0, s1, s3
	s_delay_alu instid0(SALU_CYCLE_1) | instskip(SKIP_2) | instid1(VALU_DEP_1)
	s_and_b32 s13, s0, 0xffff
	s_waitcnt lgkmcnt(0)
	v_mov_b32_dpp v14, v0 quad_perm:[1,0,3,2] row_mask:0xf bank_mask:0xf
	v_add_f32_e32 v0, v0, v14
	s_delay_alu instid0(VALU_DEP_1) | instskip(SKIP_1) | instid1(VALU_DEP_2)
	v_div_scale_f32 v14, null, v15, v15, v0
	v_div_scale_f32 v18, vcc_lo, v0, v15, v0
	v_rcp_f32_e32 v16, v14
	s_waitcnt_depctr 0xfff
	v_fma_f32 v17, -v14, v16, 1.0
	s_delay_alu instid0(VALU_DEP_1) | instskip(NEXT) | instid1(VALU_DEP_1)
	v_fmac_f32_e32 v16, v17, v16
	v_mul_f32_e32 v17, v18, v16
	s_delay_alu instid0(VALU_DEP_1) | instskip(NEXT) | instid1(VALU_DEP_1)
	v_fma_f32 v19, -v14, v17, v18
	v_fmac_f32_e32 v17, v19, v16
	s_delay_alu instid0(VALU_DEP_1) | instskip(NEXT) | instid1(VALU_DEP_1)
	v_fma_f32 v14, -v14, v17, v18
	v_div_fmas_f32 v14, v14, v16, v17
	s_delay_alu instid0(VALU_DEP_1) | instskip(NEXT) | instid1(VALU_DEP_1)
	v_div_fixup_f32 v0, v14, v15, v0
	v_cvt_f64_f32_e32 v[14:15], v0
	s_delay_alu instid0(VALU_DEP_1) | instskip(NEXT) | instid1(VALU_DEP_1)
	v_add_f64 v[14:15], v[14:15], s[10:11]
	v_cvt_f32_f64_e32 v0, v[14:15]
	s_delay_alu instid0(VALU_DEP_1) | instskip(SKIP_1) | instid1(VALU_DEP_2)
	v_mul_f32_e32 v14, 0x4b800000, v0
	v_cmp_gt_f32_e32 vcc_lo, 0x800000, v0
	v_cndmask_b32_e32 v0, v0, v14, vcc_lo
	s_delay_alu instid0(VALU_DEP_1) | instskip(SKIP_2) | instid1(VALU_DEP_1)
	v_rsq_f32_e32 v0, v0
	s_waitcnt_depctr 0xfff
	v_mul_f32_e32 v14, 0x45800000, v0
	v_cndmask_b32_e32 v0, v0, v14, vcc_lo
	s_delay_alu instid0(VALU_DEP_1)
	v_mul_f32_e32 v14, v6, v0
	v_mul_f32_e32 v6, v7, v0
	;; [unrolled: 1-line block ×8, first 2 shown]
	v_fma_mixlo_f16 v9, v7, v4, 0 op_sel_hi:[0,1,0]
	v_fma_mixlo_f16 v8, v13, v3, 0 op_sel_hi:[0,1,0]
	;; [unrolled: 1-line block ×4, first 2 shown]
	s_delay_alu instid0(VALU_DEP_4) | instskip(NEXT) | instid1(VALU_DEP_4)
	v_fma_mixhi_f16 v9, v0, v4, 0 op_sel:[0,1,0] op_sel_hi:[0,1,0]
	v_fma_mixhi_f16 v8, v11, v3, 0 op_sel:[0,1,0] op_sel_hi:[0,1,0]
	s_delay_alu instid0(VALU_DEP_4) | instskip(NEXT) | instid1(VALU_DEP_4)
	v_fma_mixhi_f16 v7, v10, v2, 0 op_sel:[0,1,0] op_sel_hi:[0,1,0]
	v_fma_mixhi_f16 v6, v14, v1, 0 op_sel:[0,1,0] op_sel_hi:[0,1,0]
	buffer_store_b128 v[6:9], v5, s[12:15], 0 offen
	;;#ASMSTART
	s_nop 0
	;;#ASMEND
.LBB113_4:
	s_nop 0
	s_sendmsg sendmsg(MSG_DEALLOC_VGPRS)
	s_endpgm
	.section	.rodata,"a",@progbits
	.p2align	6, 0x0
	.amdhsa_kernel _ZN5aiter24add_rmsnorm_quant_kernelIDF16_DF16_Li64ELi8ELb1ELb0ELb1ELi1EEEvPT0_PT_PfS4_S4_S4_diiiiiiib
		.amdhsa_group_segment_fixed_size 8
		.amdhsa_private_segment_fixed_size 0
		.amdhsa_kernarg_size 88
		.amdhsa_user_sgpr_count 15
		.amdhsa_user_sgpr_dispatch_ptr 0
		.amdhsa_user_sgpr_queue_ptr 0
		.amdhsa_user_sgpr_kernarg_segment_ptr 1
		.amdhsa_user_sgpr_dispatch_id 0
		.amdhsa_user_sgpr_private_segment_size 0
		.amdhsa_wavefront_size32 1
		.amdhsa_uses_dynamic_stack 0
		.amdhsa_enable_private_segment 0
		.amdhsa_system_sgpr_workgroup_id_x 1
		.amdhsa_system_sgpr_workgroup_id_y 0
		.amdhsa_system_sgpr_workgroup_id_z 0
		.amdhsa_system_sgpr_workgroup_info 0
		.amdhsa_system_vgpr_workitem_id 0
		.amdhsa_next_free_vgpr 25
		.amdhsa_next_free_sgpr 22
		.amdhsa_reserve_vcc 1
		.amdhsa_float_round_mode_32 0
		.amdhsa_float_round_mode_16_64 0
		.amdhsa_float_denorm_mode_32 3
		.amdhsa_float_denorm_mode_16_64 3
		.amdhsa_dx10_clamp 1
		.amdhsa_ieee_mode 1
		.amdhsa_fp16_overflow 0
		.amdhsa_workgroup_processor_mode 1
		.amdhsa_memory_ordered 1
		.amdhsa_forward_progress 0
		.amdhsa_shared_vgpr_count 0
		.amdhsa_exception_fp_ieee_invalid_op 0
		.amdhsa_exception_fp_denorm_src 0
		.amdhsa_exception_fp_ieee_div_zero 0
		.amdhsa_exception_fp_ieee_overflow 0
		.amdhsa_exception_fp_ieee_underflow 0
		.amdhsa_exception_fp_ieee_inexact 0
		.amdhsa_exception_int_div_zero 0
	.end_amdhsa_kernel
	.section	.text._ZN5aiter24add_rmsnorm_quant_kernelIDF16_DF16_Li64ELi8ELb1ELb0ELb1ELi1EEEvPT0_PT_PfS4_S4_S4_diiiiiiib,"axG",@progbits,_ZN5aiter24add_rmsnorm_quant_kernelIDF16_DF16_Li64ELi8ELb1ELb0ELb1ELi1EEEvPT0_PT_PfS4_S4_S4_diiiiiiib,comdat
.Lfunc_end113:
	.size	_ZN5aiter24add_rmsnorm_quant_kernelIDF16_DF16_Li64ELi8ELb1ELb0ELb1ELi1EEEvPT0_PT_PfS4_S4_S4_diiiiiiib, .Lfunc_end113-_ZN5aiter24add_rmsnorm_quant_kernelIDF16_DF16_Li64ELi8ELb1ELb0ELb1ELi1EEEvPT0_PT_PfS4_S4_S4_diiiiiiib
                                        ; -- End function
	.section	.AMDGPU.csdata,"",@progbits
; Kernel info:
; codeLenInByte = 1104
; NumSgprs: 24
; NumVgprs: 25
; ScratchSize: 0
; MemoryBound: 0
; FloatMode: 240
; IeeeMode: 1
; LDSByteSize: 8 bytes/workgroup (compile time only)
; SGPRBlocks: 2
; VGPRBlocks: 3
; NumSGPRsForWavesPerEU: 24
; NumVGPRsForWavesPerEU: 25
; Occupancy: 16
; WaveLimiterHint : 0
; COMPUTE_PGM_RSRC2:SCRATCH_EN: 0
; COMPUTE_PGM_RSRC2:USER_SGPR: 15
; COMPUTE_PGM_RSRC2:TRAP_HANDLER: 0
; COMPUTE_PGM_RSRC2:TGID_X_EN: 1
; COMPUTE_PGM_RSRC2:TGID_Y_EN: 0
; COMPUTE_PGM_RSRC2:TGID_Z_EN: 0
; COMPUTE_PGM_RSRC2:TIDIG_COMP_CNT: 0
	.section	.text._ZN5aiter24add_rmsnorm_quant_kernelIttLi64ELi8ELb1ELb0ELb1ELi1EEEvPT0_PT_PfS4_S4_S4_diiiiiiib,"axG",@progbits,_ZN5aiter24add_rmsnorm_quant_kernelIttLi64ELi8ELb1ELb0ELb1ELi1EEEvPT0_PT_PfS4_S4_S4_diiiiiiib,comdat
	.protected	_ZN5aiter24add_rmsnorm_quant_kernelIttLi64ELi8ELb1ELb0ELb1ELi1EEEvPT0_PT_PfS4_S4_S4_diiiiiiib ; -- Begin function _ZN5aiter24add_rmsnorm_quant_kernelIttLi64ELi8ELb1ELb0ELb1ELi1EEEvPT0_PT_PfS4_S4_S4_diiiiiiib
	.globl	_ZN5aiter24add_rmsnorm_quant_kernelIttLi64ELi8ELb1ELb0ELb1ELi1EEEvPT0_PT_PfS4_S4_S4_diiiiiiib
	.p2align	8
	.type	_ZN5aiter24add_rmsnorm_quant_kernelIttLi64ELi8ELb1ELb0ELb1ELi1EEEvPT0_PT_PfS4_S4_S4_diiiiiiib,@function
_ZN5aiter24add_rmsnorm_quant_kernelIttLi64ELi8ELb1ELb0ELb1ELi1EEEvPT0_PT_PfS4_S4_S4_diiiiiiib: ; @_ZN5aiter24add_rmsnorm_quant_kernelIttLi64ELi8ELb1ELb0ELb1ELi1EEEvPT0_PT_PfS4_S4_S4_diiiiiiib
; %bb.0:
	s_load_b128 s[16:19], s[0:1], 0x38
	s_mov_b32 s20, s15
	s_mov_b32 s21, 0
	s_waitcnt lgkmcnt(0)
	s_ashr_i32 s3, s16, 31
	s_mov_b32 s2, s16
	s_delay_alu instid0(SALU_CYCLE_1) | instskip(NEXT) | instid1(VALU_DEP_1)
	v_cmp_ge_i64_e64 s2, s[20:21], s[2:3]
	s_and_b32 vcc_lo, exec_lo, s2
	s_cbranch_vccnz .LBB114_4
; %bb.1:
	s_load_b256 s[4:11], s[0:1], 0x18
	s_ashr_i32 s3, s18, 31
	s_mul_hi_u32 s12, s18, s20
	s_mul_i32 s3, s3, s20
	s_mul_i32 s2, s18, s20
	s_add_i32 s3, s12, s3
	s_mul_hi_u32 s14, s19, s20
	s_lshl_b64 s[2:3], s[2:3], 1
	v_lshlrev_b32_e32 v5, 4, v0
	s_mul_i32 s18, s19, s20
	s_mov_b32 s15, -1
	s_waitcnt lgkmcnt(0)
	s_add_u32 s12, s4, s2
	s_addc_u32 s2, s5, s3
	s_add_i32 s3, s17, 1
	s_and_b32 s5, s9, 0xffff
	s_ashr_i32 s4, s19, 31
	s_lshr_b32 s9, s3, 31
	s_mul_i32 s4, s4, s20
	s_add_i32 s3, s3, s9
	s_and_b32 s13, s2, 0xffff
	s_lshl_b32 s2, s3, 1
	s_add_i32 s19, s14, s4
	s_and_b32 s14, s2, -4
	s_lshl_b64 s[2:3], s[18:19], 1
	buffer_load_b128 v[6:9], v5, s[12:15], 0 offen glc slc
	s_add_u32 s12, s6, s2
	s_addc_u32 s2, s7, s3
	s_mov_b32 s7, s15
	s_and_b32 s13, s2, 0xffff
	s_mov_b32 s4, s8
	buffer_load_b128 v[10:13], v5, s[12:15], 0 offen glc slc
	s_mov_b32 s6, s14
	s_waitcnt vmcnt(1)
	v_lshrrev_b32_e32 v16, 16, v8
	v_and_b32_e32 v18, 0xffff, v8
	v_lshrrev_b32_e32 v15, 16, v7
	v_lshrrev_b32_e32 v19, 16, v9
	s_waitcnt vmcnt(0)
	v_and_b32_e32 v8, 0xffff, v10
	v_lshrrev_b32_e32 v17, 16, v10
	s_delay_alu instid0(VALU_DEP_2) | instskip(SKIP_2) | instid1(VALU_DEP_4)
	v_cvt_f32_u32_e32 v8, v8
	v_and_b32_e32 v14, 0xffff, v6
	v_lshrrev_b32_e32 v6, 16, v6
	v_cvt_f32_u32_e32 v10, v17
	s_delay_alu instid0(VALU_DEP_2) | instskip(NEXT) | instid1(VALU_DEP_1)
	v_cvt_f32_u32_e32 v6, v6
	v_add_f32_e32 v6, v6, v10
	buffer_load_b128 v[1:4], v5, s[4:7], 0 offen
	v_and_b32_e32 v7, 0xffff, v7
	s_clause 0x1
	s_load_b64 s[4:5], s[0:1], 0x48
	s_load_b128 s[0:3], s[0:1], 0x0
	v_mul_f32_e32 v20, v6, v6
	v_cvt_f32_u32_e32 v10, v7
	v_and_b32_e32 v17, 0xffff, v9
	v_cvt_f32_u32_e32 v9, v14
	v_and_b32_e32 v14, 0xffff, v11
	v_lshrrev_b32_e32 v11, 16, v11
	s_delay_alu instid0(VALU_DEP_3) | instskip(NEXT) | instid1(VALU_DEP_3)
	v_add_f32_e32 v7, v9, v8
	v_cvt_f32_u32_e32 v14, v14
	v_cvt_f32_u32_e32 v9, v15
	v_and_b32_e32 v15, 0xffff, v12
	v_cvt_f32_u32_e32 v11, v11
	v_fmac_f32_e32 v20, v7, v7
	v_add_f32_e32 v8, v10, v14
	v_lshrrev_b32_e32 v12, 16, v12
	v_cvt_f32_u32_e32 v14, v15
	v_add_f32_e32 v9, v9, v11
	v_cvt_f32_u32_e32 v10, v18
	v_dual_fmac_f32 v20, v8, v8 :: v_dual_and_b32 v15, 0xffff, v13
	v_cvt_f32_u32_e32 v11, v16
	v_cvt_f32_u32_e32 v12, v12
	s_delay_alu instid0(VALU_DEP_4) | instskip(NEXT) | instid1(VALU_DEP_4)
	v_add_f32_e32 v10, v10, v14
	v_fmac_f32_e32 v20, v9, v9
	v_cvt_f32_u32_e32 v14, v17
	v_lshrrev_b32_e32 v13, 16, v13
	v_cvt_f32_u32_e32 v15, v15
	s_delay_alu instid0(VALU_DEP_4) | instskip(SKIP_1) | instid1(VALU_DEP_4)
	v_dual_add_f32 v11, v11, v12 :: v_dual_fmac_f32 v20, v10, v10
	v_cvt_f32_u32_e32 v16, v19
	v_cvt_f32_u32_e32 v13, v13
	s_delay_alu instid0(VALU_DEP_4)
	v_add_f32_e32 v12, v14, v15
	s_waitcnt lgkmcnt(0)
	s_ashr_i32 s6, s4, 31
	v_fmac_f32_e32 v20, v11, v11
	s_mul_hi_u32 s7, s4, s20
	v_add_f32_e32 v13, v16, v13
	s_mul_i32 s8, s6, s20
	s_mul_i32 s6, s4, s20
	v_fmac_f32_e32 v20, v12, v12
	s_add_i32 s7, s7, s8
	v_perm_b32 v19, v13, v12, 0x7060302
	s_lshl_b64 s[6:7], s[6:7], 1
	v_perm_b32 v18, v11, v10, 0x7060302
	v_fmac_f32_e32 v20, v13, v13
	s_add_u32 s12, s2, s6
	v_perm_b32 v17, v9, v8, 0x7060302
	v_perm_b32 v16, v6, v7, 0x7060302
	s_addc_u32 s2, s3, s7
	v_mov_b32_dpp v14, v20 quad_perm:[1,0,3,2] row_mask:0xf bank_mask:0xf
	s_and_b32 s13, s2, 0xffff
	s_mov_b32 s2, exec_lo
	buffer_store_b128 v[16:19], v5, s[12:15], 0 offen glc slc
	;;#ASMSTART
	s_nop 0
	;;#ASMEND
	v_add_f32_e32 v14, v20, v14
	v_and_b32_e32 v20, 31, v0
	s_delay_alu instid0(VALU_DEP_2) | instskip(NEXT) | instid1(VALU_DEP_1)
	v_mov_b32_dpp v15, v14 quad_perm:[2,3,0,1] row_mask:0xf bank_mask:0xf
	v_add_f32_e32 v14, v14, v15
	s_delay_alu instid0(VALU_DEP_1) | instskip(NEXT) | instid1(VALU_DEP_1)
	v_mov_b32_dpp v15, v14 row_xmask:7 row_mask:0xf bank_mask:0xf
	v_add_f32_e32 v14, v14, v15
	s_delay_alu instid0(VALU_DEP_1)
	v_mov_b32_dpp v15, v14 row_xmask:15 row_mask:0xf bank_mask:0xf
	v_cmpx_eq_u32_e32 31, v20
	s_cbranch_execz .LBB114_3
; %bb.2:
	s_delay_alu instid0(VALU_DEP_2) | instskip(SKIP_2) | instid1(VALU_DEP_2)
	v_add_f32_e32 v14, v14, v15
	s_mov_b32 s3, 0x76543210
	v_lshrrev_b32_e32 v15, 3, v0
	v_permlanex16_b32 v16, v14, s3, 0xfedcba98 op_sel:[1,1]
	s_delay_alu instid0(VALU_DEP_1)
	v_dual_add_f32 v14, v14, v16 :: v_dual_and_b32 v15, 0x7c, v15
	ds_store_b32 v15, v14
.LBB114_3:
	s_or_b32 exec_lo, exec_lo, s2
	v_and_b32_e32 v0, 1, v0
	s_waitcnt vmcnt(0) lgkmcnt(0)
	s_waitcnt_vscnt null, 0x0
	s_barrier
	buffer_gl0_inv
	v_cvt_f32_i32_e32 v15, s17
	v_lshlrev_b32_e32 v0, 2, v0
	s_ashr_i32 s3, s5, 31
	s_mul_hi_u32 s4, s5, s20
	s_mul_i32 s3, s3, s20
	s_mul_i32 s2, s5, s20
	ds_load_b32 v0, v0
	s_add_i32 s3, s4, s3
	s_delay_alu instid0(SALU_CYCLE_1) | instskip(NEXT) | instid1(SALU_CYCLE_1)
	s_lshl_b64 s[2:3], s[2:3], 1
	s_add_u32 s12, s0, s2
	s_addc_u32 s0, s1, s3
	s_delay_alu instid0(SALU_CYCLE_1) | instskip(SKIP_2) | instid1(VALU_DEP_1)
	s_and_b32 s13, s0, 0xffff
	s_waitcnt lgkmcnt(0)
	v_mov_b32_dpp v14, v0 quad_perm:[1,0,3,2] row_mask:0xf bank_mask:0xf
	v_add_f32_e32 v0, v0, v14
	s_delay_alu instid0(VALU_DEP_1) | instskip(SKIP_1) | instid1(VALU_DEP_2)
	v_div_scale_f32 v14, null, v15, v15, v0
	v_div_scale_f32 v18, vcc_lo, v0, v15, v0
	v_rcp_f32_e32 v16, v14
	s_waitcnt_depctr 0xfff
	v_fma_f32 v17, -v14, v16, 1.0
	s_delay_alu instid0(VALU_DEP_1) | instskip(NEXT) | instid1(VALU_DEP_1)
	v_fmac_f32_e32 v16, v17, v16
	v_mul_f32_e32 v17, v18, v16
	s_delay_alu instid0(VALU_DEP_1) | instskip(NEXT) | instid1(VALU_DEP_1)
	v_fma_f32 v19, -v14, v17, v18
	v_fmac_f32_e32 v17, v19, v16
	s_delay_alu instid0(VALU_DEP_1) | instskip(NEXT) | instid1(VALU_DEP_1)
	v_fma_f32 v14, -v14, v17, v18
	v_div_fmas_f32 v14, v14, v16, v17
	v_lshrrev_b32_e32 v16, 16, v3
	v_lshrrev_b32_e32 v17, 16, v4
	s_delay_alu instid0(VALU_DEP_3) | instskip(NEXT) | instid1(VALU_DEP_3)
	v_div_fixup_f32 v0, v14, v15, v0
	v_cvt_f32_u32_e32 v16, v16
	s_delay_alu instid0(VALU_DEP_3) | instskip(NEXT) | instid1(VALU_DEP_3)
	v_cvt_f32_u32_e32 v17, v17
	v_cvt_f64_f32_e32 v[14:15], v0
	s_delay_alu instid0(VALU_DEP_1) | instskip(NEXT) | instid1(VALU_DEP_1)
	v_add_f64 v[14:15], v[14:15], s[10:11]
	v_cvt_f32_f64_e32 v0, v[14:15]
	v_lshrrev_b32_e32 v15, 16, v2
	s_delay_alu instid0(VALU_DEP_1) | instskip(NEXT) | instid1(VALU_DEP_3)
	v_cvt_f32_u32_e32 v15, v15
	v_mul_f32_e32 v14, 0x4b800000, v0
	v_cmp_gt_f32_e32 vcc_lo, 0x800000, v0
	s_delay_alu instid0(VALU_DEP_2) | instskip(SKIP_2) | instid1(VALU_DEP_3)
	v_cndmask_b32_e32 v0, v0, v14, vcc_lo
	v_lshrrev_b32_e32 v14, 16, v1
	v_and_b32_e32 v1, 0xffff, v1
	v_rsq_f32_e32 v0, v0
	s_delay_alu instid0(VALU_DEP_2) | instskip(NEXT) | instid1(VALU_DEP_2)
	v_cvt_f32_u32_e32 v14, v14
	v_cvt_f32_u32_e32 v1, v1
	s_waitcnt_depctr 0xfff
	v_mul_f32_e32 v18, 0x45800000, v0
	s_delay_alu instid0(VALU_DEP_1) | instskip(SKIP_2) | instid1(VALU_DEP_3)
	v_dual_cndmask_b32 v0, v0, v18 :: v_dual_and_b32 v3, 0xffff, v3
	v_and_b32_e32 v2, 0xffff, v2
	v_and_b32_e32 v4, 0xffff, v4
	v_cvt_f32_u32_e32 v3, v3
	s_delay_alu instid0(VALU_DEP_4) | instskip(NEXT) | instid1(VALU_DEP_3)
	v_dual_mul_f32 v11, v0, v11 :: v_dual_mul_f32 v6, v6, v0
	v_cvt_f32_u32_e32 v4, v4
	v_mul_f32_e32 v7, v7, v0
	v_cvt_f32_u32_e32 v2, v2
	v_mul_f32_e32 v8, v0, v8
	v_mul_f32_e32 v9, v0, v9
	;; [unrolled: 1-line block ×6, first 2 shown]
	s_delay_alu instid0(VALU_DEP_4) | instskip(NEXT) | instid1(VALU_DEP_4)
	v_dual_mul_f32 v1, v8, v2 :: v_dual_mul_f32 v2, v10, v3
	v_mul_f32_e32 v3, v12, v4
	s_delay_alu instid0(VALU_DEP_4) | instskip(SKIP_3) | instid1(VALU_DEP_4)
	v_mul_f32_e32 v0, v0, v17
	v_mul_f32_e32 v4, v11, v16
	;; [unrolled: 1-line block ×4, first 2 shown]
	v_perm_b32 v3, v0, v3, 0x7060302
	s_delay_alu instid0(VALU_DEP_4) | instskip(NEXT) | instid1(VALU_DEP_4)
	v_perm_b32 v2, v4, v2, 0x7060302
	v_perm_b32 v1, v8, v1, 0x7060302
	s_delay_alu instid0(VALU_DEP_4)
	v_perm_b32 v0, v6, v7, 0x7060302
	buffer_store_b128 v[0:3], v5, s[12:15], 0 offen
	;;#ASMSTART
	s_nop 0
	;;#ASMEND
.LBB114_4:
	s_nop 0
	s_sendmsg sendmsg(MSG_DEALLOC_VGPRS)
	s_endpgm
	.section	.rodata,"a",@progbits
	.p2align	6, 0x0
	.amdhsa_kernel _ZN5aiter24add_rmsnorm_quant_kernelIttLi64ELi8ELb1ELb0ELb1ELi1EEEvPT0_PT_PfS4_S4_S4_diiiiiiib
		.amdhsa_group_segment_fixed_size 8
		.amdhsa_private_segment_fixed_size 0
		.amdhsa_kernarg_size 88
		.amdhsa_user_sgpr_count 15
		.amdhsa_user_sgpr_dispatch_ptr 0
		.amdhsa_user_sgpr_queue_ptr 0
		.amdhsa_user_sgpr_kernarg_segment_ptr 1
		.amdhsa_user_sgpr_dispatch_id 0
		.amdhsa_user_sgpr_private_segment_size 0
		.amdhsa_wavefront_size32 1
		.amdhsa_uses_dynamic_stack 0
		.amdhsa_enable_private_segment 0
		.amdhsa_system_sgpr_workgroup_id_x 1
		.amdhsa_system_sgpr_workgroup_id_y 0
		.amdhsa_system_sgpr_workgroup_id_z 0
		.amdhsa_system_sgpr_workgroup_info 0
		.amdhsa_system_vgpr_workitem_id 0
		.amdhsa_next_free_vgpr 21
		.amdhsa_next_free_sgpr 22
		.amdhsa_reserve_vcc 1
		.amdhsa_float_round_mode_32 0
		.amdhsa_float_round_mode_16_64 0
		.amdhsa_float_denorm_mode_32 3
		.amdhsa_float_denorm_mode_16_64 3
		.amdhsa_dx10_clamp 1
		.amdhsa_ieee_mode 1
		.amdhsa_fp16_overflow 0
		.amdhsa_workgroup_processor_mode 1
		.amdhsa_memory_ordered 1
		.amdhsa_forward_progress 0
		.amdhsa_shared_vgpr_count 0
		.amdhsa_exception_fp_ieee_invalid_op 0
		.amdhsa_exception_fp_denorm_src 0
		.amdhsa_exception_fp_ieee_div_zero 0
		.amdhsa_exception_fp_ieee_overflow 0
		.amdhsa_exception_fp_ieee_underflow 0
		.amdhsa_exception_fp_ieee_inexact 0
		.amdhsa_exception_int_div_zero 0
	.end_amdhsa_kernel
	.section	.text._ZN5aiter24add_rmsnorm_quant_kernelIttLi64ELi8ELb1ELb0ELb1ELi1EEEvPT0_PT_PfS4_S4_S4_diiiiiiib,"axG",@progbits,_ZN5aiter24add_rmsnorm_quant_kernelIttLi64ELi8ELb1ELb0ELb1ELi1EEEvPT0_PT_PfS4_S4_S4_diiiiiiib,comdat
.Lfunc_end114:
	.size	_ZN5aiter24add_rmsnorm_quant_kernelIttLi64ELi8ELb1ELb0ELb1ELi1EEEvPT0_PT_PfS4_S4_S4_diiiiiiib, .Lfunc_end114-_ZN5aiter24add_rmsnorm_quant_kernelIttLi64ELi8ELb1ELb0ELb1ELi1EEEvPT0_PT_PfS4_S4_S4_diiiiiiib
                                        ; -- End function
	.section	.AMDGPU.csdata,"",@progbits
; Kernel info:
; codeLenInByte = 1272
; NumSgprs: 24
; NumVgprs: 21
; ScratchSize: 0
; MemoryBound: 0
; FloatMode: 240
; IeeeMode: 1
; LDSByteSize: 8 bytes/workgroup (compile time only)
; SGPRBlocks: 2
; VGPRBlocks: 2
; NumSGPRsForWavesPerEU: 24
; NumVGPRsForWavesPerEU: 21
; Occupancy: 16
; WaveLimiterHint : 0
; COMPUTE_PGM_RSRC2:SCRATCH_EN: 0
; COMPUTE_PGM_RSRC2:USER_SGPR: 15
; COMPUTE_PGM_RSRC2:TRAP_HANDLER: 0
; COMPUTE_PGM_RSRC2:TGID_X_EN: 1
; COMPUTE_PGM_RSRC2:TGID_Y_EN: 0
; COMPUTE_PGM_RSRC2:TGID_Z_EN: 0
; COMPUTE_PGM_RSRC2:TIDIG_COMP_CNT: 0
	.section	.text._ZN5aiter24add_rmsnorm_quant_kernelIDF16_DF16_Li64ELi8ELb1ELb0ELb0ELi1EEEvPT0_PT_PfS4_S4_S4_diiiiiiib,"axG",@progbits,_ZN5aiter24add_rmsnorm_quant_kernelIDF16_DF16_Li64ELi8ELb1ELb0ELb0ELi1EEEvPT0_PT_PfS4_S4_S4_diiiiiiib,comdat
	.protected	_ZN5aiter24add_rmsnorm_quant_kernelIDF16_DF16_Li64ELi8ELb1ELb0ELb0ELi1EEEvPT0_PT_PfS4_S4_S4_diiiiiiib ; -- Begin function _ZN5aiter24add_rmsnorm_quant_kernelIDF16_DF16_Li64ELi8ELb1ELb0ELb0ELi1EEEvPT0_PT_PfS4_S4_S4_diiiiiiib
	.globl	_ZN5aiter24add_rmsnorm_quant_kernelIDF16_DF16_Li64ELi8ELb1ELb0ELb0ELi1EEEvPT0_PT_PfS4_S4_S4_diiiiiiib
	.p2align	8
	.type	_ZN5aiter24add_rmsnorm_quant_kernelIDF16_DF16_Li64ELi8ELb1ELb0ELb0ELi1EEEvPT0_PT_PfS4_S4_S4_diiiiiiib,@function
_ZN5aiter24add_rmsnorm_quant_kernelIDF16_DF16_Li64ELi8ELb1ELb0ELb0ELi1EEEvPT0_PT_PfS4_S4_S4_diiiiiiib: ; @_ZN5aiter24add_rmsnorm_quant_kernelIDF16_DF16_Li64ELi8ELb1ELb0ELb0ELi1EEEvPT0_PT_PfS4_S4_S4_diiiiiiib
; %bb.0:
	s_load_b128 s[16:19], s[0:1], 0x38
	s_mov_b32 s20, s15
	s_mov_b32 s21, 0
	s_waitcnt lgkmcnt(0)
	s_ashr_i32 s3, s16, 31
	s_mov_b32 s2, s16
	s_delay_alu instid0(SALU_CYCLE_1) | instskip(NEXT) | instid1(VALU_DEP_1)
	v_cmp_ge_i64_e64 s2, s[20:21], s[2:3]
	s_and_b32 vcc_lo, exec_lo, s2
	s_cbranch_vccnz .LBB115_4
; %bb.1:
	s_load_b256 s[4:11], s[0:1], 0x18
	s_ashr_i32 s3, s18, 31
	s_mul_hi_u32 s12, s18, s20
	s_mul_i32 s3, s3, s20
	s_mul_i32 s2, s18, s20
	s_add_i32 s3, s12, s3
	s_mul_hi_u32 s14, s19, s20
	s_lshl_b64 s[2:3], s[2:3], 1
	v_lshlrev_b32_e32 v5, 4, v0
	s_mul_i32 s18, s19, s20
	s_mov_b32 s15, -1
	v_and_b32_e32 v20, 31, v0
	s_waitcnt lgkmcnt(0)
	s_add_u32 s12, s4, s2
	s_addc_u32 s2, s5, s3
	s_add_i32 s3, s17, 1
	s_and_b32 s5, s9, 0xffff
	s_ashr_i32 s4, s19, 31
	s_lshr_b32 s9, s3, 31
	s_mul_i32 s4, s4, s20
	s_add_i32 s3, s3, s9
	s_and_b32 s13, s2, 0xffff
	s_lshl_b32 s2, s3, 1
	s_add_i32 s19, s14, s4
	s_and_b32 s14, s2, -4
	s_lshl_b64 s[2:3], s[18:19], 1
	buffer_load_b128 v[8:11], v5, s[12:15], 0 offen glc slc
	s_add_u32 s12, s6, s2
	s_addc_u32 s2, s7, s3
	s_mov_b32 s7, s15
	s_and_b32 s13, s2, 0xffff
	s_mov_b32 s4, s8
	buffer_load_b128 v[12:15], v5, s[12:15], 0 offen glc slc
	s_mov_b32 s6, s14
	s_waitcnt vmcnt(1)
	v_lshrrev_b32_e32 v6, 16, v8
	v_cvt_f32_f16_e32 v8, v8
	v_lshrrev_b32_e32 v16, 16, v9
	v_cvt_f32_f16_e32 v9, v9
	s_delay_alu instid0(VALU_DEP_4)
	v_cvt_f32_f16_e32 v6, v6
	s_waitcnt vmcnt(0)
	v_lshrrev_b32_e32 v7, 16, v12
	v_cvt_f32_f16_e32 v12, v12
	v_lshrrev_b32_e32 v17, 16, v13
	v_cvt_f32_f16_e32 v13, v13
	v_cvt_f32_f16_e32 v16, v16
	v_cvt_f32_f16_e32 v7, v7
	s_delay_alu instid0(VALU_DEP_4) | instskip(NEXT) | instid1(VALU_DEP_2)
	v_cvt_f32_f16_e32 v17, v17
	v_add_f32_e32 v6, v6, v7
	buffer_load_b128 v[1:4], v5, s[4:7], 0 offen
	v_add_f32_e32 v7, v8, v12
	v_lshrrev_b32_e32 v12, 16, v10
	v_add_f32_e32 v8, v9, v13
	v_mul_f32_e32 v18, v6, v6
	v_cvt_f32_f16_e32 v9, v10
	v_lshrrev_b32_e32 v13, 16, v14
	v_cvt_f32_f16_e32 v14, v14
	v_add_f32_e32 v10, v16, v17
	v_fmac_f32_e32 v18, v7, v7
	v_cvt_f32_f16_e32 v12, v12
	v_cvt_f32_f16_e32 v13, v13
	v_add_f32_e32 v9, v9, v14
	v_cvt_f32_f16_e32 v14, v11
	v_lshrrev_b32_e32 v17, 16, v15
	v_cvt_f32_f16_e32 v15, v15
	v_lshrrev_b32_e32 v16, 16, v11
	v_add_f32_e32 v11, v12, v13
	s_clause 0x1
	s_load_b64 s[4:5], s[0:1], 0x48
	s_load_b128 s[0:3], s[0:1], 0x0
	v_dual_add_f32 v13, v14, v15 :: v_dual_fmac_f32 v18, v8, v8
	v_cvt_f32_f16_e32 v12, v16
	v_cvt_f32_f16_e32 v16, v17
	v_cvt_f16_f32_e32 v17, v9
	v_cvt_f16_f32_e32 v23, v10
	v_fmac_f32_e32 v18, v10, v10
	v_cvt_f16_f32_e32 v24, v6
	v_add_f32_e32 v12, v12, v16
	v_cvt_f16_f32_e32 v16, v8
	s_delay_alu instid0(VALU_DEP_4) | instskip(NEXT) | instid1(VALU_DEP_3)
	v_fmac_f32_e32 v18, v9, v9
	v_cvt_f16_f32_e32 v21, v12
	s_delay_alu instid0(VALU_DEP_2)
	v_fmac_f32_e32 v18, v11, v11
	s_waitcnt lgkmcnt(0)
	s_ashr_i32 s6, s4, 31
	s_mul_hi_u32 s7, s4, s20
	s_mul_i32 s8, s6, s20
	v_fmac_f32_e32 v18, v13, v13
	s_mul_i32 s6, s4, s20
	s_add_i32 s7, s7, s8
	s_delay_alu instid0(SALU_CYCLE_1) | instskip(NEXT) | instid1(VALU_DEP_1)
	s_lshl_b64 s[6:7], s[6:7], 1
	v_fmac_f32_e32 v18, v12, v12
	s_add_u32 s12, s2, s6
	s_addc_u32 s2, s3, s7
	s_delay_alu instid0(SALU_CYCLE_1) | instskip(NEXT) | instid1(VALU_DEP_1)
	s_and_b32 s13, s2, 0xffff
	v_mov_b32_dpp v14, v18 quad_perm:[1,0,3,2] row_mask:0xf bank_mask:0xf
	s_mov_b32 s2, exec_lo
	s_delay_alu instid0(VALU_DEP_1) | instskip(SKIP_2) | instid1(VALU_DEP_3)
	v_add_f32_e32 v14, v18, v14
	v_cvt_f16_f32_e32 v18, v13
	v_cvt_f16_f32_e32 v22, v11
	v_mov_b32_dpp v15, v14 quad_perm:[2,3,0,1] row_mask:0xf bank_mask:0xf
	s_delay_alu instid0(VALU_DEP_1) | instskip(SKIP_1) | instid1(VALU_DEP_2)
	v_add_f32_e32 v14, v14, v15
	v_cvt_f16_f32_e32 v15, v7
	v_mov_b32_dpp v19, v14 row_xmask:7 row_mask:0xf bank_mask:0xf
	s_delay_alu instid0(VALU_DEP_1)
	v_add_f32_e32 v14, v14, v19
	v_pack_b32_f16 v19, v18, v21
	v_pack_b32_f16 v18, v17, v22
	;; [unrolled: 1-line block ×4, first 2 shown]
	v_mov_b32_dpp v15, v14 row_xmask:15 row_mask:0xf bank_mask:0xf
	buffer_store_b128 v[16:19], v5, s[12:15], 0 offen glc slc
	;;#ASMSTART
	s_nop 0
	;;#ASMEND
	v_cmpx_eq_u32_e32 31, v20
	s_cbranch_execz .LBB115_3
; %bb.2:
	v_add_f32_e32 v14, v14, v15
	s_mov_b32 s3, 0x76543210
	v_lshrrev_b32_e32 v15, 3, v0
	s_delay_alu instid0(VALU_DEP_2) | instskip(NEXT) | instid1(VALU_DEP_1)
	v_permlanex16_b32 v16, v14, s3, 0xfedcba98 op_sel:[1,1]
	v_dual_add_f32 v14, v14, v16 :: v_dual_and_b32 v15, 0x7c, v15
	ds_store_b32 v15, v14
.LBB115_3:
	s_or_b32 exec_lo, exec_lo, s2
	v_and_b32_e32 v0, 1, v0
	s_waitcnt vmcnt(0) lgkmcnt(0)
	s_waitcnt_vscnt null, 0x0
	s_barrier
	buffer_gl0_inv
	v_cvt_f32_i32_e32 v15, s17
	v_lshlrev_b32_e32 v0, 2, v0
	s_ashr_i32 s2, s5, 31
	s_mul_hi_u32 s3, s5, s20
	s_mul_i32 s4, s2, s20
	s_mul_i32 s2, s5, s20
	ds_load_b32 v0, v0
	s_add_i32 s3, s3, s4
	s_delay_alu instid0(SALU_CYCLE_1) | instskip(NEXT) | instid1(SALU_CYCLE_1)
	s_lshl_b64 s[2:3], s[2:3], 1
	s_add_u32 s12, s0, s2
	s_addc_u32 s0, s1, s3
	s_delay_alu instid0(SALU_CYCLE_1) | instskip(SKIP_2) | instid1(VALU_DEP_1)
	s_and_b32 s13, s0, 0xffff
	s_waitcnt lgkmcnt(0)
	v_mov_b32_dpp v14, v0 quad_perm:[1,0,3,2] row_mask:0xf bank_mask:0xf
	v_add_f32_e32 v0, v0, v14
	s_delay_alu instid0(VALU_DEP_1) | instskip(SKIP_1) | instid1(VALU_DEP_2)
	v_div_scale_f32 v14, null, v15, v15, v0
	v_div_scale_f32 v18, vcc_lo, v0, v15, v0
	v_rcp_f32_e32 v16, v14
	s_waitcnt_depctr 0xfff
	v_fma_f32 v17, -v14, v16, 1.0
	s_delay_alu instid0(VALU_DEP_1) | instskip(NEXT) | instid1(VALU_DEP_1)
	v_fmac_f32_e32 v16, v17, v16
	v_mul_f32_e32 v17, v18, v16
	s_delay_alu instid0(VALU_DEP_1) | instskip(NEXT) | instid1(VALU_DEP_1)
	v_fma_f32 v19, -v14, v17, v18
	v_fmac_f32_e32 v17, v19, v16
	s_delay_alu instid0(VALU_DEP_1) | instskip(NEXT) | instid1(VALU_DEP_1)
	v_fma_f32 v14, -v14, v17, v18
	v_div_fmas_f32 v14, v14, v16, v17
	s_delay_alu instid0(VALU_DEP_1) | instskip(NEXT) | instid1(VALU_DEP_1)
	v_div_fixup_f32 v0, v14, v15, v0
	v_cvt_f64_f32_e32 v[14:15], v0
	s_delay_alu instid0(VALU_DEP_1) | instskip(NEXT) | instid1(VALU_DEP_1)
	v_add_f64 v[14:15], v[14:15], s[10:11]
	v_cvt_f32_f64_e32 v0, v[14:15]
	s_delay_alu instid0(VALU_DEP_1) | instskip(SKIP_1) | instid1(VALU_DEP_2)
	v_mul_f32_e32 v14, 0x4b800000, v0
	v_cmp_gt_f32_e32 vcc_lo, 0x800000, v0
	v_cndmask_b32_e32 v0, v0, v14, vcc_lo
	s_delay_alu instid0(VALU_DEP_1) | instskip(SKIP_2) | instid1(VALU_DEP_1)
	v_rsq_f32_e32 v0, v0
	s_waitcnt_depctr 0xfff
	v_mul_f32_e32 v14, 0x45800000, v0
	v_cndmask_b32_e32 v0, v0, v14, vcc_lo
	s_delay_alu instid0(VALU_DEP_1)
	v_mul_f32_e32 v14, v6, v0
	v_mul_f32_e32 v6, v7, v0
	;; [unrolled: 1-line block ×8, first 2 shown]
	v_fma_mixlo_f16 v9, v7, v4, 0 op_sel_hi:[0,1,0]
	v_fma_mixlo_f16 v8, v13, v3, 0 op_sel_hi:[0,1,0]
	;; [unrolled: 1-line block ×4, first 2 shown]
	s_delay_alu instid0(VALU_DEP_4) | instskip(NEXT) | instid1(VALU_DEP_4)
	v_fma_mixhi_f16 v9, v0, v4, 0 op_sel:[0,1,0] op_sel_hi:[0,1,0]
	v_fma_mixhi_f16 v8, v11, v3, 0 op_sel:[0,1,0] op_sel_hi:[0,1,0]
	s_delay_alu instid0(VALU_DEP_4) | instskip(NEXT) | instid1(VALU_DEP_4)
	v_fma_mixhi_f16 v7, v10, v2, 0 op_sel:[0,1,0] op_sel_hi:[0,1,0]
	v_fma_mixhi_f16 v6, v14, v1, 0 op_sel:[0,1,0] op_sel_hi:[0,1,0]
	buffer_store_b128 v[6:9], v5, s[12:15], 0 offen
	;;#ASMSTART
	s_nop 0
	;;#ASMEND
.LBB115_4:
	s_nop 0
	s_sendmsg sendmsg(MSG_DEALLOC_VGPRS)
	s_endpgm
	.section	.rodata,"a",@progbits
	.p2align	6, 0x0
	.amdhsa_kernel _ZN5aiter24add_rmsnorm_quant_kernelIDF16_DF16_Li64ELi8ELb1ELb0ELb0ELi1EEEvPT0_PT_PfS4_S4_S4_diiiiiiib
		.amdhsa_group_segment_fixed_size 8
		.amdhsa_private_segment_fixed_size 0
		.amdhsa_kernarg_size 88
		.amdhsa_user_sgpr_count 15
		.amdhsa_user_sgpr_dispatch_ptr 0
		.amdhsa_user_sgpr_queue_ptr 0
		.amdhsa_user_sgpr_kernarg_segment_ptr 1
		.amdhsa_user_sgpr_dispatch_id 0
		.amdhsa_user_sgpr_private_segment_size 0
		.amdhsa_wavefront_size32 1
		.amdhsa_uses_dynamic_stack 0
		.amdhsa_enable_private_segment 0
		.amdhsa_system_sgpr_workgroup_id_x 1
		.amdhsa_system_sgpr_workgroup_id_y 0
		.amdhsa_system_sgpr_workgroup_id_z 0
		.amdhsa_system_sgpr_workgroup_info 0
		.amdhsa_system_vgpr_workitem_id 0
		.amdhsa_next_free_vgpr 25
		.amdhsa_next_free_sgpr 22
		.amdhsa_reserve_vcc 1
		.amdhsa_float_round_mode_32 0
		.amdhsa_float_round_mode_16_64 0
		.amdhsa_float_denorm_mode_32 3
		.amdhsa_float_denorm_mode_16_64 3
		.amdhsa_dx10_clamp 1
		.amdhsa_ieee_mode 1
		.amdhsa_fp16_overflow 0
		.amdhsa_workgroup_processor_mode 1
		.amdhsa_memory_ordered 1
		.amdhsa_forward_progress 0
		.amdhsa_shared_vgpr_count 0
		.amdhsa_exception_fp_ieee_invalid_op 0
		.amdhsa_exception_fp_denorm_src 0
		.amdhsa_exception_fp_ieee_div_zero 0
		.amdhsa_exception_fp_ieee_overflow 0
		.amdhsa_exception_fp_ieee_underflow 0
		.amdhsa_exception_fp_ieee_inexact 0
		.amdhsa_exception_int_div_zero 0
	.end_amdhsa_kernel
	.section	.text._ZN5aiter24add_rmsnorm_quant_kernelIDF16_DF16_Li64ELi8ELb1ELb0ELb0ELi1EEEvPT0_PT_PfS4_S4_S4_diiiiiiib,"axG",@progbits,_ZN5aiter24add_rmsnorm_quant_kernelIDF16_DF16_Li64ELi8ELb1ELb0ELb0ELi1EEEvPT0_PT_PfS4_S4_S4_diiiiiiib,comdat
.Lfunc_end115:
	.size	_ZN5aiter24add_rmsnorm_quant_kernelIDF16_DF16_Li64ELi8ELb1ELb0ELb0ELi1EEEvPT0_PT_PfS4_S4_S4_diiiiiiib, .Lfunc_end115-_ZN5aiter24add_rmsnorm_quant_kernelIDF16_DF16_Li64ELi8ELb1ELb0ELb0ELi1EEEvPT0_PT_PfS4_S4_S4_diiiiiiib
                                        ; -- End function
	.section	.AMDGPU.csdata,"",@progbits
; Kernel info:
; codeLenInByte = 1104
; NumSgprs: 24
; NumVgprs: 25
; ScratchSize: 0
; MemoryBound: 0
; FloatMode: 240
; IeeeMode: 1
; LDSByteSize: 8 bytes/workgroup (compile time only)
; SGPRBlocks: 2
; VGPRBlocks: 3
; NumSGPRsForWavesPerEU: 24
; NumVGPRsForWavesPerEU: 25
; Occupancy: 16
; WaveLimiterHint : 0
; COMPUTE_PGM_RSRC2:SCRATCH_EN: 0
; COMPUTE_PGM_RSRC2:USER_SGPR: 15
; COMPUTE_PGM_RSRC2:TRAP_HANDLER: 0
; COMPUTE_PGM_RSRC2:TGID_X_EN: 1
; COMPUTE_PGM_RSRC2:TGID_Y_EN: 0
; COMPUTE_PGM_RSRC2:TGID_Z_EN: 0
; COMPUTE_PGM_RSRC2:TIDIG_COMP_CNT: 0
	.section	.text._ZN5aiter24add_rmsnorm_quant_kernelIttLi64ELi8ELb1ELb0ELb0ELi1EEEvPT0_PT_PfS4_S4_S4_diiiiiiib,"axG",@progbits,_ZN5aiter24add_rmsnorm_quant_kernelIttLi64ELi8ELb1ELb0ELb0ELi1EEEvPT0_PT_PfS4_S4_S4_diiiiiiib,comdat
	.protected	_ZN5aiter24add_rmsnorm_quant_kernelIttLi64ELi8ELb1ELb0ELb0ELi1EEEvPT0_PT_PfS4_S4_S4_diiiiiiib ; -- Begin function _ZN5aiter24add_rmsnorm_quant_kernelIttLi64ELi8ELb1ELb0ELb0ELi1EEEvPT0_PT_PfS4_S4_S4_diiiiiiib
	.globl	_ZN5aiter24add_rmsnorm_quant_kernelIttLi64ELi8ELb1ELb0ELb0ELi1EEEvPT0_PT_PfS4_S4_S4_diiiiiiib
	.p2align	8
	.type	_ZN5aiter24add_rmsnorm_quant_kernelIttLi64ELi8ELb1ELb0ELb0ELi1EEEvPT0_PT_PfS4_S4_S4_diiiiiiib,@function
_ZN5aiter24add_rmsnorm_quant_kernelIttLi64ELi8ELb1ELb0ELb0ELi1EEEvPT0_PT_PfS4_S4_S4_diiiiiiib: ; @_ZN5aiter24add_rmsnorm_quant_kernelIttLi64ELi8ELb1ELb0ELb0ELi1EEEvPT0_PT_PfS4_S4_S4_diiiiiiib
; %bb.0:
	s_load_b128 s[16:19], s[0:1], 0x38
	s_mov_b32 s20, s15
	s_mov_b32 s21, 0
	s_waitcnt lgkmcnt(0)
	s_ashr_i32 s3, s16, 31
	s_mov_b32 s2, s16
	s_delay_alu instid0(SALU_CYCLE_1) | instskip(NEXT) | instid1(VALU_DEP_1)
	v_cmp_ge_i64_e64 s2, s[20:21], s[2:3]
	s_and_b32 vcc_lo, exec_lo, s2
	s_cbranch_vccnz .LBB116_4
; %bb.1:
	s_load_b256 s[4:11], s[0:1], 0x18
	s_ashr_i32 s3, s18, 31
	s_mul_hi_u32 s12, s18, s20
	s_mul_i32 s3, s3, s20
	s_mul_i32 s2, s18, s20
	s_add_i32 s3, s12, s3
	s_mul_hi_u32 s14, s19, s20
	s_lshl_b64 s[2:3], s[2:3], 1
	v_lshlrev_b32_e32 v5, 4, v0
	s_mul_i32 s18, s19, s20
	s_mov_b32 s15, -1
	s_waitcnt lgkmcnt(0)
	s_add_u32 s12, s4, s2
	s_addc_u32 s2, s5, s3
	s_add_i32 s3, s17, 1
	s_and_b32 s5, s9, 0xffff
	s_ashr_i32 s4, s19, 31
	s_lshr_b32 s9, s3, 31
	s_mul_i32 s4, s4, s20
	s_add_i32 s3, s3, s9
	s_and_b32 s13, s2, 0xffff
	s_lshl_b32 s2, s3, 1
	s_add_i32 s19, s14, s4
	s_and_b32 s14, s2, -4
	s_lshl_b64 s[2:3], s[18:19], 1
	buffer_load_b128 v[6:9], v5, s[12:15], 0 offen glc slc
	s_add_u32 s12, s6, s2
	s_addc_u32 s2, s7, s3
	s_mov_b32 s7, s15
	s_and_b32 s13, s2, 0xffff
	s_mov_b32 s4, s8
	buffer_load_b128 v[10:13], v5, s[12:15], 0 offen glc slc
	s_mov_b32 s6, s14
	s_waitcnt vmcnt(1)
	v_lshrrev_b32_e32 v16, 16, v8
	v_and_b32_e32 v18, 0xffff, v8
	v_lshrrev_b32_e32 v15, 16, v7
	v_lshrrev_b32_e32 v19, 16, v9
	s_waitcnt vmcnt(0)
	v_and_b32_e32 v8, 0xffff, v10
	v_lshrrev_b32_e32 v17, 16, v10
	s_delay_alu instid0(VALU_DEP_2) | instskip(SKIP_2) | instid1(VALU_DEP_4)
	v_cvt_f32_u32_e32 v8, v8
	v_and_b32_e32 v14, 0xffff, v6
	v_lshrrev_b32_e32 v6, 16, v6
	v_cvt_f32_u32_e32 v10, v17
	s_delay_alu instid0(VALU_DEP_2) | instskip(NEXT) | instid1(VALU_DEP_1)
	v_cvt_f32_u32_e32 v6, v6
	v_add_f32_e32 v6, v6, v10
	buffer_load_b128 v[1:4], v5, s[4:7], 0 offen
	v_and_b32_e32 v7, 0xffff, v7
	s_clause 0x1
	s_load_b64 s[4:5], s[0:1], 0x48
	s_load_b128 s[0:3], s[0:1], 0x0
	v_mul_f32_e32 v20, v6, v6
	v_cvt_f32_u32_e32 v10, v7
	v_and_b32_e32 v17, 0xffff, v9
	v_cvt_f32_u32_e32 v9, v14
	v_and_b32_e32 v14, 0xffff, v11
	v_lshrrev_b32_e32 v11, 16, v11
	s_delay_alu instid0(VALU_DEP_3) | instskip(NEXT) | instid1(VALU_DEP_3)
	v_add_f32_e32 v7, v9, v8
	v_cvt_f32_u32_e32 v14, v14
	v_cvt_f32_u32_e32 v9, v15
	v_and_b32_e32 v15, 0xffff, v12
	v_cvt_f32_u32_e32 v11, v11
	v_fmac_f32_e32 v20, v7, v7
	v_add_f32_e32 v8, v10, v14
	v_lshrrev_b32_e32 v12, 16, v12
	v_cvt_f32_u32_e32 v14, v15
	v_add_f32_e32 v9, v9, v11
	v_cvt_f32_u32_e32 v10, v18
	v_dual_fmac_f32 v20, v8, v8 :: v_dual_and_b32 v15, 0xffff, v13
	v_cvt_f32_u32_e32 v11, v16
	v_cvt_f32_u32_e32 v12, v12
	s_delay_alu instid0(VALU_DEP_4) | instskip(NEXT) | instid1(VALU_DEP_4)
	v_add_f32_e32 v10, v10, v14
	v_fmac_f32_e32 v20, v9, v9
	v_cvt_f32_u32_e32 v14, v17
	v_lshrrev_b32_e32 v13, 16, v13
	v_cvt_f32_u32_e32 v15, v15
	s_delay_alu instid0(VALU_DEP_4) | instskip(SKIP_1) | instid1(VALU_DEP_4)
	v_dual_add_f32 v11, v11, v12 :: v_dual_fmac_f32 v20, v10, v10
	v_cvt_f32_u32_e32 v16, v19
	v_cvt_f32_u32_e32 v13, v13
	s_delay_alu instid0(VALU_DEP_4)
	v_add_f32_e32 v12, v14, v15
	s_waitcnt lgkmcnt(0)
	s_ashr_i32 s6, s4, 31
	v_fmac_f32_e32 v20, v11, v11
	s_mul_hi_u32 s7, s4, s20
	v_add_f32_e32 v13, v16, v13
	s_mul_i32 s8, s6, s20
	s_mul_i32 s6, s4, s20
	v_fmac_f32_e32 v20, v12, v12
	s_add_i32 s7, s7, s8
	v_perm_b32 v19, v13, v12, 0x7060302
	s_lshl_b64 s[6:7], s[6:7], 1
	v_perm_b32 v18, v11, v10, 0x7060302
	v_fmac_f32_e32 v20, v13, v13
	s_add_u32 s12, s2, s6
	v_perm_b32 v17, v9, v8, 0x7060302
	v_perm_b32 v16, v6, v7, 0x7060302
	s_addc_u32 s2, s3, s7
	v_mov_b32_dpp v14, v20 quad_perm:[1,0,3,2] row_mask:0xf bank_mask:0xf
	s_and_b32 s13, s2, 0xffff
	s_mov_b32 s2, exec_lo
	buffer_store_b128 v[16:19], v5, s[12:15], 0 offen glc slc
	;;#ASMSTART
	s_nop 0
	;;#ASMEND
	v_add_f32_e32 v14, v20, v14
	v_and_b32_e32 v20, 31, v0
	s_delay_alu instid0(VALU_DEP_2) | instskip(NEXT) | instid1(VALU_DEP_1)
	v_mov_b32_dpp v15, v14 quad_perm:[2,3,0,1] row_mask:0xf bank_mask:0xf
	v_add_f32_e32 v14, v14, v15
	s_delay_alu instid0(VALU_DEP_1) | instskip(NEXT) | instid1(VALU_DEP_1)
	v_mov_b32_dpp v15, v14 row_xmask:7 row_mask:0xf bank_mask:0xf
	v_add_f32_e32 v14, v14, v15
	s_delay_alu instid0(VALU_DEP_1)
	v_mov_b32_dpp v15, v14 row_xmask:15 row_mask:0xf bank_mask:0xf
	v_cmpx_eq_u32_e32 31, v20
	s_cbranch_execz .LBB116_3
; %bb.2:
	s_delay_alu instid0(VALU_DEP_2) | instskip(SKIP_2) | instid1(VALU_DEP_2)
	v_add_f32_e32 v14, v14, v15
	s_mov_b32 s3, 0x76543210
	v_lshrrev_b32_e32 v15, 3, v0
	v_permlanex16_b32 v16, v14, s3, 0xfedcba98 op_sel:[1,1]
	s_delay_alu instid0(VALU_DEP_1)
	v_dual_add_f32 v14, v14, v16 :: v_dual_and_b32 v15, 0x7c, v15
	ds_store_b32 v15, v14
.LBB116_3:
	s_or_b32 exec_lo, exec_lo, s2
	v_and_b32_e32 v0, 1, v0
	s_waitcnt vmcnt(0) lgkmcnt(0)
	s_waitcnt_vscnt null, 0x0
	s_barrier
	buffer_gl0_inv
	v_cvt_f32_i32_e32 v15, s17
	v_lshlrev_b32_e32 v0, 2, v0
	s_ashr_i32 s3, s5, 31
	s_mul_hi_u32 s4, s5, s20
	s_mul_i32 s3, s3, s20
	s_mul_i32 s2, s5, s20
	ds_load_b32 v0, v0
	s_add_i32 s3, s4, s3
	s_delay_alu instid0(SALU_CYCLE_1) | instskip(NEXT) | instid1(SALU_CYCLE_1)
	s_lshl_b64 s[2:3], s[2:3], 1
	s_add_u32 s12, s0, s2
	s_addc_u32 s0, s1, s3
	s_delay_alu instid0(SALU_CYCLE_1) | instskip(SKIP_2) | instid1(VALU_DEP_1)
	s_and_b32 s13, s0, 0xffff
	s_waitcnt lgkmcnt(0)
	v_mov_b32_dpp v14, v0 quad_perm:[1,0,3,2] row_mask:0xf bank_mask:0xf
	v_add_f32_e32 v0, v0, v14
	s_delay_alu instid0(VALU_DEP_1) | instskip(SKIP_1) | instid1(VALU_DEP_2)
	v_div_scale_f32 v14, null, v15, v15, v0
	v_div_scale_f32 v18, vcc_lo, v0, v15, v0
	v_rcp_f32_e32 v16, v14
	s_waitcnt_depctr 0xfff
	v_fma_f32 v17, -v14, v16, 1.0
	s_delay_alu instid0(VALU_DEP_1) | instskip(NEXT) | instid1(VALU_DEP_1)
	v_fmac_f32_e32 v16, v17, v16
	v_mul_f32_e32 v17, v18, v16
	s_delay_alu instid0(VALU_DEP_1) | instskip(NEXT) | instid1(VALU_DEP_1)
	v_fma_f32 v19, -v14, v17, v18
	v_fmac_f32_e32 v17, v19, v16
	s_delay_alu instid0(VALU_DEP_1) | instskip(NEXT) | instid1(VALU_DEP_1)
	v_fma_f32 v14, -v14, v17, v18
	v_div_fmas_f32 v14, v14, v16, v17
	v_lshrrev_b32_e32 v16, 16, v3
	v_lshrrev_b32_e32 v17, 16, v4
	s_delay_alu instid0(VALU_DEP_3) | instskip(NEXT) | instid1(VALU_DEP_3)
	v_div_fixup_f32 v0, v14, v15, v0
	v_cvt_f32_u32_e32 v16, v16
	s_delay_alu instid0(VALU_DEP_3) | instskip(NEXT) | instid1(VALU_DEP_3)
	v_cvt_f32_u32_e32 v17, v17
	v_cvt_f64_f32_e32 v[14:15], v0
	s_delay_alu instid0(VALU_DEP_1) | instskip(NEXT) | instid1(VALU_DEP_1)
	v_add_f64 v[14:15], v[14:15], s[10:11]
	v_cvt_f32_f64_e32 v0, v[14:15]
	v_lshrrev_b32_e32 v15, 16, v2
	s_delay_alu instid0(VALU_DEP_1) | instskip(NEXT) | instid1(VALU_DEP_3)
	v_cvt_f32_u32_e32 v15, v15
	v_mul_f32_e32 v14, 0x4b800000, v0
	v_cmp_gt_f32_e32 vcc_lo, 0x800000, v0
	s_delay_alu instid0(VALU_DEP_2) | instskip(SKIP_2) | instid1(VALU_DEP_3)
	v_cndmask_b32_e32 v0, v0, v14, vcc_lo
	v_lshrrev_b32_e32 v14, 16, v1
	v_and_b32_e32 v1, 0xffff, v1
	v_rsq_f32_e32 v0, v0
	s_delay_alu instid0(VALU_DEP_2) | instskip(NEXT) | instid1(VALU_DEP_2)
	v_cvt_f32_u32_e32 v14, v14
	v_cvt_f32_u32_e32 v1, v1
	s_waitcnt_depctr 0xfff
	v_mul_f32_e32 v18, 0x45800000, v0
	s_delay_alu instid0(VALU_DEP_1) | instskip(SKIP_2) | instid1(VALU_DEP_3)
	v_dual_cndmask_b32 v0, v0, v18 :: v_dual_and_b32 v3, 0xffff, v3
	v_and_b32_e32 v2, 0xffff, v2
	v_and_b32_e32 v4, 0xffff, v4
	v_cvt_f32_u32_e32 v3, v3
	s_delay_alu instid0(VALU_DEP_4) | instskip(NEXT) | instid1(VALU_DEP_3)
	v_dual_mul_f32 v11, v0, v11 :: v_dual_mul_f32 v6, v6, v0
	v_cvt_f32_u32_e32 v4, v4
	v_mul_f32_e32 v7, v7, v0
	v_cvt_f32_u32_e32 v2, v2
	v_mul_f32_e32 v8, v0, v8
	v_mul_f32_e32 v9, v0, v9
	;; [unrolled: 1-line block ×6, first 2 shown]
	s_delay_alu instid0(VALU_DEP_4) | instskip(NEXT) | instid1(VALU_DEP_4)
	v_dual_mul_f32 v1, v8, v2 :: v_dual_mul_f32 v2, v10, v3
	v_mul_f32_e32 v3, v12, v4
	s_delay_alu instid0(VALU_DEP_4) | instskip(SKIP_3) | instid1(VALU_DEP_4)
	v_mul_f32_e32 v0, v0, v17
	v_mul_f32_e32 v4, v11, v16
	;; [unrolled: 1-line block ×4, first 2 shown]
	v_perm_b32 v3, v0, v3, 0x7060302
	s_delay_alu instid0(VALU_DEP_4) | instskip(NEXT) | instid1(VALU_DEP_4)
	v_perm_b32 v2, v4, v2, 0x7060302
	v_perm_b32 v1, v8, v1, 0x7060302
	s_delay_alu instid0(VALU_DEP_4)
	v_perm_b32 v0, v6, v7, 0x7060302
	buffer_store_b128 v[0:3], v5, s[12:15], 0 offen
	;;#ASMSTART
	s_nop 0
	;;#ASMEND
.LBB116_4:
	s_nop 0
	s_sendmsg sendmsg(MSG_DEALLOC_VGPRS)
	s_endpgm
	.section	.rodata,"a",@progbits
	.p2align	6, 0x0
	.amdhsa_kernel _ZN5aiter24add_rmsnorm_quant_kernelIttLi64ELi8ELb1ELb0ELb0ELi1EEEvPT0_PT_PfS4_S4_S4_diiiiiiib
		.amdhsa_group_segment_fixed_size 8
		.amdhsa_private_segment_fixed_size 0
		.amdhsa_kernarg_size 88
		.amdhsa_user_sgpr_count 15
		.amdhsa_user_sgpr_dispatch_ptr 0
		.amdhsa_user_sgpr_queue_ptr 0
		.amdhsa_user_sgpr_kernarg_segment_ptr 1
		.amdhsa_user_sgpr_dispatch_id 0
		.amdhsa_user_sgpr_private_segment_size 0
		.amdhsa_wavefront_size32 1
		.amdhsa_uses_dynamic_stack 0
		.amdhsa_enable_private_segment 0
		.amdhsa_system_sgpr_workgroup_id_x 1
		.amdhsa_system_sgpr_workgroup_id_y 0
		.amdhsa_system_sgpr_workgroup_id_z 0
		.amdhsa_system_sgpr_workgroup_info 0
		.amdhsa_system_vgpr_workitem_id 0
		.amdhsa_next_free_vgpr 21
		.amdhsa_next_free_sgpr 22
		.amdhsa_reserve_vcc 1
		.amdhsa_float_round_mode_32 0
		.amdhsa_float_round_mode_16_64 0
		.amdhsa_float_denorm_mode_32 3
		.amdhsa_float_denorm_mode_16_64 3
		.amdhsa_dx10_clamp 1
		.amdhsa_ieee_mode 1
		.amdhsa_fp16_overflow 0
		.amdhsa_workgroup_processor_mode 1
		.amdhsa_memory_ordered 1
		.amdhsa_forward_progress 0
		.amdhsa_shared_vgpr_count 0
		.amdhsa_exception_fp_ieee_invalid_op 0
		.amdhsa_exception_fp_denorm_src 0
		.amdhsa_exception_fp_ieee_div_zero 0
		.amdhsa_exception_fp_ieee_overflow 0
		.amdhsa_exception_fp_ieee_underflow 0
		.amdhsa_exception_fp_ieee_inexact 0
		.amdhsa_exception_int_div_zero 0
	.end_amdhsa_kernel
	.section	.text._ZN5aiter24add_rmsnorm_quant_kernelIttLi64ELi8ELb1ELb0ELb0ELi1EEEvPT0_PT_PfS4_S4_S4_diiiiiiib,"axG",@progbits,_ZN5aiter24add_rmsnorm_quant_kernelIttLi64ELi8ELb1ELb0ELb0ELi1EEEvPT0_PT_PfS4_S4_S4_diiiiiiib,comdat
.Lfunc_end116:
	.size	_ZN5aiter24add_rmsnorm_quant_kernelIttLi64ELi8ELb1ELb0ELb0ELi1EEEvPT0_PT_PfS4_S4_S4_diiiiiiib, .Lfunc_end116-_ZN5aiter24add_rmsnorm_quant_kernelIttLi64ELi8ELb1ELb0ELb0ELi1EEEvPT0_PT_PfS4_S4_S4_diiiiiiib
                                        ; -- End function
	.section	.AMDGPU.csdata,"",@progbits
; Kernel info:
; codeLenInByte = 1272
; NumSgprs: 24
; NumVgprs: 21
; ScratchSize: 0
; MemoryBound: 0
; FloatMode: 240
; IeeeMode: 1
; LDSByteSize: 8 bytes/workgroup (compile time only)
; SGPRBlocks: 2
; VGPRBlocks: 2
; NumSGPRsForWavesPerEU: 24
; NumVGPRsForWavesPerEU: 21
; Occupancy: 16
; WaveLimiterHint : 0
; COMPUTE_PGM_RSRC2:SCRATCH_EN: 0
; COMPUTE_PGM_RSRC2:USER_SGPR: 15
; COMPUTE_PGM_RSRC2:TRAP_HANDLER: 0
; COMPUTE_PGM_RSRC2:TGID_X_EN: 1
; COMPUTE_PGM_RSRC2:TGID_Y_EN: 0
; COMPUTE_PGM_RSRC2:TGID_Z_EN: 0
; COMPUTE_PGM_RSRC2:TIDIG_COMP_CNT: 0
	.section	.text._ZN5aiter24add_rmsnorm_quant_kernelIDF16_DF16_Li128ELi8ELb1ELb0ELb1ELi1EEEvPT0_PT_PfS4_S4_S4_diiiiiiib,"axG",@progbits,_ZN5aiter24add_rmsnorm_quant_kernelIDF16_DF16_Li128ELi8ELb1ELb0ELb1ELi1EEEvPT0_PT_PfS4_S4_S4_diiiiiiib,comdat
	.protected	_ZN5aiter24add_rmsnorm_quant_kernelIDF16_DF16_Li128ELi8ELb1ELb0ELb1ELi1EEEvPT0_PT_PfS4_S4_S4_diiiiiiib ; -- Begin function _ZN5aiter24add_rmsnorm_quant_kernelIDF16_DF16_Li128ELi8ELb1ELb0ELb1ELi1EEEvPT0_PT_PfS4_S4_S4_diiiiiiib
	.globl	_ZN5aiter24add_rmsnorm_quant_kernelIDF16_DF16_Li128ELi8ELb1ELb0ELb1ELi1EEEvPT0_PT_PfS4_S4_S4_diiiiiiib
	.p2align	8
	.type	_ZN5aiter24add_rmsnorm_quant_kernelIDF16_DF16_Li128ELi8ELb1ELb0ELb1ELi1EEEvPT0_PT_PfS4_S4_S4_diiiiiiib,@function
_ZN5aiter24add_rmsnorm_quant_kernelIDF16_DF16_Li128ELi8ELb1ELb0ELb1ELi1EEEvPT0_PT_PfS4_S4_S4_diiiiiiib: ; @_ZN5aiter24add_rmsnorm_quant_kernelIDF16_DF16_Li128ELi8ELb1ELb0ELb1ELi1EEEvPT0_PT_PfS4_S4_S4_diiiiiiib
; %bb.0:
	s_load_b128 s[16:19], s[0:1], 0x38
	s_mov_b32 s20, s15
	s_mov_b32 s21, 0
	s_waitcnt lgkmcnt(0)
	s_ashr_i32 s3, s16, 31
	s_mov_b32 s2, s16
	s_delay_alu instid0(SALU_CYCLE_1) | instskip(NEXT) | instid1(VALU_DEP_1)
	v_cmp_ge_i64_e64 s2, s[20:21], s[2:3]
	s_and_b32 vcc_lo, exec_lo, s2
	s_cbranch_vccnz .LBB117_4
; %bb.1:
	s_load_b256 s[4:11], s[0:1], 0x18
	s_ashr_i32 s3, s18, 31
	s_mul_hi_u32 s12, s18, s20
	s_mul_i32 s3, s3, s20
	s_mul_i32 s2, s18, s20
	s_add_i32 s3, s12, s3
	s_mul_hi_u32 s14, s19, s20
	s_lshl_b64 s[2:3], s[2:3], 1
	v_lshlrev_b32_e32 v5, 4, v0
	s_mul_i32 s18, s19, s20
	s_mov_b32 s15, -1
	v_and_b32_e32 v20, 31, v0
	s_waitcnt lgkmcnt(0)
	s_add_u32 s12, s4, s2
	s_addc_u32 s2, s5, s3
	s_add_i32 s3, s17, 1
	s_and_b32 s5, s9, 0xffff
	s_ashr_i32 s4, s19, 31
	s_lshr_b32 s9, s3, 31
	s_mul_i32 s4, s4, s20
	s_add_i32 s3, s3, s9
	s_and_b32 s13, s2, 0xffff
	s_lshl_b32 s2, s3, 1
	s_add_i32 s19, s14, s4
	s_and_b32 s14, s2, -4
	s_lshl_b64 s[2:3], s[18:19], 1
	buffer_load_b128 v[8:11], v5, s[12:15], 0 offen glc slc
	s_add_u32 s12, s6, s2
	s_addc_u32 s2, s7, s3
	s_mov_b32 s7, s15
	s_and_b32 s13, s2, 0xffff
	s_mov_b32 s4, s8
	buffer_load_b128 v[12:15], v5, s[12:15], 0 offen glc slc
	s_mov_b32 s6, s14
	s_waitcnt vmcnt(1)
	v_lshrrev_b32_e32 v6, 16, v8
	v_cvt_f32_f16_e32 v8, v8
	v_lshrrev_b32_e32 v16, 16, v9
	v_cvt_f32_f16_e32 v9, v9
	s_delay_alu instid0(VALU_DEP_4)
	v_cvt_f32_f16_e32 v6, v6
	s_waitcnt vmcnt(0)
	v_lshrrev_b32_e32 v7, 16, v12
	v_cvt_f32_f16_e32 v12, v12
	v_lshrrev_b32_e32 v17, 16, v13
	v_cvt_f32_f16_e32 v13, v13
	v_cvt_f32_f16_e32 v16, v16
	;; [unrolled: 1-line block ×3, first 2 shown]
	s_delay_alu instid0(VALU_DEP_4) | instskip(NEXT) | instid1(VALU_DEP_2)
	v_cvt_f32_f16_e32 v17, v17
	v_add_f32_e32 v6, v6, v7
	buffer_load_b128 v[1:4], v5, s[4:7], 0 offen
	v_add_f32_e32 v7, v8, v12
	v_lshrrev_b32_e32 v12, 16, v10
	v_add_f32_e32 v8, v9, v13
	v_mul_f32_e32 v18, v6, v6
	v_cvt_f32_f16_e32 v9, v10
	v_lshrrev_b32_e32 v13, 16, v14
	v_cvt_f32_f16_e32 v14, v14
	v_add_f32_e32 v10, v16, v17
	v_fmac_f32_e32 v18, v7, v7
	v_cvt_f32_f16_e32 v12, v12
	v_cvt_f32_f16_e32 v13, v13
	v_add_f32_e32 v9, v9, v14
	v_cvt_f32_f16_e32 v14, v11
	v_lshrrev_b32_e32 v17, 16, v15
	v_cvt_f32_f16_e32 v15, v15
	v_lshrrev_b32_e32 v16, 16, v11
	v_add_f32_e32 v11, v12, v13
	s_clause 0x1
	s_load_b64 s[4:5], s[0:1], 0x48
	s_load_b128 s[0:3], s[0:1], 0x0
	v_dual_add_f32 v13, v14, v15 :: v_dual_fmac_f32 v18, v8, v8
	v_cvt_f32_f16_e32 v12, v16
	v_cvt_f32_f16_e32 v16, v17
	v_cvt_f16_f32_e32 v17, v9
	v_cvt_f16_f32_e32 v23, v10
	v_fmac_f32_e32 v18, v10, v10
	v_cvt_f16_f32_e32 v24, v6
	v_add_f32_e32 v12, v12, v16
	v_cvt_f16_f32_e32 v16, v8
	s_delay_alu instid0(VALU_DEP_4) | instskip(NEXT) | instid1(VALU_DEP_3)
	v_fmac_f32_e32 v18, v9, v9
	v_cvt_f16_f32_e32 v21, v12
	s_delay_alu instid0(VALU_DEP_2)
	v_fmac_f32_e32 v18, v11, v11
	s_waitcnt lgkmcnt(0)
	s_ashr_i32 s6, s4, 31
	s_mul_hi_u32 s7, s4, s20
	s_mul_i32 s8, s6, s20
	v_fmac_f32_e32 v18, v13, v13
	s_mul_i32 s6, s4, s20
	s_add_i32 s7, s7, s8
	s_delay_alu instid0(SALU_CYCLE_1) | instskip(NEXT) | instid1(VALU_DEP_1)
	s_lshl_b64 s[6:7], s[6:7], 1
	v_fmac_f32_e32 v18, v12, v12
	s_add_u32 s12, s2, s6
	s_addc_u32 s2, s3, s7
	s_delay_alu instid0(SALU_CYCLE_1) | instskip(NEXT) | instid1(VALU_DEP_1)
	s_and_b32 s13, s2, 0xffff
	v_mov_b32_dpp v14, v18 quad_perm:[1,0,3,2] row_mask:0xf bank_mask:0xf
	s_mov_b32 s2, exec_lo
	s_delay_alu instid0(VALU_DEP_1) | instskip(SKIP_2) | instid1(VALU_DEP_3)
	v_add_f32_e32 v14, v18, v14
	v_cvt_f16_f32_e32 v18, v13
	v_cvt_f16_f32_e32 v22, v11
	v_mov_b32_dpp v15, v14 quad_perm:[2,3,0,1] row_mask:0xf bank_mask:0xf
	s_delay_alu instid0(VALU_DEP_1) | instskip(SKIP_1) | instid1(VALU_DEP_2)
	v_add_f32_e32 v14, v14, v15
	v_cvt_f16_f32_e32 v15, v7
	v_mov_b32_dpp v19, v14 row_xmask:7 row_mask:0xf bank_mask:0xf
	s_delay_alu instid0(VALU_DEP_1)
	v_add_f32_e32 v14, v14, v19
	v_pack_b32_f16 v19, v18, v21
	v_pack_b32_f16 v18, v17, v22
	;; [unrolled: 1-line block ×4, first 2 shown]
	v_mov_b32_dpp v15, v14 row_xmask:15 row_mask:0xf bank_mask:0xf
	buffer_store_b128 v[16:19], v5, s[12:15], 0 offen glc slc
	;;#ASMSTART
	s_nop 0
	;;#ASMEND
	v_cmpx_eq_u32_e32 31, v20
	s_cbranch_execz .LBB117_3
; %bb.2:
	v_add_f32_e32 v14, v14, v15
	s_mov_b32 s3, 0x76543210
	v_lshrrev_b32_e32 v15, 3, v0
	s_delay_alu instid0(VALU_DEP_2) | instskip(NEXT) | instid1(VALU_DEP_1)
	v_permlanex16_b32 v16, v14, s3, 0xfedcba98 op_sel:[1,1]
	v_dual_add_f32 v14, v14, v16 :: v_dual_and_b32 v15, 0x7c, v15
	ds_store_b32 v15, v14
.LBB117_3:
	s_or_b32 exec_lo, exec_lo, s2
	v_and_b32_e32 v0, 3, v0
	s_waitcnt vmcnt(0) lgkmcnt(0)
	s_waitcnt_vscnt null, 0x0
	s_barrier
	buffer_gl0_inv
	v_cvt_f32_i32_e32 v15, s17
	v_lshlrev_b32_e32 v0, 2, v0
	s_ashr_i32 s2, s5, 31
	s_mul_hi_u32 s3, s5, s20
	s_mul_i32 s4, s2, s20
	s_mul_i32 s2, s5, s20
	ds_load_b32 v0, v0
	s_add_i32 s3, s3, s4
	s_delay_alu instid0(SALU_CYCLE_1) | instskip(NEXT) | instid1(SALU_CYCLE_1)
	s_lshl_b64 s[2:3], s[2:3], 1
	s_add_u32 s12, s0, s2
	s_addc_u32 s0, s1, s3
	s_delay_alu instid0(SALU_CYCLE_1) | instskip(SKIP_2) | instid1(VALU_DEP_1)
	s_and_b32 s13, s0, 0xffff
	s_waitcnt lgkmcnt(0)
	v_mov_b32_dpp v14, v0 quad_perm:[1,0,3,2] row_mask:0xf bank_mask:0xf
	v_add_f32_e32 v0, v0, v14
	s_delay_alu instid0(VALU_DEP_1) | instskip(NEXT) | instid1(VALU_DEP_1)
	v_mov_b32_dpp v14, v0 quad_perm:[2,3,0,1] row_mask:0xf bank_mask:0xf
	v_add_f32_e32 v0, v0, v14
	s_delay_alu instid0(VALU_DEP_1) | instskip(SKIP_1) | instid1(VALU_DEP_2)
	v_div_scale_f32 v14, null, v15, v15, v0
	v_div_scale_f32 v18, vcc_lo, v0, v15, v0
	v_rcp_f32_e32 v16, v14
	s_waitcnt_depctr 0xfff
	v_fma_f32 v17, -v14, v16, 1.0
	s_delay_alu instid0(VALU_DEP_1) | instskip(NEXT) | instid1(VALU_DEP_1)
	v_fmac_f32_e32 v16, v17, v16
	v_mul_f32_e32 v17, v18, v16
	s_delay_alu instid0(VALU_DEP_1) | instskip(NEXT) | instid1(VALU_DEP_1)
	v_fma_f32 v19, -v14, v17, v18
	v_fmac_f32_e32 v17, v19, v16
	s_delay_alu instid0(VALU_DEP_1) | instskip(NEXT) | instid1(VALU_DEP_1)
	v_fma_f32 v14, -v14, v17, v18
	v_div_fmas_f32 v14, v14, v16, v17
	s_delay_alu instid0(VALU_DEP_1) | instskip(NEXT) | instid1(VALU_DEP_1)
	v_div_fixup_f32 v0, v14, v15, v0
	v_cvt_f64_f32_e32 v[14:15], v0
	s_delay_alu instid0(VALU_DEP_1) | instskip(NEXT) | instid1(VALU_DEP_1)
	v_add_f64 v[14:15], v[14:15], s[10:11]
	v_cvt_f32_f64_e32 v0, v[14:15]
	s_delay_alu instid0(VALU_DEP_1) | instskip(SKIP_1) | instid1(VALU_DEP_2)
	v_mul_f32_e32 v14, 0x4b800000, v0
	v_cmp_gt_f32_e32 vcc_lo, 0x800000, v0
	v_cndmask_b32_e32 v0, v0, v14, vcc_lo
	s_delay_alu instid0(VALU_DEP_1) | instskip(SKIP_2) | instid1(VALU_DEP_1)
	v_rsq_f32_e32 v0, v0
	s_waitcnt_depctr 0xfff
	v_mul_f32_e32 v14, 0x45800000, v0
	v_cndmask_b32_e32 v0, v0, v14, vcc_lo
	s_delay_alu instid0(VALU_DEP_1)
	v_mul_f32_e32 v14, v6, v0
	v_mul_f32_e32 v6, v7, v0
	;; [unrolled: 1-line block ×8, first 2 shown]
	v_fma_mixlo_f16 v9, v7, v4, 0 op_sel_hi:[0,1,0]
	v_fma_mixlo_f16 v8, v13, v3, 0 op_sel_hi:[0,1,0]
	;; [unrolled: 1-line block ×4, first 2 shown]
	s_delay_alu instid0(VALU_DEP_4) | instskip(NEXT) | instid1(VALU_DEP_4)
	v_fma_mixhi_f16 v9, v0, v4, 0 op_sel:[0,1,0] op_sel_hi:[0,1,0]
	v_fma_mixhi_f16 v8, v11, v3, 0 op_sel:[0,1,0] op_sel_hi:[0,1,0]
	s_delay_alu instid0(VALU_DEP_4) | instskip(NEXT) | instid1(VALU_DEP_4)
	v_fma_mixhi_f16 v7, v10, v2, 0 op_sel:[0,1,0] op_sel_hi:[0,1,0]
	v_fma_mixhi_f16 v6, v14, v1, 0 op_sel:[0,1,0] op_sel_hi:[0,1,0]
	buffer_store_b128 v[6:9], v5, s[12:15], 0 offen
	;;#ASMSTART
	s_nop 0
	;;#ASMEND
.LBB117_4:
	s_nop 0
	s_sendmsg sendmsg(MSG_DEALLOC_VGPRS)
	s_endpgm
	.section	.rodata,"a",@progbits
	.p2align	6, 0x0
	.amdhsa_kernel _ZN5aiter24add_rmsnorm_quant_kernelIDF16_DF16_Li128ELi8ELb1ELb0ELb1ELi1EEEvPT0_PT_PfS4_S4_S4_diiiiiiib
		.amdhsa_group_segment_fixed_size 16
		.amdhsa_private_segment_fixed_size 0
		.amdhsa_kernarg_size 88
		.amdhsa_user_sgpr_count 15
		.amdhsa_user_sgpr_dispatch_ptr 0
		.amdhsa_user_sgpr_queue_ptr 0
		.amdhsa_user_sgpr_kernarg_segment_ptr 1
		.amdhsa_user_sgpr_dispatch_id 0
		.amdhsa_user_sgpr_private_segment_size 0
		.amdhsa_wavefront_size32 1
		.amdhsa_uses_dynamic_stack 0
		.amdhsa_enable_private_segment 0
		.amdhsa_system_sgpr_workgroup_id_x 1
		.amdhsa_system_sgpr_workgroup_id_y 0
		.amdhsa_system_sgpr_workgroup_id_z 0
		.amdhsa_system_sgpr_workgroup_info 0
		.amdhsa_system_vgpr_workitem_id 0
		.amdhsa_next_free_vgpr 25
		.amdhsa_next_free_sgpr 22
		.amdhsa_reserve_vcc 1
		.amdhsa_float_round_mode_32 0
		.amdhsa_float_round_mode_16_64 0
		.amdhsa_float_denorm_mode_32 3
		.amdhsa_float_denorm_mode_16_64 3
		.amdhsa_dx10_clamp 1
		.amdhsa_ieee_mode 1
		.amdhsa_fp16_overflow 0
		.amdhsa_workgroup_processor_mode 1
		.amdhsa_memory_ordered 1
		.amdhsa_forward_progress 0
		.amdhsa_shared_vgpr_count 0
		.amdhsa_exception_fp_ieee_invalid_op 0
		.amdhsa_exception_fp_denorm_src 0
		.amdhsa_exception_fp_ieee_div_zero 0
		.amdhsa_exception_fp_ieee_overflow 0
		.amdhsa_exception_fp_ieee_underflow 0
		.amdhsa_exception_fp_ieee_inexact 0
		.amdhsa_exception_int_div_zero 0
	.end_amdhsa_kernel
	.section	.text._ZN5aiter24add_rmsnorm_quant_kernelIDF16_DF16_Li128ELi8ELb1ELb0ELb1ELi1EEEvPT0_PT_PfS4_S4_S4_diiiiiiib,"axG",@progbits,_ZN5aiter24add_rmsnorm_quant_kernelIDF16_DF16_Li128ELi8ELb1ELb0ELb1ELi1EEEvPT0_PT_PfS4_S4_S4_diiiiiiib,comdat
.Lfunc_end117:
	.size	_ZN5aiter24add_rmsnorm_quant_kernelIDF16_DF16_Li128ELi8ELb1ELb0ELb1ELi1EEEvPT0_PT_PfS4_S4_S4_diiiiiiib, .Lfunc_end117-_ZN5aiter24add_rmsnorm_quant_kernelIDF16_DF16_Li128ELi8ELb1ELb0ELb1ELi1EEEvPT0_PT_PfS4_S4_S4_diiiiiiib
                                        ; -- End function
	.section	.AMDGPU.csdata,"",@progbits
; Kernel info:
; codeLenInByte = 1120
; NumSgprs: 24
; NumVgprs: 25
; ScratchSize: 0
; MemoryBound: 0
; FloatMode: 240
; IeeeMode: 1
; LDSByteSize: 16 bytes/workgroup (compile time only)
; SGPRBlocks: 2
; VGPRBlocks: 3
; NumSGPRsForWavesPerEU: 24
; NumVGPRsForWavesPerEU: 25
; Occupancy: 16
; WaveLimiterHint : 0
; COMPUTE_PGM_RSRC2:SCRATCH_EN: 0
; COMPUTE_PGM_RSRC2:USER_SGPR: 15
; COMPUTE_PGM_RSRC2:TRAP_HANDLER: 0
; COMPUTE_PGM_RSRC2:TGID_X_EN: 1
; COMPUTE_PGM_RSRC2:TGID_Y_EN: 0
; COMPUTE_PGM_RSRC2:TGID_Z_EN: 0
; COMPUTE_PGM_RSRC2:TIDIG_COMP_CNT: 0
	.section	.text._ZN5aiter24add_rmsnorm_quant_kernelIttLi128ELi8ELb1ELb0ELb1ELi1EEEvPT0_PT_PfS4_S4_S4_diiiiiiib,"axG",@progbits,_ZN5aiter24add_rmsnorm_quant_kernelIttLi128ELi8ELb1ELb0ELb1ELi1EEEvPT0_PT_PfS4_S4_S4_diiiiiiib,comdat
	.protected	_ZN5aiter24add_rmsnorm_quant_kernelIttLi128ELi8ELb1ELb0ELb1ELi1EEEvPT0_PT_PfS4_S4_S4_diiiiiiib ; -- Begin function _ZN5aiter24add_rmsnorm_quant_kernelIttLi128ELi8ELb1ELb0ELb1ELi1EEEvPT0_PT_PfS4_S4_S4_diiiiiiib
	.globl	_ZN5aiter24add_rmsnorm_quant_kernelIttLi128ELi8ELb1ELb0ELb1ELi1EEEvPT0_PT_PfS4_S4_S4_diiiiiiib
	.p2align	8
	.type	_ZN5aiter24add_rmsnorm_quant_kernelIttLi128ELi8ELb1ELb0ELb1ELi1EEEvPT0_PT_PfS4_S4_S4_diiiiiiib,@function
_ZN5aiter24add_rmsnorm_quant_kernelIttLi128ELi8ELb1ELb0ELb1ELi1EEEvPT0_PT_PfS4_S4_S4_diiiiiiib: ; @_ZN5aiter24add_rmsnorm_quant_kernelIttLi128ELi8ELb1ELb0ELb1ELi1EEEvPT0_PT_PfS4_S4_S4_diiiiiiib
; %bb.0:
	s_load_b128 s[16:19], s[0:1], 0x38
	s_mov_b32 s20, s15
	s_mov_b32 s21, 0
	s_waitcnt lgkmcnt(0)
	s_ashr_i32 s3, s16, 31
	s_mov_b32 s2, s16
	s_delay_alu instid0(SALU_CYCLE_1) | instskip(NEXT) | instid1(VALU_DEP_1)
	v_cmp_ge_i64_e64 s2, s[20:21], s[2:3]
	s_and_b32 vcc_lo, exec_lo, s2
	s_cbranch_vccnz .LBB118_4
; %bb.1:
	s_load_b256 s[4:11], s[0:1], 0x18
	s_ashr_i32 s3, s18, 31
	s_mul_hi_u32 s12, s18, s20
	s_mul_i32 s3, s3, s20
	s_mul_i32 s2, s18, s20
	s_add_i32 s3, s12, s3
	s_mul_hi_u32 s14, s19, s20
	s_lshl_b64 s[2:3], s[2:3], 1
	v_lshlrev_b32_e32 v5, 4, v0
	s_mul_i32 s18, s19, s20
	s_mov_b32 s15, -1
	s_waitcnt lgkmcnt(0)
	s_add_u32 s12, s4, s2
	s_addc_u32 s2, s5, s3
	s_add_i32 s3, s17, 1
	s_and_b32 s5, s9, 0xffff
	s_ashr_i32 s4, s19, 31
	s_lshr_b32 s9, s3, 31
	s_mul_i32 s4, s4, s20
	s_add_i32 s3, s3, s9
	s_and_b32 s13, s2, 0xffff
	s_lshl_b32 s2, s3, 1
	s_add_i32 s19, s14, s4
	s_and_b32 s14, s2, -4
	s_lshl_b64 s[2:3], s[18:19], 1
	buffer_load_b128 v[6:9], v5, s[12:15], 0 offen glc slc
	s_add_u32 s12, s6, s2
	s_addc_u32 s2, s7, s3
	s_mov_b32 s7, s15
	s_and_b32 s13, s2, 0xffff
	s_mov_b32 s4, s8
	buffer_load_b128 v[10:13], v5, s[12:15], 0 offen glc slc
	s_mov_b32 s6, s14
	s_waitcnt vmcnt(1)
	v_lshrrev_b32_e32 v16, 16, v8
	v_and_b32_e32 v18, 0xffff, v8
	v_lshrrev_b32_e32 v15, 16, v7
	v_lshrrev_b32_e32 v19, 16, v9
	s_waitcnt vmcnt(0)
	v_and_b32_e32 v8, 0xffff, v10
	v_lshrrev_b32_e32 v17, 16, v10
	s_delay_alu instid0(VALU_DEP_2) | instskip(SKIP_2) | instid1(VALU_DEP_4)
	v_cvt_f32_u32_e32 v8, v8
	v_and_b32_e32 v14, 0xffff, v6
	v_lshrrev_b32_e32 v6, 16, v6
	v_cvt_f32_u32_e32 v10, v17
	s_delay_alu instid0(VALU_DEP_2) | instskip(NEXT) | instid1(VALU_DEP_1)
	v_cvt_f32_u32_e32 v6, v6
	v_add_f32_e32 v6, v6, v10
	buffer_load_b128 v[1:4], v5, s[4:7], 0 offen
	v_and_b32_e32 v7, 0xffff, v7
	s_clause 0x1
	s_load_b64 s[4:5], s[0:1], 0x48
	s_load_b128 s[0:3], s[0:1], 0x0
	v_mul_f32_e32 v20, v6, v6
	v_cvt_f32_u32_e32 v10, v7
	v_and_b32_e32 v17, 0xffff, v9
	v_cvt_f32_u32_e32 v9, v14
	v_and_b32_e32 v14, 0xffff, v11
	v_lshrrev_b32_e32 v11, 16, v11
	s_delay_alu instid0(VALU_DEP_3) | instskip(NEXT) | instid1(VALU_DEP_3)
	v_add_f32_e32 v7, v9, v8
	v_cvt_f32_u32_e32 v14, v14
	v_cvt_f32_u32_e32 v9, v15
	v_and_b32_e32 v15, 0xffff, v12
	v_cvt_f32_u32_e32 v11, v11
	v_fmac_f32_e32 v20, v7, v7
	v_add_f32_e32 v8, v10, v14
	v_lshrrev_b32_e32 v12, 16, v12
	v_cvt_f32_u32_e32 v14, v15
	v_add_f32_e32 v9, v9, v11
	v_cvt_f32_u32_e32 v10, v18
	v_dual_fmac_f32 v20, v8, v8 :: v_dual_and_b32 v15, 0xffff, v13
	v_cvt_f32_u32_e32 v11, v16
	v_cvt_f32_u32_e32 v12, v12
	s_delay_alu instid0(VALU_DEP_4) | instskip(NEXT) | instid1(VALU_DEP_4)
	v_add_f32_e32 v10, v10, v14
	v_fmac_f32_e32 v20, v9, v9
	v_cvt_f32_u32_e32 v14, v17
	v_lshrrev_b32_e32 v13, 16, v13
	v_cvt_f32_u32_e32 v15, v15
	s_delay_alu instid0(VALU_DEP_4) | instskip(SKIP_1) | instid1(VALU_DEP_4)
	v_dual_add_f32 v11, v11, v12 :: v_dual_fmac_f32 v20, v10, v10
	v_cvt_f32_u32_e32 v16, v19
	v_cvt_f32_u32_e32 v13, v13
	s_delay_alu instid0(VALU_DEP_4)
	v_add_f32_e32 v12, v14, v15
	s_waitcnt lgkmcnt(0)
	s_ashr_i32 s6, s4, 31
	v_fmac_f32_e32 v20, v11, v11
	s_mul_hi_u32 s7, s4, s20
	v_add_f32_e32 v13, v16, v13
	s_mul_i32 s8, s6, s20
	s_mul_i32 s6, s4, s20
	v_fmac_f32_e32 v20, v12, v12
	s_add_i32 s7, s7, s8
	v_perm_b32 v19, v13, v12, 0x7060302
	s_lshl_b64 s[6:7], s[6:7], 1
	v_perm_b32 v18, v11, v10, 0x7060302
	v_fmac_f32_e32 v20, v13, v13
	s_add_u32 s12, s2, s6
	v_perm_b32 v17, v9, v8, 0x7060302
	v_perm_b32 v16, v6, v7, 0x7060302
	s_addc_u32 s2, s3, s7
	v_mov_b32_dpp v14, v20 quad_perm:[1,0,3,2] row_mask:0xf bank_mask:0xf
	s_and_b32 s13, s2, 0xffff
	s_mov_b32 s2, exec_lo
	buffer_store_b128 v[16:19], v5, s[12:15], 0 offen glc slc
	;;#ASMSTART
	s_nop 0
	;;#ASMEND
	v_add_f32_e32 v14, v20, v14
	v_and_b32_e32 v20, 31, v0
	s_delay_alu instid0(VALU_DEP_2) | instskip(NEXT) | instid1(VALU_DEP_1)
	v_mov_b32_dpp v15, v14 quad_perm:[2,3,0,1] row_mask:0xf bank_mask:0xf
	v_add_f32_e32 v14, v14, v15
	s_delay_alu instid0(VALU_DEP_1) | instskip(NEXT) | instid1(VALU_DEP_1)
	v_mov_b32_dpp v15, v14 row_xmask:7 row_mask:0xf bank_mask:0xf
	v_add_f32_e32 v14, v14, v15
	s_delay_alu instid0(VALU_DEP_1)
	v_mov_b32_dpp v15, v14 row_xmask:15 row_mask:0xf bank_mask:0xf
	v_cmpx_eq_u32_e32 31, v20
	s_cbranch_execz .LBB118_3
; %bb.2:
	s_delay_alu instid0(VALU_DEP_2) | instskip(SKIP_2) | instid1(VALU_DEP_2)
	v_add_f32_e32 v14, v14, v15
	s_mov_b32 s3, 0x76543210
	v_lshrrev_b32_e32 v15, 3, v0
	v_permlanex16_b32 v16, v14, s3, 0xfedcba98 op_sel:[1,1]
	s_delay_alu instid0(VALU_DEP_1)
	v_dual_add_f32 v14, v14, v16 :: v_dual_and_b32 v15, 0x7c, v15
	ds_store_b32 v15, v14
.LBB118_3:
	s_or_b32 exec_lo, exec_lo, s2
	v_and_b32_e32 v0, 3, v0
	s_waitcnt vmcnt(0) lgkmcnt(0)
	s_waitcnt_vscnt null, 0x0
	s_barrier
	buffer_gl0_inv
	v_cvt_f32_i32_e32 v15, s17
	v_lshlrev_b32_e32 v0, 2, v0
	s_ashr_i32 s3, s5, 31
	s_mul_hi_u32 s4, s5, s20
	s_mul_i32 s3, s3, s20
	s_mul_i32 s2, s5, s20
	ds_load_b32 v0, v0
	s_add_i32 s3, s4, s3
	s_delay_alu instid0(SALU_CYCLE_1) | instskip(NEXT) | instid1(SALU_CYCLE_1)
	s_lshl_b64 s[2:3], s[2:3], 1
	s_add_u32 s12, s0, s2
	s_addc_u32 s0, s1, s3
	s_delay_alu instid0(SALU_CYCLE_1) | instskip(SKIP_2) | instid1(VALU_DEP_1)
	s_and_b32 s13, s0, 0xffff
	s_waitcnt lgkmcnt(0)
	v_mov_b32_dpp v14, v0 quad_perm:[1,0,3,2] row_mask:0xf bank_mask:0xf
	v_add_f32_e32 v0, v0, v14
	s_delay_alu instid0(VALU_DEP_1) | instskip(NEXT) | instid1(VALU_DEP_1)
	v_mov_b32_dpp v14, v0 quad_perm:[2,3,0,1] row_mask:0xf bank_mask:0xf
	v_add_f32_e32 v0, v0, v14
	s_delay_alu instid0(VALU_DEP_1) | instskip(SKIP_1) | instid1(VALU_DEP_2)
	v_div_scale_f32 v14, null, v15, v15, v0
	v_div_scale_f32 v18, vcc_lo, v0, v15, v0
	v_rcp_f32_e32 v16, v14
	s_waitcnt_depctr 0xfff
	v_fma_f32 v17, -v14, v16, 1.0
	s_delay_alu instid0(VALU_DEP_1) | instskip(NEXT) | instid1(VALU_DEP_1)
	v_fmac_f32_e32 v16, v17, v16
	v_mul_f32_e32 v17, v18, v16
	s_delay_alu instid0(VALU_DEP_1) | instskip(NEXT) | instid1(VALU_DEP_1)
	v_fma_f32 v19, -v14, v17, v18
	v_fmac_f32_e32 v17, v19, v16
	s_delay_alu instid0(VALU_DEP_1) | instskip(NEXT) | instid1(VALU_DEP_1)
	v_fma_f32 v14, -v14, v17, v18
	v_div_fmas_f32 v14, v14, v16, v17
	v_lshrrev_b32_e32 v16, 16, v3
	v_lshrrev_b32_e32 v17, 16, v4
	v_and_b32_e32 v3, 0xffff, v3
	s_delay_alu instid0(VALU_DEP_4) | instskip(NEXT) | instid1(VALU_DEP_4)
	v_div_fixup_f32 v0, v14, v15, v0
	v_cvt_f32_u32_e32 v16, v16
	s_delay_alu instid0(VALU_DEP_4) | instskip(NEXT) | instid1(VALU_DEP_4)
	v_cvt_f32_u32_e32 v17, v17
	v_cvt_f32_u32_e32 v3, v3
	s_delay_alu instid0(VALU_DEP_4) | instskip(NEXT) | instid1(VALU_DEP_1)
	v_cvt_f64_f32_e32 v[14:15], v0
	v_add_f64 v[14:15], v[14:15], s[10:11]
	s_delay_alu instid0(VALU_DEP_1) | instskip(SKIP_1) | instid1(VALU_DEP_1)
	v_cvt_f32_f64_e32 v0, v[14:15]
	v_lshrrev_b32_e32 v15, 16, v2
	v_cvt_f32_u32_e32 v15, v15
	s_delay_alu instid0(VALU_DEP_3) | instskip(SKIP_1) | instid1(VALU_DEP_2)
	v_mul_f32_e32 v14, 0x4b800000, v0
	v_cmp_gt_f32_e32 vcc_lo, 0x800000, v0
	v_cndmask_b32_e32 v0, v0, v14, vcc_lo
	v_lshrrev_b32_e32 v14, 16, v1
	v_and_b32_e32 v1, 0xffff, v1
	s_delay_alu instid0(VALU_DEP_3) | instskip(NEXT) | instid1(VALU_DEP_2)
	v_rsq_f32_e32 v0, v0
	v_cvt_f32_u32_e32 v14, v14
	s_delay_alu instid0(VALU_DEP_2) | instskip(SKIP_2) | instid1(VALU_DEP_1)
	v_cvt_f32_u32_e32 v1, v1
	s_waitcnt_depctr 0xfff
	v_mul_f32_e32 v18, 0x45800000, v0
	v_cndmask_b32_e32 v0, v0, v18, vcc_lo
	v_and_b32_e32 v2, 0xffff, v2
	s_delay_alu instid0(VALU_DEP_2) | instskip(SKIP_1) | instid1(VALU_DEP_2)
	v_dual_mul_f32 v11, v0, v11 :: v_dual_and_b32 v4, 0xffff, v4
	v_mul_f32_e32 v6, v6, v0
	v_cvt_f32_u32_e32 v4, v4
	v_mul_f32_e32 v7, v7, v0
	v_cvt_f32_u32_e32 v2, v2
	v_mul_f32_e32 v8, v0, v8
	v_mul_f32_e32 v9, v0, v9
	;; [unrolled: 1-line block ×6, first 2 shown]
	s_delay_alu instid0(VALU_DEP_4) | instskip(NEXT) | instid1(VALU_DEP_4)
	v_dual_mul_f32 v1, v8, v2 :: v_dual_mul_f32 v2, v10, v3
	v_mul_f32_e32 v3, v12, v4
	s_delay_alu instid0(VALU_DEP_4) | instskip(SKIP_3) | instid1(VALU_DEP_4)
	v_mul_f32_e32 v0, v0, v17
	v_mul_f32_e32 v4, v11, v16
	v_mul_f32_e32 v8, v9, v15
	v_mul_f32_e32 v6, v6, v14
	v_perm_b32 v3, v0, v3, 0x7060302
	s_delay_alu instid0(VALU_DEP_4) | instskip(NEXT) | instid1(VALU_DEP_4)
	v_perm_b32 v2, v4, v2, 0x7060302
	v_perm_b32 v1, v8, v1, 0x7060302
	s_delay_alu instid0(VALU_DEP_4)
	v_perm_b32 v0, v6, v7, 0x7060302
	buffer_store_b128 v[0:3], v5, s[12:15], 0 offen
	;;#ASMSTART
	s_nop 0
	;;#ASMEND
.LBB118_4:
	s_nop 0
	s_sendmsg sendmsg(MSG_DEALLOC_VGPRS)
	s_endpgm
	.section	.rodata,"a",@progbits
	.p2align	6, 0x0
	.amdhsa_kernel _ZN5aiter24add_rmsnorm_quant_kernelIttLi128ELi8ELb1ELb0ELb1ELi1EEEvPT0_PT_PfS4_S4_S4_diiiiiiib
		.amdhsa_group_segment_fixed_size 16
		.amdhsa_private_segment_fixed_size 0
		.amdhsa_kernarg_size 88
		.amdhsa_user_sgpr_count 15
		.amdhsa_user_sgpr_dispatch_ptr 0
		.amdhsa_user_sgpr_queue_ptr 0
		.amdhsa_user_sgpr_kernarg_segment_ptr 1
		.amdhsa_user_sgpr_dispatch_id 0
		.amdhsa_user_sgpr_private_segment_size 0
		.amdhsa_wavefront_size32 1
		.amdhsa_uses_dynamic_stack 0
		.amdhsa_enable_private_segment 0
		.amdhsa_system_sgpr_workgroup_id_x 1
		.amdhsa_system_sgpr_workgroup_id_y 0
		.amdhsa_system_sgpr_workgroup_id_z 0
		.amdhsa_system_sgpr_workgroup_info 0
		.amdhsa_system_vgpr_workitem_id 0
		.amdhsa_next_free_vgpr 21
		.amdhsa_next_free_sgpr 22
		.amdhsa_reserve_vcc 1
		.amdhsa_float_round_mode_32 0
		.amdhsa_float_round_mode_16_64 0
		.amdhsa_float_denorm_mode_32 3
		.amdhsa_float_denorm_mode_16_64 3
		.amdhsa_dx10_clamp 1
		.amdhsa_ieee_mode 1
		.amdhsa_fp16_overflow 0
		.amdhsa_workgroup_processor_mode 1
		.amdhsa_memory_ordered 1
		.amdhsa_forward_progress 0
		.amdhsa_shared_vgpr_count 0
		.amdhsa_exception_fp_ieee_invalid_op 0
		.amdhsa_exception_fp_denorm_src 0
		.amdhsa_exception_fp_ieee_div_zero 0
		.amdhsa_exception_fp_ieee_overflow 0
		.amdhsa_exception_fp_ieee_underflow 0
		.amdhsa_exception_fp_ieee_inexact 0
		.amdhsa_exception_int_div_zero 0
	.end_amdhsa_kernel
	.section	.text._ZN5aiter24add_rmsnorm_quant_kernelIttLi128ELi8ELb1ELb0ELb1ELi1EEEvPT0_PT_PfS4_S4_S4_diiiiiiib,"axG",@progbits,_ZN5aiter24add_rmsnorm_quant_kernelIttLi128ELi8ELb1ELb0ELb1ELi1EEEvPT0_PT_PfS4_S4_S4_diiiiiiib,comdat
.Lfunc_end118:
	.size	_ZN5aiter24add_rmsnorm_quant_kernelIttLi128ELi8ELb1ELb0ELb1ELi1EEEvPT0_PT_PfS4_S4_S4_diiiiiiib, .Lfunc_end118-_ZN5aiter24add_rmsnorm_quant_kernelIttLi128ELi8ELb1ELb0ELb1ELi1EEEvPT0_PT_PfS4_S4_S4_diiiiiiib
                                        ; -- End function
	.section	.AMDGPU.csdata,"",@progbits
; Kernel info:
; codeLenInByte = 1288
; NumSgprs: 24
; NumVgprs: 21
; ScratchSize: 0
; MemoryBound: 0
; FloatMode: 240
; IeeeMode: 1
; LDSByteSize: 16 bytes/workgroup (compile time only)
; SGPRBlocks: 2
; VGPRBlocks: 2
; NumSGPRsForWavesPerEU: 24
; NumVGPRsForWavesPerEU: 21
; Occupancy: 16
; WaveLimiterHint : 0
; COMPUTE_PGM_RSRC2:SCRATCH_EN: 0
; COMPUTE_PGM_RSRC2:USER_SGPR: 15
; COMPUTE_PGM_RSRC2:TRAP_HANDLER: 0
; COMPUTE_PGM_RSRC2:TGID_X_EN: 1
; COMPUTE_PGM_RSRC2:TGID_Y_EN: 0
; COMPUTE_PGM_RSRC2:TGID_Z_EN: 0
; COMPUTE_PGM_RSRC2:TIDIG_COMP_CNT: 0
	.section	.text._ZN5aiter24add_rmsnorm_quant_kernelIDF16_DF16_Li128ELi8ELb1ELb0ELb0ELi1EEEvPT0_PT_PfS4_S4_S4_diiiiiiib,"axG",@progbits,_ZN5aiter24add_rmsnorm_quant_kernelIDF16_DF16_Li128ELi8ELb1ELb0ELb0ELi1EEEvPT0_PT_PfS4_S4_S4_diiiiiiib,comdat
	.protected	_ZN5aiter24add_rmsnorm_quant_kernelIDF16_DF16_Li128ELi8ELb1ELb0ELb0ELi1EEEvPT0_PT_PfS4_S4_S4_diiiiiiib ; -- Begin function _ZN5aiter24add_rmsnorm_quant_kernelIDF16_DF16_Li128ELi8ELb1ELb0ELb0ELi1EEEvPT0_PT_PfS4_S4_S4_diiiiiiib
	.globl	_ZN5aiter24add_rmsnorm_quant_kernelIDF16_DF16_Li128ELi8ELb1ELb0ELb0ELi1EEEvPT0_PT_PfS4_S4_S4_diiiiiiib
	.p2align	8
	.type	_ZN5aiter24add_rmsnorm_quant_kernelIDF16_DF16_Li128ELi8ELb1ELb0ELb0ELi1EEEvPT0_PT_PfS4_S4_S4_diiiiiiib,@function
_ZN5aiter24add_rmsnorm_quant_kernelIDF16_DF16_Li128ELi8ELb1ELb0ELb0ELi1EEEvPT0_PT_PfS4_S4_S4_diiiiiiib: ; @_ZN5aiter24add_rmsnorm_quant_kernelIDF16_DF16_Li128ELi8ELb1ELb0ELb0ELi1EEEvPT0_PT_PfS4_S4_S4_diiiiiiib
; %bb.0:
	s_load_b128 s[16:19], s[0:1], 0x38
	s_mov_b32 s20, s15
	s_mov_b32 s21, 0
	s_waitcnt lgkmcnt(0)
	s_ashr_i32 s3, s16, 31
	s_mov_b32 s2, s16
	s_delay_alu instid0(SALU_CYCLE_1) | instskip(NEXT) | instid1(VALU_DEP_1)
	v_cmp_ge_i64_e64 s2, s[20:21], s[2:3]
	s_and_b32 vcc_lo, exec_lo, s2
	s_cbranch_vccnz .LBB119_4
; %bb.1:
	s_load_b256 s[4:11], s[0:1], 0x18
	s_ashr_i32 s3, s18, 31
	s_mul_hi_u32 s12, s18, s20
	s_mul_i32 s3, s3, s20
	s_mul_i32 s2, s18, s20
	s_add_i32 s3, s12, s3
	s_mul_hi_u32 s14, s19, s20
	s_lshl_b64 s[2:3], s[2:3], 1
	v_lshlrev_b32_e32 v5, 4, v0
	s_mul_i32 s18, s19, s20
	s_mov_b32 s15, -1
	v_and_b32_e32 v20, 31, v0
	s_waitcnt lgkmcnt(0)
	s_add_u32 s12, s4, s2
	s_addc_u32 s2, s5, s3
	s_add_i32 s3, s17, 1
	s_and_b32 s5, s9, 0xffff
	s_ashr_i32 s4, s19, 31
	s_lshr_b32 s9, s3, 31
	s_mul_i32 s4, s4, s20
	s_add_i32 s3, s3, s9
	s_and_b32 s13, s2, 0xffff
	s_lshl_b32 s2, s3, 1
	s_add_i32 s19, s14, s4
	s_and_b32 s14, s2, -4
	s_lshl_b64 s[2:3], s[18:19], 1
	buffer_load_b128 v[8:11], v5, s[12:15], 0 offen glc slc
	s_add_u32 s12, s6, s2
	s_addc_u32 s2, s7, s3
	s_mov_b32 s7, s15
	s_and_b32 s13, s2, 0xffff
	s_mov_b32 s4, s8
	buffer_load_b128 v[12:15], v5, s[12:15], 0 offen glc slc
	s_mov_b32 s6, s14
	s_waitcnt vmcnt(1)
	v_lshrrev_b32_e32 v6, 16, v8
	v_cvt_f32_f16_e32 v8, v8
	v_lshrrev_b32_e32 v16, 16, v9
	v_cvt_f32_f16_e32 v9, v9
	s_delay_alu instid0(VALU_DEP_4)
	v_cvt_f32_f16_e32 v6, v6
	s_waitcnt vmcnt(0)
	v_lshrrev_b32_e32 v7, 16, v12
	v_cvt_f32_f16_e32 v12, v12
	v_lshrrev_b32_e32 v17, 16, v13
	v_cvt_f32_f16_e32 v13, v13
	v_cvt_f32_f16_e32 v16, v16
	;; [unrolled: 1-line block ×3, first 2 shown]
	s_delay_alu instid0(VALU_DEP_4) | instskip(NEXT) | instid1(VALU_DEP_2)
	v_cvt_f32_f16_e32 v17, v17
	v_add_f32_e32 v6, v6, v7
	buffer_load_b128 v[1:4], v5, s[4:7], 0 offen
	v_add_f32_e32 v7, v8, v12
	v_lshrrev_b32_e32 v12, 16, v10
	v_add_f32_e32 v8, v9, v13
	v_mul_f32_e32 v18, v6, v6
	v_cvt_f32_f16_e32 v9, v10
	v_lshrrev_b32_e32 v13, 16, v14
	v_cvt_f32_f16_e32 v14, v14
	v_add_f32_e32 v10, v16, v17
	v_fmac_f32_e32 v18, v7, v7
	v_cvt_f32_f16_e32 v12, v12
	v_cvt_f32_f16_e32 v13, v13
	v_add_f32_e32 v9, v9, v14
	v_cvt_f32_f16_e32 v14, v11
	v_lshrrev_b32_e32 v17, 16, v15
	v_cvt_f32_f16_e32 v15, v15
	v_lshrrev_b32_e32 v16, 16, v11
	v_add_f32_e32 v11, v12, v13
	s_clause 0x1
	s_load_b64 s[4:5], s[0:1], 0x48
	s_load_b128 s[0:3], s[0:1], 0x0
	v_dual_add_f32 v13, v14, v15 :: v_dual_fmac_f32 v18, v8, v8
	v_cvt_f32_f16_e32 v12, v16
	v_cvt_f32_f16_e32 v16, v17
	v_cvt_f16_f32_e32 v17, v9
	v_cvt_f16_f32_e32 v23, v10
	v_fmac_f32_e32 v18, v10, v10
	v_cvt_f16_f32_e32 v24, v6
	v_add_f32_e32 v12, v12, v16
	v_cvt_f16_f32_e32 v16, v8
	s_delay_alu instid0(VALU_DEP_4) | instskip(NEXT) | instid1(VALU_DEP_3)
	v_fmac_f32_e32 v18, v9, v9
	v_cvt_f16_f32_e32 v21, v12
	s_delay_alu instid0(VALU_DEP_2)
	v_fmac_f32_e32 v18, v11, v11
	s_waitcnt lgkmcnt(0)
	s_ashr_i32 s6, s4, 31
	s_mul_hi_u32 s7, s4, s20
	s_mul_i32 s8, s6, s20
	v_fmac_f32_e32 v18, v13, v13
	s_mul_i32 s6, s4, s20
	s_add_i32 s7, s7, s8
	s_delay_alu instid0(SALU_CYCLE_1) | instskip(NEXT) | instid1(VALU_DEP_1)
	s_lshl_b64 s[6:7], s[6:7], 1
	v_fmac_f32_e32 v18, v12, v12
	s_add_u32 s12, s2, s6
	s_addc_u32 s2, s3, s7
	s_delay_alu instid0(SALU_CYCLE_1) | instskip(NEXT) | instid1(VALU_DEP_1)
	s_and_b32 s13, s2, 0xffff
	v_mov_b32_dpp v14, v18 quad_perm:[1,0,3,2] row_mask:0xf bank_mask:0xf
	s_mov_b32 s2, exec_lo
	s_delay_alu instid0(VALU_DEP_1) | instskip(SKIP_2) | instid1(VALU_DEP_3)
	v_add_f32_e32 v14, v18, v14
	v_cvt_f16_f32_e32 v18, v13
	v_cvt_f16_f32_e32 v22, v11
	v_mov_b32_dpp v15, v14 quad_perm:[2,3,0,1] row_mask:0xf bank_mask:0xf
	s_delay_alu instid0(VALU_DEP_1) | instskip(SKIP_1) | instid1(VALU_DEP_2)
	v_add_f32_e32 v14, v14, v15
	v_cvt_f16_f32_e32 v15, v7
	v_mov_b32_dpp v19, v14 row_xmask:7 row_mask:0xf bank_mask:0xf
	s_delay_alu instid0(VALU_DEP_1)
	v_add_f32_e32 v14, v14, v19
	v_pack_b32_f16 v19, v18, v21
	v_pack_b32_f16 v18, v17, v22
	;; [unrolled: 1-line block ×4, first 2 shown]
	v_mov_b32_dpp v15, v14 row_xmask:15 row_mask:0xf bank_mask:0xf
	buffer_store_b128 v[16:19], v5, s[12:15], 0 offen glc slc
	;;#ASMSTART
	s_nop 0
	;;#ASMEND
	v_cmpx_eq_u32_e32 31, v20
	s_cbranch_execz .LBB119_3
; %bb.2:
	v_add_f32_e32 v14, v14, v15
	s_mov_b32 s3, 0x76543210
	v_lshrrev_b32_e32 v15, 3, v0
	s_delay_alu instid0(VALU_DEP_2) | instskip(NEXT) | instid1(VALU_DEP_1)
	v_permlanex16_b32 v16, v14, s3, 0xfedcba98 op_sel:[1,1]
	v_dual_add_f32 v14, v14, v16 :: v_dual_and_b32 v15, 0x7c, v15
	ds_store_b32 v15, v14
.LBB119_3:
	s_or_b32 exec_lo, exec_lo, s2
	v_and_b32_e32 v0, 3, v0
	s_waitcnt vmcnt(0) lgkmcnt(0)
	s_waitcnt_vscnt null, 0x0
	s_barrier
	buffer_gl0_inv
	v_cvt_f32_i32_e32 v15, s17
	v_lshlrev_b32_e32 v0, 2, v0
	s_ashr_i32 s2, s5, 31
	s_mul_hi_u32 s3, s5, s20
	s_mul_i32 s4, s2, s20
	s_mul_i32 s2, s5, s20
	ds_load_b32 v0, v0
	s_add_i32 s3, s3, s4
	s_delay_alu instid0(SALU_CYCLE_1) | instskip(NEXT) | instid1(SALU_CYCLE_1)
	s_lshl_b64 s[2:3], s[2:3], 1
	s_add_u32 s12, s0, s2
	s_addc_u32 s0, s1, s3
	s_delay_alu instid0(SALU_CYCLE_1) | instskip(SKIP_2) | instid1(VALU_DEP_1)
	s_and_b32 s13, s0, 0xffff
	s_waitcnt lgkmcnt(0)
	v_mov_b32_dpp v14, v0 quad_perm:[1,0,3,2] row_mask:0xf bank_mask:0xf
	v_add_f32_e32 v0, v0, v14
	s_delay_alu instid0(VALU_DEP_1) | instskip(NEXT) | instid1(VALU_DEP_1)
	v_mov_b32_dpp v14, v0 quad_perm:[2,3,0,1] row_mask:0xf bank_mask:0xf
	v_add_f32_e32 v0, v0, v14
	s_delay_alu instid0(VALU_DEP_1) | instskip(SKIP_1) | instid1(VALU_DEP_2)
	v_div_scale_f32 v14, null, v15, v15, v0
	v_div_scale_f32 v18, vcc_lo, v0, v15, v0
	v_rcp_f32_e32 v16, v14
	s_waitcnt_depctr 0xfff
	v_fma_f32 v17, -v14, v16, 1.0
	s_delay_alu instid0(VALU_DEP_1) | instskip(NEXT) | instid1(VALU_DEP_1)
	v_fmac_f32_e32 v16, v17, v16
	v_mul_f32_e32 v17, v18, v16
	s_delay_alu instid0(VALU_DEP_1) | instskip(NEXT) | instid1(VALU_DEP_1)
	v_fma_f32 v19, -v14, v17, v18
	v_fmac_f32_e32 v17, v19, v16
	s_delay_alu instid0(VALU_DEP_1) | instskip(NEXT) | instid1(VALU_DEP_1)
	v_fma_f32 v14, -v14, v17, v18
	v_div_fmas_f32 v14, v14, v16, v17
	s_delay_alu instid0(VALU_DEP_1) | instskip(NEXT) | instid1(VALU_DEP_1)
	v_div_fixup_f32 v0, v14, v15, v0
	v_cvt_f64_f32_e32 v[14:15], v0
	s_delay_alu instid0(VALU_DEP_1) | instskip(NEXT) | instid1(VALU_DEP_1)
	v_add_f64 v[14:15], v[14:15], s[10:11]
	v_cvt_f32_f64_e32 v0, v[14:15]
	s_delay_alu instid0(VALU_DEP_1) | instskip(SKIP_1) | instid1(VALU_DEP_2)
	v_mul_f32_e32 v14, 0x4b800000, v0
	v_cmp_gt_f32_e32 vcc_lo, 0x800000, v0
	v_cndmask_b32_e32 v0, v0, v14, vcc_lo
	s_delay_alu instid0(VALU_DEP_1) | instskip(SKIP_2) | instid1(VALU_DEP_1)
	v_rsq_f32_e32 v0, v0
	s_waitcnt_depctr 0xfff
	v_mul_f32_e32 v14, 0x45800000, v0
	v_cndmask_b32_e32 v0, v0, v14, vcc_lo
	s_delay_alu instid0(VALU_DEP_1)
	v_mul_f32_e32 v14, v6, v0
	v_mul_f32_e32 v6, v7, v0
	;; [unrolled: 1-line block ×8, first 2 shown]
	v_fma_mixlo_f16 v9, v7, v4, 0 op_sel_hi:[0,1,0]
	v_fma_mixlo_f16 v8, v13, v3, 0 op_sel_hi:[0,1,0]
	;; [unrolled: 1-line block ×4, first 2 shown]
	s_delay_alu instid0(VALU_DEP_4) | instskip(NEXT) | instid1(VALU_DEP_4)
	v_fma_mixhi_f16 v9, v0, v4, 0 op_sel:[0,1,0] op_sel_hi:[0,1,0]
	v_fma_mixhi_f16 v8, v11, v3, 0 op_sel:[0,1,0] op_sel_hi:[0,1,0]
	s_delay_alu instid0(VALU_DEP_4) | instskip(NEXT) | instid1(VALU_DEP_4)
	v_fma_mixhi_f16 v7, v10, v2, 0 op_sel:[0,1,0] op_sel_hi:[0,1,0]
	v_fma_mixhi_f16 v6, v14, v1, 0 op_sel:[0,1,0] op_sel_hi:[0,1,0]
	buffer_store_b128 v[6:9], v5, s[12:15], 0 offen
	;;#ASMSTART
	s_nop 0
	;;#ASMEND
.LBB119_4:
	s_nop 0
	s_sendmsg sendmsg(MSG_DEALLOC_VGPRS)
	s_endpgm
	.section	.rodata,"a",@progbits
	.p2align	6, 0x0
	.amdhsa_kernel _ZN5aiter24add_rmsnorm_quant_kernelIDF16_DF16_Li128ELi8ELb1ELb0ELb0ELi1EEEvPT0_PT_PfS4_S4_S4_diiiiiiib
		.amdhsa_group_segment_fixed_size 16
		.amdhsa_private_segment_fixed_size 0
		.amdhsa_kernarg_size 88
		.amdhsa_user_sgpr_count 15
		.amdhsa_user_sgpr_dispatch_ptr 0
		.amdhsa_user_sgpr_queue_ptr 0
		.amdhsa_user_sgpr_kernarg_segment_ptr 1
		.amdhsa_user_sgpr_dispatch_id 0
		.amdhsa_user_sgpr_private_segment_size 0
		.amdhsa_wavefront_size32 1
		.amdhsa_uses_dynamic_stack 0
		.amdhsa_enable_private_segment 0
		.amdhsa_system_sgpr_workgroup_id_x 1
		.amdhsa_system_sgpr_workgroup_id_y 0
		.amdhsa_system_sgpr_workgroup_id_z 0
		.amdhsa_system_sgpr_workgroup_info 0
		.amdhsa_system_vgpr_workitem_id 0
		.amdhsa_next_free_vgpr 25
		.amdhsa_next_free_sgpr 22
		.amdhsa_reserve_vcc 1
		.amdhsa_float_round_mode_32 0
		.amdhsa_float_round_mode_16_64 0
		.amdhsa_float_denorm_mode_32 3
		.amdhsa_float_denorm_mode_16_64 3
		.amdhsa_dx10_clamp 1
		.amdhsa_ieee_mode 1
		.amdhsa_fp16_overflow 0
		.amdhsa_workgroup_processor_mode 1
		.amdhsa_memory_ordered 1
		.amdhsa_forward_progress 0
		.amdhsa_shared_vgpr_count 0
		.amdhsa_exception_fp_ieee_invalid_op 0
		.amdhsa_exception_fp_denorm_src 0
		.amdhsa_exception_fp_ieee_div_zero 0
		.amdhsa_exception_fp_ieee_overflow 0
		.amdhsa_exception_fp_ieee_underflow 0
		.amdhsa_exception_fp_ieee_inexact 0
		.amdhsa_exception_int_div_zero 0
	.end_amdhsa_kernel
	.section	.text._ZN5aiter24add_rmsnorm_quant_kernelIDF16_DF16_Li128ELi8ELb1ELb0ELb0ELi1EEEvPT0_PT_PfS4_S4_S4_diiiiiiib,"axG",@progbits,_ZN5aiter24add_rmsnorm_quant_kernelIDF16_DF16_Li128ELi8ELb1ELb0ELb0ELi1EEEvPT0_PT_PfS4_S4_S4_diiiiiiib,comdat
.Lfunc_end119:
	.size	_ZN5aiter24add_rmsnorm_quant_kernelIDF16_DF16_Li128ELi8ELb1ELb0ELb0ELi1EEEvPT0_PT_PfS4_S4_S4_diiiiiiib, .Lfunc_end119-_ZN5aiter24add_rmsnorm_quant_kernelIDF16_DF16_Li128ELi8ELb1ELb0ELb0ELi1EEEvPT0_PT_PfS4_S4_S4_diiiiiiib
                                        ; -- End function
	.section	.AMDGPU.csdata,"",@progbits
; Kernel info:
; codeLenInByte = 1120
; NumSgprs: 24
; NumVgprs: 25
; ScratchSize: 0
; MemoryBound: 0
; FloatMode: 240
; IeeeMode: 1
; LDSByteSize: 16 bytes/workgroup (compile time only)
; SGPRBlocks: 2
; VGPRBlocks: 3
; NumSGPRsForWavesPerEU: 24
; NumVGPRsForWavesPerEU: 25
; Occupancy: 16
; WaveLimiterHint : 0
; COMPUTE_PGM_RSRC2:SCRATCH_EN: 0
; COMPUTE_PGM_RSRC2:USER_SGPR: 15
; COMPUTE_PGM_RSRC2:TRAP_HANDLER: 0
; COMPUTE_PGM_RSRC2:TGID_X_EN: 1
; COMPUTE_PGM_RSRC2:TGID_Y_EN: 0
; COMPUTE_PGM_RSRC2:TGID_Z_EN: 0
; COMPUTE_PGM_RSRC2:TIDIG_COMP_CNT: 0
	.section	.text._ZN5aiter24add_rmsnorm_quant_kernelIttLi128ELi8ELb1ELb0ELb0ELi1EEEvPT0_PT_PfS4_S4_S4_diiiiiiib,"axG",@progbits,_ZN5aiter24add_rmsnorm_quant_kernelIttLi128ELi8ELb1ELb0ELb0ELi1EEEvPT0_PT_PfS4_S4_S4_diiiiiiib,comdat
	.protected	_ZN5aiter24add_rmsnorm_quant_kernelIttLi128ELi8ELb1ELb0ELb0ELi1EEEvPT0_PT_PfS4_S4_S4_diiiiiiib ; -- Begin function _ZN5aiter24add_rmsnorm_quant_kernelIttLi128ELi8ELb1ELb0ELb0ELi1EEEvPT0_PT_PfS4_S4_S4_diiiiiiib
	.globl	_ZN5aiter24add_rmsnorm_quant_kernelIttLi128ELi8ELb1ELb0ELb0ELi1EEEvPT0_PT_PfS4_S4_S4_diiiiiiib
	.p2align	8
	.type	_ZN5aiter24add_rmsnorm_quant_kernelIttLi128ELi8ELb1ELb0ELb0ELi1EEEvPT0_PT_PfS4_S4_S4_diiiiiiib,@function
_ZN5aiter24add_rmsnorm_quant_kernelIttLi128ELi8ELb1ELb0ELb0ELi1EEEvPT0_PT_PfS4_S4_S4_diiiiiiib: ; @_ZN5aiter24add_rmsnorm_quant_kernelIttLi128ELi8ELb1ELb0ELb0ELi1EEEvPT0_PT_PfS4_S4_S4_diiiiiiib
; %bb.0:
	s_load_b128 s[16:19], s[0:1], 0x38
	s_mov_b32 s20, s15
	s_mov_b32 s21, 0
	s_waitcnt lgkmcnt(0)
	s_ashr_i32 s3, s16, 31
	s_mov_b32 s2, s16
	s_delay_alu instid0(SALU_CYCLE_1) | instskip(NEXT) | instid1(VALU_DEP_1)
	v_cmp_ge_i64_e64 s2, s[20:21], s[2:3]
	s_and_b32 vcc_lo, exec_lo, s2
	s_cbranch_vccnz .LBB120_4
; %bb.1:
	s_load_b256 s[4:11], s[0:1], 0x18
	s_ashr_i32 s3, s18, 31
	s_mul_hi_u32 s12, s18, s20
	s_mul_i32 s3, s3, s20
	s_mul_i32 s2, s18, s20
	s_add_i32 s3, s12, s3
	s_mul_hi_u32 s14, s19, s20
	s_lshl_b64 s[2:3], s[2:3], 1
	v_lshlrev_b32_e32 v5, 4, v0
	s_mul_i32 s18, s19, s20
	s_mov_b32 s15, -1
	s_waitcnt lgkmcnt(0)
	s_add_u32 s12, s4, s2
	s_addc_u32 s2, s5, s3
	s_add_i32 s3, s17, 1
	s_and_b32 s5, s9, 0xffff
	s_ashr_i32 s4, s19, 31
	s_lshr_b32 s9, s3, 31
	s_mul_i32 s4, s4, s20
	s_add_i32 s3, s3, s9
	s_and_b32 s13, s2, 0xffff
	s_lshl_b32 s2, s3, 1
	s_add_i32 s19, s14, s4
	s_and_b32 s14, s2, -4
	s_lshl_b64 s[2:3], s[18:19], 1
	buffer_load_b128 v[6:9], v5, s[12:15], 0 offen glc slc
	s_add_u32 s12, s6, s2
	s_addc_u32 s2, s7, s3
	s_mov_b32 s7, s15
	s_and_b32 s13, s2, 0xffff
	s_mov_b32 s4, s8
	buffer_load_b128 v[10:13], v5, s[12:15], 0 offen glc slc
	s_mov_b32 s6, s14
	s_waitcnt vmcnt(1)
	v_lshrrev_b32_e32 v16, 16, v8
	v_and_b32_e32 v18, 0xffff, v8
	v_lshrrev_b32_e32 v15, 16, v7
	v_lshrrev_b32_e32 v19, 16, v9
	s_waitcnt vmcnt(0)
	v_and_b32_e32 v8, 0xffff, v10
	v_lshrrev_b32_e32 v17, 16, v10
	s_delay_alu instid0(VALU_DEP_2) | instskip(SKIP_2) | instid1(VALU_DEP_4)
	v_cvt_f32_u32_e32 v8, v8
	v_and_b32_e32 v14, 0xffff, v6
	v_lshrrev_b32_e32 v6, 16, v6
	v_cvt_f32_u32_e32 v10, v17
	s_delay_alu instid0(VALU_DEP_2) | instskip(NEXT) | instid1(VALU_DEP_1)
	v_cvt_f32_u32_e32 v6, v6
	v_add_f32_e32 v6, v6, v10
	buffer_load_b128 v[1:4], v5, s[4:7], 0 offen
	v_and_b32_e32 v7, 0xffff, v7
	s_clause 0x1
	s_load_b64 s[4:5], s[0:1], 0x48
	s_load_b128 s[0:3], s[0:1], 0x0
	v_mul_f32_e32 v20, v6, v6
	v_cvt_f32_u32_e32 v10, v7
	v_and_b32_e32 v17, 0xffff, v9
	v_cvt_f32_u32_e32 v9, v14
	v_and_b32_e32 v14, 0xffff, v11
	v_lshrrev_b32_e32 v11, 16, v11
	s_delay_alu instid0(VALU_DEP_3) | instskip(NEXT) | instid1(VALU_DEP_3)
	v_add_f32_e32 v7, v9, v8
	v_cvt_f32_u32_e32 v14, v14
	v_cvt_f32_u32_e32 v9, v15
	v_and_b32_e32 v15, 0xffff, v12
	v_cvt_f32_u32_e32 v11, v11
	v_fmac_f32_e32 v20, v7, v7
	v_add_f32_e32 v8, v10, v14
	v_lshrrev_b32_e32 v12, 16, v12
	v_cvt_f32_u32_e32 v14, v15
	v_add_f32_e32 v9, v9, v11
	v_cvt_f32_u32_e32 v10, v18
	v_dual_fmac_f32 v20, v8, v8 :: v_dual_and_b32 v15, 0xffff, v13
	v_cvt_f32_u32_e32 v11, v16
	v_cvt_f32_u32_e32 v12, v12
	s_delay_alu instid0(VALU_DEP_4) | instskip(NEXT) | instid1(VALU_DEP_4)
	v_add_f32_e32 v10, v10, v14
	v_fmac_f32_e32 v20, v9, v9
	v_cvt_f32_u32_e32 v14, v17
	v_lshrrev_b32_e32 v13, 16, v13
	v_cvt_f32_u32_e32 v15, v15
	s_delay_alu instid0(VALU_DEP_4) | instskip(SKIP_1) | instid1(VALU_DEP_4)
	v_dual_add_f32 v11, v11, v12 :: v_dual_fmac_f32 v20, v10, v10
	v_cvt_f32_u32_e32 v16, v19
	v_cvt_f32_u32_e32 v13, v13
	s_delay_alu instid0(VALU_DEP_4)
	v_add_f32_e32 v12, v14, v15
	s_waitcnt lgkmcnt(0)
	s_ashr_i32 s6, s4, 31
	v_fmac_f32_e32 v20, v11, v11
	s_mul_hi_u32 s7, s4, s20
	v_add_f32_e32 v13, v16, v13
	s_mul_i32 s8, s6, s20
	s_mul_i32 s6, s4, s20
	v_fmac_f32_e32 v20, v12, v12
	s_add_i32 s7, s7, s8
	v_perm_b32 v19, v13, v12, 0x7060302
	s_lshl_b64 s[6:7], s[6:7], 1
	v_perm_b32 v18, v11, v10, 0x7060302
	v_fmac_f32_e32 v20, v13, v13
	s_add_u32 s12, s2, s6
	v_perm_b32 v17, v9, v8, 0x7060302
	v_perm_b32 v16, v6, v7, 0x7060302
	s_addc_u32 s2, s3, s7
	v_mov_b32_dpp v14, v20 quad_perm:[1,0,3,2] row_mask:0xf bank_mask:0xf
	s_and_b32 s13, s2, 0xffff
	s_mov_b32 s2, exec_lo
	buffer_store_b128 v[16:19], v5, s[12:15], 0 offen glc slc
	;;#ASMSTART
	s_nop 0
	;;#ASMEND
	v_add_f32_e32 v14, v20, v14
	v_and_b32_e32 v20, 31, v0
	s_delay_alu instid0(VALU_DEP_2) | instskip(NEXT) | instid1(VALU_DEP_1)
	v_mov_b32_dpp v15, v14 quad_perm:[2,3,0,1] row_mask:0xf bank_mask:0xf
	v_add_f32_e32 v14, v14, v15
	s_delay_alu instid0(VALU_DEP_1) | instskip(NEXT) | instid1(VALU_DEP_1)
	v_mov_b32_dpp v15, v14 row_xmask:7 row_mask:0xf bank_mask:0xf
	v_add_f32_e32 v14, v14, v15
	s_delay_alu instid0(VALU_DEP_1)
	v_mov_b32_dpp v15, v14 row_xmask:15 row_mask:0xf bank_mask:0xf
	v_cmpx_eq_u32_e32 31, v20
	s_cbranch_execz .LBB120_3
; %bb.2:
	s_delay_alu instid0(VALU_DEP_2) | instskip(SKIP_2) | instid1(VALU_DEP_2)
	v_add_f32_e32 v14, v14, v15
	s_mov_b32 s3, 0x76543210
	v_lshrrev_b32_e32 v15, 3, v0
	v_permlanex16_b32 v16, v14, s3, 0xfedcba98 op_sel:[1,1]
	s_delay_alu instid0(VALU_DEP_1)
	v_dual_add_f32 v14, v14, v16 :: v_dual_and_b32 v15, 0x7c, v15
	ds_store_b32 v15, v14
.LBB120_3:
	s_or_b32 exec_lo, exec_lo, s2
	v_and_b32_e32 v0, 3, v0
	s_waitcnt vmcnt(0) lgkmcnt(0)
	s_waitcnt_vscnt null, 0x0
	s_barrier
	buffer_gl0_inv
	v_cvt_f32_i32_e32 v15, s17
	v_lshlrev_b32_e32 v0, 2, v0
	s_ashr_i32 s3, s5, 31
	s_mul_hi_u32 s4, s5, s20
	s_mul_i32 s3, s3, s20
	s_mul_i32 s2, s5, s20
	ds_load_b32 v0, v0
	s_add_i32 s3, s4, s3
	s_delay_alu instid0(SALU_CYCLE_1) | instskip(NEXT) | instid1(SALU_CYCLE_1)
	s_lshl_b64 s[2:3], s[2:3], 1
	s_add_u32 s12, s0, s2
	s_addc_u32 s0, s1, s3
	s_delay_alu instid0(SALU_CYCLE_1) | instskip(SKIP_2) | instid1(VALU_DEP_1)
	s_and_b32 s13, s0, 0xffff
	s_waitcnt lgkmcnt(0)
	v_mov_b32_dpp v14, v0 quad_perm:[1,0,3,2] row_mask:0xf bank_mask:0xf
	v_add_f32_e32 v0, v0, v14
	s_delay_alu instid0(VALU_DEP_1) | instskip(NEXT) | instid1(VALU_DEP_1)
	v_mov_b32_dpp v14, v0 quad_perm:[2,3,0,1] row_mask:0xf bank_mask:0xf
	v_add_f32_e32 v0, v0, v14
	s_delay_alu instid0(VALU_DEP_1) | instskip(SKIP_1) | instid1(VALU_DEP_2)
	v_div_scale_f32 v14, null, v15, v15, v0
	v_div_scale_f32 v18, vcc_lo, v0, v15, v0
	v_rcp_f32_e32 v16, v14
	s_waitcnt_depctr 0xfff
	v_fma_f32 v17, -v14, v16, 1.0
	s_delay_alu instid0(VALU_DEP_1) | instskip(NEXT) | instid1(VALU_DEP_1)
	v_fmac_f32_e32 v16, v17, v16
	v_mul_f32_e32 v17, v18, v16
	s_delay_alu instid0(VALU_DEP_1) | instskip(NEXT) | instid1(VALU_DEP_1)
	v_fma_f32 v19, -v14, v17, v18
	v_fmac_f32_e32 v17, v19, v16
	s_delay_alu instid0(VALU_DEP_1) | instskip(NEXT) | instid1(VALU_DEP_1)
	v_fma_f32 v14, -v14, v17, v18
	v_div_fmas_f32 v14, v14, v16, v17
	v_lshrrev_b32_e32 v16, 16, v3
	v_lshrrev_b32_e32 v17, 16, v4
	v_and_b32_e32 v3, 0xffff, v3
	s_delay_alu instid0(VALU_DEP_4) | instskip(NEXT) | instid1(VALU_DEP_4)
	v_div_fixup_f32 v0, v14, v15, v0
	v_cvt_f32_u32_e32 v16, v16
	s_delay_alu instid0(VALU_DEP_4) | instskip(NEXT) | instid1(VALU_DEP_4)
	v_cvt_f32_u32_e32 v17, v17
	v_cvt_f32_u32_e32 v3, v3
	s_delay_alu instid0(VALU_DEP_4) | instskip(NEXT) | instid1(VALU_DEP_1)
	v_cvt_f64_f32_e32 v[14:15], v0
	v_add_f64 v[14:15], v[14:15], s[10:11]
	s_delay_alu instid0(VALU_DEP_1) | instskip(SKIP_1) | instid1(VALU_DEP_1)
	v_cvt_f32_f64_e32 v0, v[14:15]
	v_lshrrev_b32_e32 v15, 16, v2
	v_cvt_f32_u32_e32 v15, v15
	s_delay_alu instid0(VALU_DEP_3) | instskip(SKIP_1) | instid1(VALU_DEP_2)
	v_mul_f32_e32 v14, 0x4b800000, v0
	v_cmp_gt_f32_e32 vcc_lo, 0x800000, v0
	v_cndmask_b32_e32 v0, v0, v14, vcc_lo
	v_lshrrev_b32_e32 v14, 16, v1
	v_and_b32_e32 v1, 0xffff, v1
	s_delay_alu instid0(VALU_DEP_3) | instskip(NEXT) | instid1(VALU_DEP_2)
	v_rsq_f32_e32 v0, v0
	v_cvt_f32_u32_e32 v14, v14
	s_delay_alu instid0(VALU_DEP_2) | instskip(SKIP_2) | instid1(VALU_DEP_1)
	v_cvt_f32_u32_e32 v1, v1
	s_waitcnt_depctr 0xfff
	v_mul_f32_e32 v18, 0x45800000, v0
	v_cndmask_b32_e32 v0, v0, v18, vcc_lo
	v_and_b32_e32 v2, 0xffff, v2
	s_delay_alu instid0(VALU_DEP_2) | instskip(SKIP_1) | instid1(VALU_DEP_2)
	v_dual_mul_f32 v11, v0, v11 :: v_dual_and_b32 v4, 0xffff, v4
	v_mul_f32_e32 v6, v6, v0
	v_cvt_f32_u32_e32 v4, v4
	v_mul_f32_e32 v7, v7, v0
	v_cvt_f32_u32_e32 v2, v2
	v_mul_f32_e32 v8, v0, v8
	v_mul_f32_e32 v9, v0, v9
	v_mul_f32_e32 v10, v0, v10
	v_mul_f32_e32 v12, v0, v12
	v_mul_f32_e32 v0, v0, v13
	v_mul_f32_e32 v7, v7, v1
	s_delay_alu instid0(VALU_DEP_4) | instskip(NEXT) | instid1(VALU_DEP_4)
	v_dual_mul_f32 v1, v8, v2 :: v_dual_mul_f32 v2, v10, v3
	v_mul_f32_e32 v3, v12, v4
	s_delay_alu instid0(VALU_DEP_4) | instskip(SKIP_3) | instid1(VALU_DEP_4)
	v_mul_f32_e32 v0, v0, v17
	v_mul_f32_e32 v4, v11, v16
	;; [unrolled: 1-line block ×4, first 2 shown]
	v_perm_b32 v3, v0, v3, 0x7060302
	s_delay_alu instid0(VALU_DEP_4) | instskip(NEXT) | instid1(VALU_DEP_4)
	v_perm_b32 v2, v4, v2, 0x7060302
	v_perm_b32 v1, v8, v1, 0x7060302
	s_delay_alu instid0(VALU_DEP_4)
	v_perm_b32 v0, v6, v7, 0x7060302
	buffer_store_b128 v[0:3], v5, s[12:15], 0 offen
	;;#ASMSTART
	s_nop 0
	;;#ASMEND
.LBB120_4:
	s_nop 0
	s_sendmsg sendmsg(MSG_DEALLOC_VGPRS)
	s_endpgm
	.section	.rodata,"a",@progbits
	.p2align	6, 0x0
	.amdhsa_kernel _ZN5aiter24add_rmsnorm_quant_kernelIttLi128ELi8ELb1ELb0ELb0ELi1EEEvPT0_PT_PfS4_S4_S4_diiiiiiib
		.amdhsa_group_segment_fixed_size 16
		.amdhsa_private_segment_fixed_size 0
		.amdhsa_kernarg_size 88
		.amdhsa_user_sgpr_count 15
		.amdhsa_user_sgpr_dispatch_ptr 0
		.amdhsa_user_sgpr_queue_ptr 0
		.amdhsa_user_sgpr_kernarg_segment_ptr 1
		.amdhsa_user_sgpr_dispatch_id 0
		.amdhsa_user_sgpr_private_segment_size 0
		.amdhsa_wavefront_size32 1
		.amdhsa_uses_dynamic_stack 0
		.amdhsa_enable_private_segment 0
		.amdhsa_system_sgpr_workgroup_id_x 1
		.amdhsa_system_sgpr_workgroup_id_y 0
		.amdhsa_system_sgpr_workgroup_id_z 0
		.amdhsa_system_sgpr_workgroup_info 0
		.amdhsa_system_vgpr_workitem_id 0
		.amdhsa_next_free_vgpr 21
		.amdhsa_next_free_sgpr 22
		.amdhsa_reserve_vcc 1
		.amdhsa_float_round_mode_32 0
		.amdhsa_float_round_mode_16_64 0
		.amdhsa_float_denorm_mode_32 3
		.amdhsa_float_denorm_mode_16_64 3
		.amdhsa_dx10_clamp 1
		.amdhsa_ieee_mode 1
		.amdhsa_fp16_overflow 0
		.amdhsa_workgroup_processor_mode 1
		.amdhsa_memory_ordered 1
		.amdhsa_forward_progress 0
		.amdhsa_shared_vgpr_count 0
		.amdhsa_exception_fp_ieee_invalid_op 0
		.amdhsa_exception_fp_denorm_src 0
		.amdhsa_exception_fp_ieee_div_zero 0
		.amdhsa_exception_fp_ieee_overflow 0
		.amdhsa_exception_fp_ieee_underflow 0
		.amdhsa_exception_fp_ieee_inexact 0
		.amdhsa_exception_int_div_zero 0
	.end_amdhsa_kernel
	.section	.text._ZN5aiter24add_rmsnorm_quant_kernelIttLi128ELi8ELb1ELb0ELb0ELi1EEEvPT0_PT_PfS4_S4_S4_diiiiiiib,"axG",@progbits,_ZN5aiter24add_rmsnorm_quant_kernelIttLi128ELi8ELb1ELb0ELb0ELi1EEEvPT0_PT_PfS4_S4_S4_diiiiiiib,comdat
.Lfunc_end120:
	.size	_ZN5aiter24add_rmsnorm_quant_kernelIttLi128ELi8ELb1ELb0ELb0ELi1EEEvPT0_PT_PfS4_S4_S4_diiiiiiib, .Lfunc_end120-_ZN5aiter24add_rmsnorm_quant_kernelIttLi128ELi8ELb1ELb0ELb0ELi1EEEvPT0_PT_PfS4_S4_S4_diiiiiiib
                                        ; -- End function
	.section	.AMDGPU.csdata,"",@progbits
; Kernel info:
; codeLenInByte = 1288
; NumSgprs: 24
; NumVgprs: 21
; ScratchSize: 0
; MemoryBound: 0
; FloatMode: 240
; IeeeMode: 1
; LDSByteSize: 16 bytes/workgroup (compile time only)
; SGPRBlocks: 2
; VGPRBlocks: 2
; NumSGPRsForWavesPerEU: 24
; NumVGPRsForWavesPerEU: 21
; Occupancy: 16
; WaveLimiterHint : 0
; COMPUTE_PGM_RSRC2:SCRATCH_EN: 0
; COMPUTE_PGM_RSRC2:USER_SGPR: 15
; COMPUTE_PGM_RSRC2:TRAP_HANDLER: 0
; COMPUTE_PGM_RSRC2:TGID_X_EN: 1
; COMPUTE_PGM_RSRC2:TGID_Y_EN: 0
; COMPUTE_PGM_RSRC2:TGID_Z_EN: 0
; COMPUTE_PGM_RSRC2:TIDIG_COMP_CNT: 0
	.section	.text._ZN5aiter24add_rmsnorm_quant_kernelIDF16_DF16_Li256ELi8ELb1ELb0ELb1ELi1EEEvPT0_PT_PfS4_S4_S4_diiiiiiib,"axG",@progbits,_ZN5aiter24add_rmsnorm_quant_kernelIDF16_DF16_Li256ELi8ELb1ELb0ELb1ELi1EEEvPT0_PT_PfS4_S4_S4_diiiiiiib,comdat
	.protected	_ZN5aiter24add_rmsnorm_quant_kernelIDF16_DF16_Li256ELi8ELb1ELb0ELb1ELi1EEEvPT0_PT_PfS4_S4_S4_diiiiiiib ; -- Begin function _ZN5aiter24add_rmsnorm_quant_kernelIDF16_DF16_Li256ELi8ELb1ELb0ELb1ELi1EEEvPT0_PT_PfS4_S4_S4_diiiiiiib
	.globl	_ZN5aiter24add_rmsnorm_quant_kernelIDF16_DF16_Li256ELi8ELb1ELb0ELb1ELi1EEEvPT0_PT_PfS4_S4_S4_diiiiiiib
	.p2align	8
	.type	_ZN5aiter24add_rmsnorm_quant_kernelIDF16_DF16_Li256ELi8ELb1ELb0ELb1ELi1EEEvPT0_PT_PfS4_S4_S4_diiiiiiib,@function
_ZN5aiter24add_rmsnorm_quant_kernelIDF16_DF16_Li256ELi8ELb1ELb0ELb1ELi1EEEvPT0_PT_PfS4_S4_S4_diiiiiiib: ; @_ZN5aiter24add_rmsnorm_quant_kernelIDF16_DF16_Li256ELi8ELb1ELb0ELb1ELi1EEEvPT0_PT_PfS4_S4_S4_diiiiiiib
; %bb.0:
	s_load_b128 s[16:19], s[0:1], 0x38
	s_mov_b32 s20, s15
	s_mov_b32 s21, 0
	s_waitcnt lgkmcnt(0)
	s_ashr_i32 s3, s16, 31
	s_mov_b32 s2, s16
	s_delay_alu instid0(SALU_CYCLE_1) | instskip(NEXT) | instid1(VALU_DEP_1)
	v_cmp_ge_i64_e64 s2, s[20:21], s[2:3]
	s_and_b32 vcc_lo, exec_lo, s2
	s_cbranch_vccnz .LBB121_4
; %bb.1:
	s_load_b256 s[4:11], s[0:1], 0x18
	s_ashr_i32 s3, s18, 31
	s_mul_hi_u32 s12, s18, s20
	s_mul_i32 s3, s3, s20
	s_mul_i32 s2, s18, s20
	s_add_i32 s3, s12, s3
	s_mul_hi_u32 s14, s19, s20
	s_lshl_b64 s[2:3], s[2:3], 1
	v_lshlrev_b32_e32 v5, 4, v0
	s_mul_i32 s18, s19, s20
	s_mov_b32 s15, -1
	v_and_b32_e32 v20, 31, v0
	s_waitcnt lgkmcnt(0)
	s_add_u32 s12, s4, s2
	s_addc_u32 s2, s5, s3
	s_add_i32 s3, s17, 1
	s_and_b32 s5, s9, 0xffff
	s_ashr_i32 s4, s19, 31
	s_lshr_b32 s9, s3, 31
	s_mul_i32 s4, s4, s20
	s_add_i32 s3, s3, s9
	s_and_b32 s13, s2, 0xffff
	s_lshl_b32 s2, s3, 1
	s_add_i32 s19, s14, s4
	s_and_b32 s14, s2, -4
	s_lshl_b64 s[2:3], s[18:19], 1
	buffer_load_b128 v[8:11], v5, s[12:15], 0 offen glc slc
	s_add_u32 s12, s6, s2
	s_addc_u32 s2, s7, s3
	s_mov_b32 s7, s15
	s_and_b32 s13, s2, 0xffff
	s_mov_b32 s4, s8
	buffer_load_b128 v[12:15], v5, s[12:15], 0 offen glc slc
	s_mov_b32 s6, s14
	s_waitcnt vmcnt(1)
	v_lshrrev_b32_e32 v6, 16, v8
	v_cvt_f32_f16_e32 v8, v8
	v_lshrrev_b32_e32 v16, 16, v9
	v_cvt_f32_f16_e32 v9, v9
	s_delay_alu instid0(VALU_DEP_4)
	v_cvt_f32_f16_e32 v6, v6
	s_waitcnt vmcnt(0)
	v_lshrrev_b32_e32 v7, 16, v12
	v_cvt_f32_f16_e32 v12, v12
	v_lshrrev_b32_e32 v17, 16, v13
	v_cvt_f32_f16_e32 v13, v13
	v_cvt_f32_f16_e32 v16, v16
	;; [unrolled: 1-line block ×3, first 2 shown]
	s_delay_alu instid0(VALU_DEP_4) | instskip(NEXT) | instid1(VALU_DEP_2)
	v_cvt_f32_f16_e32 v17, v17
	v_add_f32_e32 v6, v6, v7
	buffer_load_b128 v[1:4], v5, s[4:7], 0 offen
	v_add_f32_e32 v7, v8, v12
	v_lshrrev_b32_e32 v12, 16, v10
	v_add_f32_e32 v8, v9, v13
	v_mul_f32_e32 v18, v6, v6
	v_cvt_f32_f16_e32 v9, v10
	v_lshrrev_b32_e32 v13, 16, v14
	v_cvt_f32_f16_e32 v14, v14
	v_add_f32_e32 v10, v16, v17
	v_fmac_f32_e32 v18, v7, v7
	v_cvt_f32_f16_e32 v12, v12
	v_cvt_f32_f16_e32 v13, v13
	v_add_f32_e32 v9, v9, v14
	v_cvt_f32_f16_e32 v14, v11
	v_lshrrev_b32_e32 v17, 16, v15
	v_cvt_f32_f16_e32 v15, v15
	v_lshrrev_b32_e32 v16, 16, v11
	v_add_f32_e32 v11, v12, v13
	s_clause 0x1
	s_load_b64 s[4:5], s[0:1], 0x48
	s_load_b128 s[0:3], s[0:1], 0x0
	v_dual_add_f32 v13, v14, v15 :: v_dual_fmac_f32 v18, v8, v8
	v_cvt_f32_f16_e32 v12, v16
	v_cvt_f32_f16_e32 v16, v17
	v_cvt_f16_f32_e32 v17, v9
	v_cvt_f16_f32_e32 v23, v10
	v_fmac_f32_e32 v18, v10, v10
	v_cvt_f16_f32_e32 v24, v6
	v_add_f32_e32 v12, v12, v16
	v_cvt_f16_f32_e32 v16, v8
	s_delay_alu instid0(VALU_DEP_4) | instskip(NEXT) | instid1(VALU_DEP_3)
	v_fmac_f32_e32 v18, v9, v9
	v_cvt_f16_f32_e32 v21, v12
	s_delay_alu instid0(VALU_DEP_2)
	v_fmac_f32_e32 v18, v11, v11
	s_waitcnt lgkmcnt(0)
	s_ashr_i32 s6, s4, 31
	s_mul_hi_u32 s7, s4, s20
	s_mul_i32 s8, s6, s20
	v_fmac_f32_e32 v18, v13, v13
	s_mul_i32 s6, s4, s20
	s_add_i32 s7, s7, s8
	s_delay_alu instid0(SALU_CYCLE_1) | instskip(NEXT) | instid1(VALU_DEP_1)
	s_lshl_b64 s[6:7], s[6:7], 1
	v_fmac_f32_e32 v18, v12, v12
	s_add_u32 s12, s2, s6
	s_addc_u32 s2, s3, s7
	s_delay_alu instid0(SALU_CYCLE_1) | instskip(NEXT) | instid1(VALU_DEP_1)
	s_and_b32 s13, s2, 0xffff
	v_mov_b32_dpp v14, v18 quad_perm:[1,0,3,2] row_mask:0xf bank_mask:0xf
	s_mov_b32 s2, exec_lo
	s_delay_alu instid0(VALU_DEP_1) | instskip(SKIP_2) | instid1(VALU_DEP_3)
	v_add_f32_e32 v14, v18, v14
	v_cvt_f16_f32_e32 v18, v13
	v_cvt_f16_f32_e32 v22, v11
	v_mov_b32_dpp v15, v14 quad_perm:[2,3,0,1] row_mask:0xf bank_mask:0xf
	s_delay_alu instid0(VALU_DEP_1) | instskip(SKIP_1) | instid1(VALU_DEP_2)
	v_add_f32_e32 v14, v14, v15
	v_cvt_f16_f32_e32 v15, v7
	v_mov_b32_dpp v19, v14 row_xmask:7 row_mask:0xf bank_mask:0xf
	s_delay_alu instid0(VALU_DEP_1)
	v_add_f32_e32 v14, v14, v19
	v_pack_b32_f16 v19, v18, v21
	v_pack_b32_f16 v18, v17, v22
	;; [unrolled: 1-line block ×4, first 2 shown]
	v_mov_b32_dpp v15, v14 row_xmask:15 row_mask:0xf bank_mask:0xf
	buffer_store_b128 v[16:19], v5, s[12:15], 0 offen glc slc
	;;#ASMSTART
	s_nop 0
	;;#ASMEND
	v_cmpx_eq_u32_e32 31, v20
	s_cbranch_execz .LBB121_3
; %bb.2:
	v_add_f32_e32 v14, v14, v15
	s_mov_b32 s3, 0x76543210
	v_lshrrev_b32_e32 v15, 3, v0
	s_delay_alu instid0(VALU_DEP_2) | instskip(NEXT) | instid1(VALU_DEP_1)
	v_permlanex16_b32 v16, v14, s3, 0xfedcba98 op_sel:[1,1]
	v_dual_add_f32 v14, v14, v16 :: v_dual_and_b32 v15, 0x7c, v15
	ds_store_b32 v15, v14
.LBB121_3:
	s_or_b32 exec_lo, exec_lo, s2
	v_and_b32_e32 v0, 7, v0
	s_waitcnt vmcnt(0) lgkmcnt(0)
	s_waitcnt_vscnt null, 0x0
	s_barrier
	buffer_gl0_inv
	v_cvt_f32_i32_e32 v15, s17
	v_lshlrev_b32_e32 v0, 2, v0
	s_ashr_i32 s2, s5, 31
	s_mul_hi_u32 s3, s5, s20
	s_mul_i32 s4, s2, s20
	s_mul_i32 s2, s5, s20
	ds_load_b32 v0, v0
	s_add_i32 s3, s3, s4
	s_delay_alu instid0(SALU_CYCLE_1) | instskip(NEXT) | instid1(SALU_CYCLE_1)
	s_lshl_b64 s[2:3], s[2:3], 1
	s_add_u32 s12, s0, s2
	s_addc_u32 s0, s1, s3
	s_delay_alu instid0(SALU_CYCLE_1) | instskip(SKIP_2) | instid1(VALU_DEP_1)
	s_and_b32 s13, s0, 0xffff
	s_waitcnt lgkmcnt(0)
	v_mov_b32_dpp v14, v0 quad_perm:[1,0,3,2] row_mask:0xf bank_mask:0xf
	v_add_f32_e32 v0, v0, v14
	s_delay_alu instid0(VALU_DEP_1) | instskip(NEXT) | instid1(VALU_DEP_1)
	v_mov_b32_dpp v14, v0 quad_perm:[2,3,0,1] row_mask:0xf bank_mask:0xf
	v_add_f32_e32 v0, v0, v14
	s_delay_alu instid0(VALU_DEP_1) | instskip(NEXT) | instid1(VALU_DEP_1)
	v_mov_b32_dpp v14, v0 row_xmask:7 row_mask:0xf bank_mask:0xf
	v_add_f32_e32 v0, v0, v14
	s_delay_alu instid0(VALU_DEP_1) | instskip(SKIP_1) | instid1(VALU_DEP_2)
	v_div_scale_f32 v14, null, v15, v15, v0
	v_div_scale_f32 v18, vcc_lo, v0, v15, v0
	v_rcp_f32_e32 v16, v14
	s_waitcnt_depctr 0xfff
	v_fma_f32 v17, -v14, v16, 1.0
	s_delay_alu instid0(VALU_DEP_1) | instskip(NEXT) | instid1(VALU_DEP_1)
	v_fmac_f32_e32 v16, v17, v16
	v_mul_f32_e32 v17, v18, v16
	s_delay_alu instid0(VALU_DEP_1) | instskip(NEXT) | instid1(VALU_DEP_1)
	v_fma_f32 v19, -v14, v17, v18
	v_fmac_f32_e32 v17, v19, v16
	s_delay_alu instid0(VALU_DEP_1) | instskip(NEXT) | instid1(VALU_DEP_1)
	v_fma_f32 v14, -v14, v17, v18
	v_div_fmas_f32 v14, v14, v16, v17
	s_delay_alu instid0(VALU_DEP_1) | instskip(NEXT) | instid1(VALU_DEP_1)
	v_div_fixup_f32 v0, v14, v15, v0
	v_cvt_f64_f32_e32 v[14:15], v0
	s_delay_alu instid0(VALU_DEP_1) | instskip(NEXT) | instid1(VALU_DEP_1)
	v_add_f64 v[14:15], v[14:15], s[10:11]
	v_cvt_f32_f64_e32 v0, v[14:15]
	s_delay_alu instid0(VALU_DEP_1) | instskip(SKIP_1) | instid1(VALU_DEP_2)
	v_mul_f32_e32 v14, 0x4b800000, v0
	v_cmp_gt_f32_e32 vcc_lo, 0x800000, v0
	v_cndmask_b32_e32 v0, v0, v14, vcc_lo
	s_delay_alu instid0(VALU_DEP_1) | instskip(SKIP_2) | instid1(VALU_DEP_1)
	v_rsq_f32_e32 v0, v0
	s_waitcnt_depctr 0xfff
	v_mul_f32_e32 v14, 0x45800000, v0
	v_cndmask_b32_e32 v0, v0, v14, vcc_lo
	s_delay_alu instid0(VALU_DEP_1)
	v_mul_f32_e32 v14, v6, v0
	v_mul_f32_e32 v6, v7, v0
	;; [unrolled: 1-line block ×8, first 2 shown]
	v_fma_mixlo_f16 v9, v7, v4, 0 op_sel_hi:[0,1,0]
	v_fma_mixlo_f16 v8, v13, v3, 0 op_sel_hi:[0,1,0]
	;; [unrolled: 1-line block ×4, first 2 shown]
	s_delay_alu instid0(VALU_DEP_4) | instskip(NEXT) | instid1(VALU_DEP_4)
	v_fma_mixhi_f16 v9, v0, v4, 0 op_sel:[0,1,0] op_sel_hi:[0,1,0]
	v_fma_mixhi_f16 v8, v11, v3, 0 op_sel:[0,1,0] op_sel_hi:[0,1,0]
	s_delay_alu instid0(VALU_DEP_4) | instskip(NEXT) | instid1(VALU_DEP_4)
	v_fma_mixhi_f16 v7, v10, v2, 0 op_sel:[0,1,0] op_sel_hi:[0,1,0]
	v_fma_mixhi_f16 v6, v14, v1, 0 op_sel:[0,1,0] op_sel_hi:[0,1,0]
	buffer_store_b128 v[6:9], v5, s[12:15], 0 offen
	;;#ASMSTART
	s_nop 0
	;;#ASMEND
.LBB121_4:
	s_nop 0
	s_sendmsg sendmsg(MSG_DEALLOC_VGPRS)
	s_endpgm
	.section	.rodata,"a",@progbits
	.p2align	6, 0x0
	.amdhsa_kernel _ZN5aiter24add_rmsnorm_quant_kernelIDF16_DF16_Li256ELi8ELb1ELb0ELb1ELi1EEEvPT0_PT_PfS4_S4_S4_diiiiiiib
		.amdhsa_group_segment_fixed_size 32
		.amdhsa_private_segment_fixed_size 0
		.amdhsa_kernarg_size 88
		.amdhsa_user_sgpr_count 15
		.amdhsa_user_sgpr_dispatch_ptr 0
		.amdhsa_user_sgpr_queue_ptr 0
		.amdhsa_user_sgpr_kernarg_segment_ptr 1
		.amdhsa_user_sgpr_dispatch_id 0
		.amdhsa_user_sgpr_private_segment_size 0
		.amdhsa_wavefront_size32 1
		.amdhsa_uses_dynamic_stack 0
		.amdhsa_enable_private_segment 0
		.amdhsa_system_sgpr_workgroup_id_x 1
		.amdhsa_system_sgpr_workgroup_id_y 0
		.amdhsa_system_sgpr_workgroup_id_z 0
		.amdhsa_system_sgpr_workgroup_info 0
		.amdhsa_system_vgpr_workitem_id 0
		.amdhsa_next_free_vgpr 25
		.amdhsa_next_free_sgpr 22
		.amdhsa_reserve_vcc 1
		.amdhsa_float_round_mode_32 0
		.amdhsa_float_round_mode_16_64 0
		.amdhsa_float_denorm_mode_32 3
		.amdhsa_float_denorm_mode_16_64 3
		.amdhsa_dx10_clamp 1
		.amdhsa_ieee_mode 1
		.amdhsa_fp16_overflow 0
		.amdhsa_workgroup_processor_mode 1
		.amdhsa_memory_ordered 1
		.amdhsa_forward_progress 0
		.amdhsa_shared_vgpr_count 0
		.amdhsa_exception_fp_ieee_invalid_op 0
		.amdhsa_exception_fp_denorm_src 0
		.amdhsa_exception_fp_ieee_div_zero 0
		.amdhsa_exception_fp_ieee_overflow 0
		.amdhsa_exception_fp_ieee_underflow 0
		.amdhsa_exception_fp_ieee_inexact 0
		.amdhsa_exception_int_div_zero 0
	.end_amdhsa_kernel
	.section	.text._ZN5aiter24add_rmsnorm_quant_kernelIDF16_DF16_Li256ELi8ELb1ELb0ELb1ELi1EEEvPT0_PT_PfS4_S4_S4_diiiiiiib,"axG",@progbits,_ZN5aiter24add_rmsnorm_quant_kernelIDF16_DF16_Li256ELi8ELb1ELb0ELb1ELi1EEEvPT0_PT_PfS4_S4_S4_diiiiiiib,comdat
.Lfunc_end121:
	.size	_ZN5aiter24add_rmsnorm_quant_kernelIDF16_DF16_Li256ELi8ELb1ELb0ELb1ELi1EEEvPT0_PT_PfS4_S4_S4_diiiiiiib, .Lfunc_end121-_ZN5aiter24add_rmsnorm_quant_kernelIDF16_DF16_Li256ELi8ELb1ELb0ELb1ELi1EEEvPT0_PT_PfS4_S4_S4_diiiiiiib
                                        ; -- End function
	.section	.AMDGPU.csdata,"",@progbits
; Kernel info:
; codeLenInByte = 1136
; NumSgprs: 24
; NumVgprs: 25
; ScratchSize: 0
; MemoryBound: 0
; FloatMode: 240
; IeeeMode: 1
; LDSByteSize: 32 bytes/workgroup (compile time only)
; SGPRBlocks: 2
; VGPRBlocks: 3
; NumSGPRsForWavesPerEU: 24
; NumVGPRsForWavesPerEU: 25
; Occupancy: 16
; WaveLimiterHint : 0
; COMPUTE_PGM_RSRC2:SCRATCH_EN: 0
; COMPUTE_PGM_RSRC2:USER_SGPR: 15
; COMPUTE_PGM_RSRC2:TRAP_HANDLER: 0
; COMPUTE_PGM_RSRC2:TGID_X_EN: 1
; COMPUTE_PGM_RSRC2:TGID_Y_EN: 0
; COMPUTE_PGM_RSRC2:TGID_Z_EN: 0
; COMPUTE_PGM_RSRC2:TIDIG_COMP_CNT: 0
	.section	.text._ZN5aiter24add_rmsnorm_quant_kernelIttLi256ELi8ELb1ELb0ELb1ELi1EEEvPT0_PT_PfS4_S4_S4_diiiiiiib,"axG",@progbits,_ZN5aiter24add_rmsnorm_quant_kernelIttLi256ELi8ELb1ELb0ELb1ELi1EEEvPT0_PT_PfS4_S4_S4_diiiiiiib,comdat
	.protected	_ZN5aiter24add_rmsnorm_quant_kernelIttLi256ELi8ELb1ELb0ELb1ELi1EEEvPT0_PT_PfS4_S4_S4_diiiiiiib ; -- Begin function _ZN5aiter24add_rmsnorm_quant_kernelIttLi256ELi8ELb1ELb0ELb1ELi1EEEvPT0_PT_PfS4_S4_S4_diiiiiiib
	.globl	_ZN5aiter24add_rmsnorm_quant_kernelIttLi256ELi8ELb1ELb0ELb1ELi1EEEvPT0_PT_PfS4_S4_S4_diiiiiiib
	.p2align	8
	.type	_ZN5aiter24add_rmsnorm_quant_kernelIttLi256ELi8ELb1ELb0ELb1ELi1EEEvPT0_PT_PfS4_S4_S4_diiiiiiib,@function
_ZN5aiter24add_rmsnorm_quant_kernelIttLi256ELi8ELb1ELb0ELb1ELi1EEEvPT0_PT_PfS4_S4_S4_diiiiiiib: ; @_ZN5aiter24add_rmsnorm_quant_kernelIttLi256ELi8ELb1ELb0ELb1ELi1EEEvPT0_PT_PfS4_S4_S4_diiiiiiib
; %bb.0:
	s_load_b128 s[16:19], s[0:1], 0x38
	s_mov_b32 s20, s15
	s_mov_b32 s21, 0
	s_waitcnt lgkmcnt(0)
	s_ashr_i32 s3, s16, 31
	s_mov_b32 s2, s16
	s_delay_alu instid0(SALU_CYCLE_1) | instskip(NEXT) | instid1(VALU_DEP_1)
	v_cmp_ge_i64_e64 s2, s[20:21], s[2:3]
	s_and_b32 vcc_lo, exec_lo, s2
	s_cbranch_vccnz .LBB122_4
; %bb.1:
	s_load_b256 s[4:11], s[0:1], 0x18
	s_ashr_i32 s3, s18, 31
	s_mul_hi_u32 s12, s18, s20
	s_mul_i32 s3, s3, s20
	s_mul_i32 s2, s18, s20
	s_add_i32 s3, s12, s3
	s_mul_hi_u32 s14, s19, s20
	s_lshl_b64 s[2:3], s[2:3], 1
	v_lshlrev_b32_e32 v5, 4, v0
	s_mul_i32 s18, s19, s20
	s_mov_b32 s15, -1
	s_waitcnt lgkmcnt(0)
	s_add_u32 s12, s4, s2
	s_addc_u32 s2, s5, s3
	s_add_i32 s3, s17, 1
	s_and_b32 s5, s9, 0xffff
	s_ashr_i32 s4, s19, 31
	s_lshr_b32 s9, s3, 31
	s_mul_i32 s4, s4, s20
	s_add_i32 s3, s3, s9
	s_and_b32 s13, s2, 0xffff
	s_lshl_b32 s2, s3, 1
	s_add_i32 s19, s14, s4
	s_and_b32 s14, s2, -4
	s_lshl_b64 s[2:3], s[18:19], 1
	buffer_load_b128 v[6:9], v5, s[12:15], 0 offen glc slc
	s_add_u32 s12, s6, s2
	s_addc_u32 s2, s7, s3
	s_mov_b32 s7, s15
	s_and_b32 s13, s2, 0xffff
	s_mov_b32 s4, s8
	buffer_load_b128 v[10:13], v5, s[12:15], 0 offen glc slc
	s_mov_b32 s6, s14
	s_waitcnt vmcnt(1)
	v_lshrrev_b32_e32 v16, 16, v8
	v_and_b32_e32 v18, 0xffff, v8
	v_lshrrev_b32_e32 v15, 16, v7
	v_lshrrev_b32_e32 v19, 16, v9
	s_waitcnt vmcnt(0)
	v_and_b32_e32 v8, 0xffff, v10
	v_lshrrev_b32_e32 v17, 16, v10
	s_delay_alu instid0(VALU_DEP_2) | instskip(SKIP_2) | instid1(VALU_DEP_4)
	v_cvt_f32_u32_e32 v8, v8
	v_and_b32_e32 v14, 0xffff, v6
	v_lshrrev_b32_e32 v6, 16, v6
	v_cvt_f32_u32_e32 v10, v17
	s_delay_alu instid0(VALU_DEP_2) | instskip(NEXT) | instid1(VALU_DEP_1)
	v_cvt_f32_u32_e32 v6, v6
	v_add_f32_e32 v6, v6, v10
	buffer_load_b128 v[1:4], v5, s[4:7], 0 offen
	v_and_b32_e32 v7, 0xffff, v7
	s_clause 0x1
	s_load_b64 s[4:5], s[0:1], 0x48
	s_load_b128 s[0:3], s[0:1], 0x0
	v_mul_f32_e32 v20, v6, v6
	v_cvt_f32_u32_e32 v10, v7
	v_and_b32_e32 v17, 0xffff, v9
	v_cvt_f32_u32_e32 v9, v14
	v_and_b32_e32 v14, 0xffff, v11
	v_lshrrev_b32_e32 v11, 16, v11
	s_delay_alu instid0(VALU_DEP_3) | instskip(NEXT) | instid1(VALU_DEP_3)
	v_add_f32_e32 v7, v9, v8
	v_cvt_f32_u32_e32 v14, v14
	v_cvt_f32_u32_e32 v9, v15
	v_and_b32_e32 v15, 0xffff, v12
	v_cvt_f32_u32_e32 v11, v11
	v_fmac_f32_e32 v20, v7, v7
	v_add_f32_e32 v8, v10, v14
	v_lshrrev_b32_e32 v12, 16, v12
	v_cvt_f32_u32_e32 v14, v15
	v_add_f32_e32 v9, v9, v11
	v_cvt_f32_u32_e32 v10, v18
	v_dual_fmac_f32 v20, v8, v8 :: v_dual_and_b32 v15, 0xffff, v13
	v_cvt_f32_u32_e32 v11, v16
	v_cvt_f32_u32_e32 v12, v12
	s_delay_alu instid0(VALU_DEP_4) | instskip(NEXT) | instid1(VALU_DEP_4)
	v_add_f32_e32 v10, v10, v14
	v_fmac_f32_e32 v20, v9, v9
	v_cvt_f32_u32_e32 v14, v17
	v_lshrrev_b32_e32 v13, 16, v13
	v_cvt_f32_u32_e32 v15, v15
	s_delay_alu instid0(VALU_DEP_4) | instskip(SKIP_1) | instid1(VALU_DEP_4)
	v_dual_add_f32 v11, v11, v12 :: v_dual_fmac_f32 v20, v10, v10
	v_cvt_f32_u32_e32 v16, v19
	v_cvt_f32_u32_e32 v13, v13
	s_delay_alu instid0(VALU_DEP_4)
	v_add_f32_e32 v12, v14, v15
	s_waitcnt lgkmcnt(0)
	s_ashr_i32 s6, s4, 31
	v_fmac_f32_e32 v20, v11, v11
	s_mul_hi_u32 s7, s4, s20
	v_add_f32_e32 v13, v16, v13
	s_mul_i32 s8, s6, s20
	s_mul_i32 s6, s4, s20
	v_fmac_f32_e32 v20, v12, v12
	s_add_i32 s7, s7, s8
	v_perm_b32 v19, v13, v12, 0x7060302
	s_lshl_b64 s[6:7], s[6:7], 1
	v_perm_b32 v18, v11, v10, 0x7060302
	v_fmac_f32_e32 v20, v13, v13
	s_add_u32 s12, s2, s6
	v_perm_b32 v17, v9, v8, 0x7060302
	v_perm_b32 v16, v6, v7, 0x7060302
	s_addc_u32 s2, s3, s7
	v_mov_b32_dpp v14, v20 quad_perm:[1,0,3,2] row_mask:0xf bank_mask:0xf
	s_and_b32 s13, s2, 0xffff
	s_mov_b32 s2, exec_lo
	buffer_store_b128 v[16:19], v5, s[12:15], 0 offen glc slc
	;;#ASMSTART
	s_nop 0
	;;#ASMEND
	v_add_f32_e32 v14, v20, v14
	v_and_b32_e32 v20, 31, v0
	s_delay_alu instid0(VALU_DEP_2) | instskip(NEXT) | instid1(VALU_DEP_1)
	v_mov_b32_dpp v15, v14 quad_perm:[2,3,0,1] row_mask:0xf bank_mask:0xf
	v_add_f32_e32 v14, v14, v15
	s_delay_alu instid0(VALU_DEP_1) | instskip(NEXT) | instid1(VALU_DEP_1)
	v_mov_b32_dpp v15, v14 row_xmask:7 row_mask:0xf bank_mask:0xf
	v_add_f32_e32 v14, v14, v15
	s_delay_alu instid0(VALU_DEP_1)
	v_mov_b32_dpp v15, v14 row_xmask:15 row_mask:0xf bank_mask:0xf
	v_cmpx_eq_u32_e32 31, v20
	s_cbranch_execz .LBB122_3
; %bb.2:
	s_delay_alu instid0(VALU_DEP_2) | instskip(SKIP_2) | instid1(VALU_DEP_2)
	v_add_f32_e32 v14, v14, v15
	s_mov_b32 s3, 0x76543210
	v_lshrrev_b32_e32 v15, 3, v0
	v_permlanex16_b32 v16, v14, s3, 0xfedcba98 op_sel:[1,1]
	s_delay_alu instid0(VALU_DEP_1)
	v_dual_add_f32 v14, v14, v16 :: v_dual_and_b32 v15, 0x7c, v15
	ds_store_b32 v15, v14
.LBB122_3:
	s_or_b32 exec_lo, exec_lo, s2
	v_and_b32_e32 v0, 7, v0
	s_waitcnt vmcnt(0) lgkmcnt(0)
	s_waitcnt_vscnt null, 0x0
	s_barrier
	buffer_gl0_inv
	v_cvt_f32_i32_e32 v15, s17
	v_lshlrev_b32_e32 v0, 2, v0
	s_ashr_i32 s3, s5, 31
	s_mul_hi_u32 s4, s5, s20
	s_mul_i32 s3, s3, s20
	s_mul_i32 s2, s5, s20
	ds_load_b32 v0, v0
	s_add_i32 s3, s4, s3
	s_delay_alu instid0(SALU_CYCLE_1) | instskip(NEXT) | instid1(SALU_CYCLE_1)
	s_lshl_b64 s[2:3], s[2:3], 1
	s_add_u32 s12, s0, s2
	s_addc_u32 s0, s1, s3
	s_delay_alu instid0(SALU_CYCLE_1) | instskip(SKIP_2) | instid1(VALU_DEP_1)
	s_and_b32 s13, s0, 0xffff
	s_waitcnt lgkmcnt(0)
	v_mov_b32_dpp v14, v0 quad_perm:[1,0,3,2] row_mask:0xf bank_mask:0xf
	v_add_f32_e32 v0, v0, v14
	s_delay_alu instid0(VALU_DEP_1) | instskip(NEXT) | instid1(VALU_DEP_1)
	v_mov_b32_dpp v14, v0 quad_perm:[2,3,0,1] row_mask:0xf bank_mask:0xf
	v_add_f32_e32 v0, v0, v14
	s_delay_alu instid0(VALU_DEP_1) | instskip(NEXT) | instid1(VALU_DEP_1)
	v_mov_b32_dpp v14, v0 row_xmask:7 row_mask:0xf bank_mask:0xf
	v_add_f32_e32 v0, v0, v14
	s_delay_alu instid0(VALU_DEP_1) | instskip(SKIP_1) | instid1(VALU_DEP_2)
	v_div_scale_f32 v14, null, v15, v15, v0
	v_div_scale_f32 v18, vcc_lo, v0, v15, v0
	v_rcp_f32_e32 v16, v14
	s_waitcnt_depctr 0xfff
	v_fma_f32 v17, -v14, v16, 1.0
	s_delay_alu instid0(VALU_DEP_1) | instskip(NEXT) | instid1(VALU_DEP_1)
	v_fmac_f32_e32 v16, v17, v16
	v_mul_f32_e32 v17, v18, v16
	s_delay_alu instid0(VALU_DEP_1) | instskip(NEXT) | instid1(VALU_DEP_1)
	v_fma_f32 v19, -v14, v17, v18
	v_fmac_f32_e32 v17, v19, v16
	s_delay_alu instid0(VALU_DEP_1) | instskip(NEXT) | instid1(VALU_DEP_1)
	v_fma_f32 v14, -v14, v17, v18
	v_div_fmas_f32 v14, v14, v16, v17
	v_lshrrev_b32_e32 v16, 16, v3
	v_and_b32_e32 v3, 0xffff, v3
	v_lshrrev_b32_e32 v17, 16, v4
	s_delay_alu instid0(VALU_DEP_4) | instskip(NEXT) | instid1(VALU_DEP_4)
	v_div_fixup_f32 v0, v14, v15, v0
	v_cvt_f32_u32_e32 v16, v16
	s_delay_alu instid0(VALU_DEP_4) | instskip(NEXT) | instid1(VALU_DEP_4)
	v_cvt_f32_u32_e32 v3, v3
	v_cvt_f32_u32_e32 v17, v17
	s_delay_alu instid0(VALU_DEP_4) | instskip(NEXT) | instid1(VALU_DEP_1)
	v_cvt_f64_f32_e32 v[14:15], v0
	v_add_f64 v[14:15], v[14:15], s[10:11]
	s_delay_alu instid0(VALU_DEP_1) | instskip(SKIP_1) | instid1(VALU_DEP_1)
	v_cvt_f32_f64_e32 v0, v[14:15]
	v_lshrrev_b32_e32 v15, 16, v2
	v_cvt_f32_u32_e32 v15, v15
	s_delay_alu instid0(VALU_DEP_3) | instskip(SKIP_1) | instid1(VALU_DEP_2)
	v_mul_f32_e32 v14, 0x4b800000, v0
	v_cmp_gt_f32_e32 vcc_lo, 0x800000, v0
	v_cndmask_b32_e32 v0, v0, v14, vcc_lo
	v_lshrrev_b32_e32 v14, 16, v1
	v_and_b32_e32 v1, 0xffff, v1
	s_delay_alu instid0(VALU_DEP_3) | instskip(NEXT) | instid1(VALU_DEP_2)
	v_rsq_f32_e32 v0, v0
	v_cvt_f32_u32_e32 v14, v14
	s_delay_alu instid0(VALU_DEP_2) | instskip(SKIP_2) | instid1(VALU_DEP_1)
	v_cvt_f32_u32_e32 v1, v1
	s_waitcnt_depctr 0xfff
	v_mul_f32_e32 v18, 0x45800000, v0
	v_cndmask_b32_e32 v0, v0, v18, vcc_lo
	v_and_b32_e32 v2, 0xffff, v2
	s_delay_alu instid0(VALU_DEP_2) | instskip(SKIP_1) | instid1(VALU_DEP_2)
	v_dual_mul_f32 v11, v0, v11 :: v_dual_and_b32 v4, 0xffff, v4
	v_mul_f32_e32 v6, v6, v0
	v_cvt_f32_u32_e32 v4, v4
	v_mul_f32_e32 v7, v7, v0
	v_cvt_f32_u32_e32 v2, v2
	v_mul_f32_e32 v8, v0, v8
	v_mul_f32_e32 v9, v0, v9
	;; [unrolled: 1-line block ×6, first 2 shown]
	s_delay_alu instid0(VALU_DEP_4) | instskip(NEXT) | instid1(VALU_DEP_4)
	v_dual_mul_f32 v1, v8, v2 :: v_dual_mul_f32 v2, v10, v3
	v_mul_f32_e32 v3, v12, v4
	s_delay_alu instid0(VALU_DEP_4) | instskip(SKIP_3) | instid1(VALU_DEP_4)
	v_mul_f32_e32 v0, v0, v17
	v_mul_f32_e32 v4, v11, v16
	v_mul_f32_e32 v8, v9, v15
	v_mul_f32_e32 v6, v6, v14
	v_perm_b32 v3, v0, v3, 0x7060302
	s_delay_alu instid0(VALU_DEP_4) | instskip(NEXT) | instid1(VALU_DEP_4)
	v_perm_b32 v2, v4, v2, 0x7060302
	v_perm_b32 v1, v8, v1, 0x7060302
	s_delay_alu instid0(VALU_DEP_4)
	v_perm_b32 v0, v6, v7, 0x7060302
	buffer_store_b128 v[0:3], v5, s[12:15], 0 offen
	;;#ASMSTART
	s_nop 0
	;;#ASMEND
.LBB122_4:
	s_nop 0
	s_sendmsg sendmsg(MSG_DEALLOC_VGPRS)
	s_endpgm
	.section	.rodata,"a",@progbits
	.p2align	6, 0x0
	.amdhsa_kernel _ZN5aiter24add_rmsnorm_quant_kernelIttLi256ELi8ELb1ELb0ELb1ELi1EEEvPT0_PT_PfS4_S4_S4_diiiiiiib
		.amdhsa_group_segment_fixed_size 32
		.amdhsa_private_segment_fixed_size 0
		.amdhsa_kernarg_size 88
		.amdhsa_user_sgpr_count 15
		.amdhsa_user_sgpr_dispatch_ptr 0
		.amdhsa_user_sgpr_queue_ptr 0
		.amdhsa_user_sgpr_kernarg_segment_ptr 1
		.amdhsa_user_sgpr_dispatch_id 0
		.amdhsa_user_sgpr_private_segment_size 0
		.amdhsa_wavefront_size32 1
		.amdhsa_uses_dynamic_stack 0
		.amdhsa_enable_private_segment 0
		.amdhsa_system_sgpr_workgroup_id_x 1
		.amdhsa_system_sgpr_workgroup_id_y 0
		.amdhsa_system_sgpr_workgroup_id_z 0
		.amdhsa_system_sgpr_workgroup_info 0
		.amdhsa_system_vgpr_workitem_id 0
		.amdhsa_next_free_vgpr 21
		.amdhsa_next_free_sgpr 22
		.amdhsa_reserve_vcc 1
		.amdhsa_float_round_mode_32 0
		.amdhsa_float_round_mode_16_64 0
		.amdhsa_float_denorm_mode_32 3
		.amdhsa_float_denorm_mode_16_64 3
		.amdhsa_dx10_clamp 1
		.amdhsa_ieee_mode 1
		.amdhsa_fp16_overflow 0
		.amdhsa_workgroup_processor_mode 1
		.amdhsa_memory_ordered 1
		.amdhsa_forward_progress 0
		.amdhsa_shared_vgpr_count 0
		.amdhsa_exception_fp_ieee_invalid_op 0
		.amdhsa_exception_fp_denorm_src 0
		.amdhsa_exception_fp_ieee_div_zero 0
		.amdhsa_exception_fp_ieee_overflow 0
		.amdhsa_exception_fp_ieee_underflow 0
		.amdhsa_exception_fp_ieee_inexact 0
		.amdhsa_exception_int_div_zero 0
	.end_amdhsa_kernel
	.section	.text._ZN5aiter24add_rmsnorm_quant_kernelIttLi256ELi8ELb1ELb0ELb1ELi1EEEvPT0_PT_PfS4_S4_S4_diiiiiiib,"axG",@progbits,_ZN5aiter24add_rmsnorm_quant_kernelIttLi256ELi8ELb1ELb0ELb1ELi1EEEvPT0_PT_PfS4_S4_S4_diiiiiiib,comdat
.Lfunc_end122:
	.size	_ZN5aiter24add_rmsnorm_quant_kernelIttLi256ELi8ELb1ELb0ELb1ELi1EEEvPT0_PT_PfS4_S4_S4_diiiiiiib, .Lfunc_end122-_ZN5aiter24add_rmsnorm_quant_kernelIttLi256ELi8ELb1ELb0ELb1ELi1EEEvPT0_PT_PfS4_S4_S4_diiiiiiib
                                        ; -- End function
	.section	.AMDGPU.csdata,"",@progbits
; Kernel info:
; codeLenInByte = 1304
; NumSgprs: 24
; NumVgprs: 21
; ScratchSize: 0
; MemoryBound: 0
; FloatMode: 240
; IeeeMode: 1
; LDSByteSize: 32 bytes/workgroup (compile time only)
; SGPRBlocks: 2
; VGPRBlocks: 2
; NumSGPRsForWavesPerEU: 24
; NumVGPRsForWavesPerEU: 21
; Occupancy: 16
; WaveLimiterHint : 0
; COMPUTE_PGM_RSRC2:SCRATCH_EN: 0
; COMPUTE_PGM_RSRC2:USER_SGPR: 15
; COMPUTE_PGM_RSRC2:TRAP_HANDLER: 0
; COMPUTE_PGM_RSRC2:TGID_X_EN: 1
; COMPUTE_PGM_RSRC2:TGID_Y_EN: 0
; COMPUTE_PGM_RSRC2:TGID_Z_EN: 0
; COMPUTE_PGM_RSRC2:TIDIG_COMP_CNT: 0
	.section	.text._ZN5aiter24add_rmsnorm_quant_kernelIDF16_DF16_Li256ELi8ELb1ELb0ELb0ELi1EEEvPT0_PT_PfS4_S4_S4_diiiiiiib,"axG",@progbits,_ZN5aiter24add_rmsnorm_quant_kernelIDF16_DF16_Li256ELi8ELb1ELb0ELb0ELi1EEEvPT0_PT_PfS4_S4_S4_diiiiiiib,comdat
	.protected	_ZN5aiter24add_rmsnorm_quant_kernelIDF16_DF16_Li256ELi8ELb1ELb0ELb0ELi1EEEvPT0_PT_PfS4_S4_S4_diiiiiiib ; -- Begin function _ZN5aiter24add_rmsnorm_quant_kernelIDF16_DF16_Li256ELi8ELb1ELb0ELb0ELi1EEEvPT0_PT_PfS4_S4_S4_diiiiiiib
	.globl	_ZN5aiter24add_rmsnorm_quant_kernelIDF16_DF16_Li256ELi8ELb1ELb0ELb0ELi1EEEvPT0_PT_PfS4_S4_S4_diiiiiiib
	.p2align	8
	.type	_ZN5aiter24add_rmsnorm_quant_kernelIDF16_DF16_Li256ELi8ELb1ELb0ELb0ELi1EEEvPT0_PT_PfS4_S4_S4_diiiiiiib,@function
_ZN5aiter24add_rmsnorm_quant_kernelIDF16_DF16_Li256ELi8ELb1ELb0ELb0ELi1EEEvPT0_PT_PfS4_S4_S4_diiiiiiib: ; @_ZN5aiter24add_rmsnorm_quant_kernelIDF16_DF16_Li256ELi8ELb1ELb0ELb0ELi1EEEvPT0_PT_PfS4_S4_S4_diiiiiiib
; %bb.0:
	s_load_b128 s[16:19], s[0:1], 0x38
	s_mov_b32 s20, s15
	s_mov_b32 s21, 0
	s_waitcnt lgkmcnt(0)
	s_ashr_i32 s3, s16, 31
	s_mov_b32 s2, s16
	s_delay_alu instid0(SALU_CYCLE_1) | instskip(NEXT) | instid1(VALU_DEP_1)
	v_cmp_ge_i64_e64 s2, s[20:21], s[2:3]
	s_and_b32 vcc_lo, exec_lo, s2
	s_cbranch_vccnz .LBB123_4
; %bb.1:
	s_load_b256 s[4:11], s[0:1], 0x18
	s_ashr_i32 s3, s18, 31
	s_mul_hi_u32 s12, s18, s20
	s_mul_i32 s3, s3, s20
	s_mul_i32 s2, s18, s20
	s_add_i32 s3, s12, s3
	s_mul_hi_u32 s14, s19, s20
	s_lshl_b64 s[2:3], s[2:3], 1
	v_lshlrev_b32_e32 v5, 4, v0
	s_mul_i32 s18, s19, s20
	s_mov_b32 s15, -1
	v_and_b32_e32 v20, 31, v0
	s_waitcnt lgkmcnt(0)
	s_add_u32 s12, s4, s2
	s_addc_u32 s2, s5, s3
	s_add_i32 s3, s17, 1
	s_and_b32 s5, s9, 0xffff
	s_ashr_i32 s4, s19, 31
	s_lshr_b32 s9, s3, 31
	s_mul_i32 s4, s4, s20
	s_add_i32 s3, s3, s9
	s_and_b32 s13, s2, 0xffff
	s_lshl_b32 s2, s3, 1
	s_add_i32 s19, s14, s4
	s_and_b32 s14, s2, -4
	s_lshl_b64 s[2:3], s[18:19], 1
	buffer_load_b128 v[8:11], v5, s[12:15], 0 offen glc slc
	s_add_u32 s12, s6, s2
	s_addc_u32 s2, s7, s3
	s_mov_b32 s7, s15
	s_and_b32 s13, s2, 0xffff
	s_mov_b32 s4, s8
	buffer_load_b128 v[12:15], v5, s[12:15], 0 offen glc slc
	s_mov_b32 s6, s14
	s_waitcnt vmcnt(1)
	v_lshrrev_b32_e32 v6, 16, v8
	v_cvt_f32_f16_e32 v8, v8
	v_lshrrev_b32_e32 v16, 16, v9
	v_cvt_f32_f16_e32 v9, v9
	s_delay_alu instid0(VALU_DEP_4)
	v_cvt_f32_f16_e32 v6, v6
	s_waitcnt vmcnt(0)
	v_lshrrev_b32_e32 v7, 16, v12
	v_cvt_f32_f16_e32 v12, v12
	v_lshrrev_b32_e32 v17, 16, v13
	v_cvt_f32_f16_e32 v13, v13
	v_cvt_f32_f16_e32 v16, v16
	;; [unrolled: 1-line block ×3, first 2 shown]
	s_delay_alu instid0(VALU_DEP_4) | instskip(NEXT) | instid1(VALU_DEP_2)
	v_cvt_f32_f16_e32 v17, v17
	v_add_f32_e32 v6, v6, v7
	buffer_load_b128 v[1:4], v5, s[4:7], 0 offen
	v_add_f32_e32 v7, v8, v12
	v_lshrrev_b32_e32 v12, 16, v10
	v_add_f32_e32 v8, v9, v13
	v_mul_f32_e32 v18, v6, v6
	v_cvt_f32_f16_e32 v9, v10
	v_lshrrev_b32_e32 v13, 16, v14
	v_cvt_f32_f16_e32 v14, v14
	v_add_f32_e32 v10, v16, v17
	v_fmac_f32_e32 v18, v7, v7
	v_cvt_f32_f16_e32 v12, v12
	v_cvt_f32_f16_e32 v13, v13
	v_add_f32_e32 v9, v9, v14
	v_cvt_f32_f16_e32 v14, v11
	v_lshrrev_b32_e32 v17, 16, v15
	v_cvt_f32_f16_e32 v15, v15
	v_lshrrev_b32_e32 v16, 16, v11
	v_add_f32_e32 v11, v12, v13
	s_clause 0x1
	s_load_b64 s[4:5], s[0:1], 0x48
	s_load_b128 s[0:3], s[0:1], 0x0
	v_dual_add_f32 v13, v14, v15 :: v_dual_fmac_f32 v18, v8, v8
	v_cvt_f32_f16_e32 v12, v16
	v_cvt_f32_f16_e32 v16, v17
	v_cvt_f16_f32_e32 v17, v9
	v_cvt_f16_f32_e32 v23, v10
	v_fmac_f32_e32 v18, v10, v10
	v_cvt_f16_f32_e32 v24, v6
	v_add_f32_e32 v12, v12, v16
	v_cvt_f16_f32_e32 v16, v8
	s_delay_alu instid0(VALU_DEP_4) | instskip(NEXT) | instid1(VALU_DEP_3)
	v_fmac_f32_e32 v18, v9, v9
	v_cvt_f16_f32_e32 v21, v12
	s_delay_alu instid0(VALU_DEP_2)
	v_fmac_f32_e32 v18, v11, v11
	s_waitcnt lgkmcnt(0)
	s_ashr_i32 s6, s4, 31
	s_mul_hi_u32 s7, s4, s20
	s_mul_i32 s8, s6, s20
	v_fmac_f32_e32 v18, v13, v13
	s_mul_i32 s6, s4, s20
	s_add_i32 s7, s7, s8
	s_delay_alu instid0(SALU_CYCLE_1) | instskip(NEXT) | instid1(VALU_DEP_1)
	s_lshl_b64 s[6:7], s[6:7], 1
	v_fmac_f32_e32 v18, v12, v12
	s_add_u32 s12, s2, s6
	s_addc_u32 s2, s3, s7
	s_delay_alu instid0(SALU_CYCLE_1) | instskip(NEXT) | instid1(VALU_DEP_1)
	s_and_b32 s13, s2, 0xffff
	v_mov_b32_dpp v14, v18 quad_perm:[1,0,3,2] row_mask:0xf bank_mask:0xf
	s_mov_b32 s2, exec_lo
	s_delay_alu instid0(VALU_DEP_1) | instskip(SKIP_2) | instid1(VALU_DEP_3)
	v_add_f32_e32 v14, v18, v14
	v_cvt_f16_f32_e32 v18, v13
	v_cvt_f16_f32_e32 v22, v11
	v_mov_b32_dpp v15, v14 quad_perm:[2,3,0,1] row_mask:0xf bank_mask:0xf
	s_delay_alu instid0(VALU_DEP_1) | instskip(SKIP_1) | instid1(VALU_DEP_2)
	v_add_f32_e32 v14, v14, v15
	v_cvt_f16_f32_e32 v15, v7
	v_mov_b32_dpp v19, v14 row_xmask:7 row_mask:0xf bank_mask:0xf
	s_delay_alu instid0(VALU_DEP_1)
	v_add_f32_e32 v14, v14, v19
	v_pack_b32_f16 v19, v18, v21
	v_pack_b32_f16 v18, v17, v22
	;; [unrolled: 1-line block ×4, first 2 shown]
	v_mov_b32_dpp v15, v14 row_xmask:15 row_mask:0xf bank_mask:0xf
	buffer_store_b128 v[16:19], v5, s[12:15], 0 offen glc slc
	;;#ASMSTART
	s_nop 0
	;;#ASMEND
	v_cmpx_eq_u32_e32 31, v20
	s_cbranch_execz .LBB123_3
; %bb.2:
	v_add_f32_e32 v14, v14, v15
	s_mov_b32 s3, 0x76543210
	v_lshrrev_b32_e32 v15, 3, v0
	s_delay_alu instid0(VALU_DEP_2) | instskip(NEXT) | instid1(VALU_DEP_1)
	v_permlanex16_b32 v16, v14, s3, 0xfedcba98 op_sel:[1,1]
	v_dual_add_f32 v14, v14, v16 :: v_dual_and_b32 v15, 0x7c, v15
	ds_store_b32 v15, v14
.LBB123_3:
	s_or_b32 exec_lo, exec_lo, s2
	v_and_b32_e32 v0, 7, v0
	s_waitcnt vmcnt(0) lgkmcnt(0)
	s_waitcnt_vscnt null, 0x0
	s_barrier
	buffer_gl0_inv
	v_cvt_f32_i32_e32 v15, s17
	v_lshlrev_b32_e32 v0, 2, v0
	s_ashr_i32 s2, s5, 31
	s_mul_hi_u32 s3, s5, s20
	s_mul_i32 s4, s2, s20
	s_mul_i32 s2, s5, s20
	ds_load_b32 v0, v0
	s_add_i32 s3, s3, s4
	s_delay_alu instid0(SALU_CYCLE_1) | instskip(NEXT) | instid1(SALU_CYCLE_1)
	s_lshl_b64 s[2:3], s[2:3], 1
	s_add_u32 s12, s0, s2
	s_addc_u32 s0, s1, s3
	s_delay_alu instid0(SALU_CYCLE_1) | instskip(SKIP_2) | instid1(VALU_DEP_1)
	s_and_b32 s13, s0, 0xffff
	s_waitcnt lgkmcnt(0)
	v_mov_b32_dpp v14, v0 quad_perm:[1,0,3,2] row_mask:0xf bank_mask:0xf
	v_add_f32_e32 v0, v0, v14
	s_delay_alu instid0(VALU_DEP_1) | instskip(NEXT) | instid1(VALU_DEP_1)
	v_mov_b32_dpp v14, v0 quad_perm:[2,3,0,1] row_mask:0xf bank_mask:0xf
	v_add_f32_e32 v0, v0, v14
	s_delay_alu instid0(VALU_DEP_1) | instskip(NEXT) | instid1(VALU_DEP_1)
	v_mov_b32_dpp v14, v0 row_xmask:7 row_mask:0xf bank_mask:0xf
	v_add_f32_e32 v0, v0, v14
	s_delay_alu instid0(VALU_DEP_1) | instskip(SKIP_1) | instid1(VALU_DEP_2)
	v_div_scale_f32 v14, null, v15, v15, v0
	v_div_scale_f32 v18, vcc_lo, v0, v15, v0
	v_rcp_f32_e32 v16, v14
	s_waitcnt_depctr 0xfff
	v_fma_f32 v17, -v14, v16, 1.0
	s_delay_alu instid0(VALU_DEP_1) | instskip(NEXT) | instid1(VALU_DEP_1)
	v_fmac_f32_e32 v16, v17, v16
	v_mul_f32_e32 v17, v18, v16
	s_delay_alu instid0(VALU_DEP_1) | instskip(NEXT) | instid1(VALU_DEP_1)
	v_fma_f32 v19, -v14, v17, v18
	v_fmac_f32_e32 v17, v19, v16
	s_delay_alu instid0(VALU_DEP_1) | instskip(NEXT) | instid1(VALU_DEP_1)
	v_fma_f32 v14, -v14, v17, v18
	v_div_fmas_f32 v14, v14, v16, v17
	s_delay_alu instid0(VALU_DEP_1) | instskip(NEXT) | instid1(VALU_DEP_1)
	v_div_fixup_f32 v0, v14, v15, v0
	v_cvt_f64_f32_e32 v[14:15], v0
	s_delay_alu instid0(VALU_DEP_1) | instskip(NEXT) | instid1(VALU_DEP_1)
	v_add_f64 v[14:15], v[14:15], s[10:11]
	v_cvt_f32_f64_e32 v0, v[14:15]
	s_delay_alu instid0(VALU_DEP_1) | instskip(SKIP_1) | instid1(VALU_DEP_2)
	v_mul_f32_e32 v14, 0x4b800000, v0
	v_cmp_gt_f32_e32 vcc_lo, 0x800000, v0
	v_cndmask_b32_e32 v0, v0, v14, vcc_lo
	s_delay_alu instid0(VALU_DEP_1) | instskip(SKIP_2) | instid1(VALU_DEP_1)
	v_rsq_f32_e32 v0, v0
	s_waitcnt_depctr 0xfff
	v_mul_f32_e32 v14, 0x45800000, v0
	v_cndmask_b32_e32 v0, v0, v14, vcc_lo
	s_delay_alu instid0(VALU_DEP_1)
	v_mul_f32_e32 v14, v6, v0
	v_mul_f32_e32 v6, v7, v0
	;; [unrolled: 1-line block ×8, first 2 shown]
	v_fma_mixlo_f16 v9, v7, v4, 0 op_sel_hi:[0,1,0]
	v_fma_mixlo_f16 v8, v13, v3, 0 op_sel_hi:[0,1,0]
	;; [unrolled: 1-line block ×4, first 2 shown]
	s_delay_alu instid0(VALU_DEP_4) | instskip(NEXT) | instid1(VALU_DEP_4)
	v_fma_mixhi_f16 v9, v0, v4, 0 op_sel:[0,1,0] op_sel_hi:[0,1,0]
	v_fma_mixhi_f16 v8, v11, v3, 0 op_sel:[0,1,0] op_sel_hi:[0,1,0]
	s_delay_alu instid0(VALU_DEP_4) | instskip(NEXT) | instid1(VALU_DEP_4)
	v_fma_mixhi_f16 v7, v10, v2, 0 op_sel:[0,1,0] op_sel_hi:[0,1,0]
	v_fma_mixhi_f16 v6, v14, v1, 0 op_sel:[0,1,0] op_sel_hi:[0,1,0]
	buffer_store_b128 v[6:9], v5, s[12:15], 0 offen
	;;#ASMSTART
	s_nop 0
	;;#ASMEND
.LBB123_4:
	s_nop 0
	s_sendmsg sendmsg(MSG_DEALLOC_VGPRS)
	s_endpgm
	.section	.rodata,"a",@progbits
	.p2align	6, 0x0
	.amdhsa_kernel _ZN5aiter24add_rmsnorm_quant_kernelIDF16_DF16_Li256ELi8ELb1ELb0ELb0ELi1EEEvPT0_PT_PfS4_S4_S4_diiiiiiib
		.amdhsa_group_segment_fixed_size 32
		.amdhsa_private_segment_fixed_size 0
		.amdhsa_kernarg_size 88
		.amdhsa_user_sgpr_count 15
		.amdhsa_user_sgpr_dispatch_ptr 0
		.amdhsa_user_sgpr_queue_ptr 0
		.amdhsa_user_sgpr_kernarg_segment_ptr 1
		.amdhsa_user_sgpr_dispatch_id 0
		.amdhsa_user_sgpr_private_segment_size 0
		.amdhsa_wavefront_size32 1
		.amdhsa_uses_dynamic_stack 0
		.amdhsa_enable_private_segment 0
		.amdhsa_system_sgpr_workgroup_id_x 1
		.amdhsa_system_sgpr_workgroup_id_y 0
		.amdhsa_system_sgpr_workgroup_id_z 0
		.amdhsa_system_sgpr_workgroup_info 0
		.amdhsa_system_vgpr_workitem_id 0
		.amdhsa_next_free_vgpr 25
		.amdhsa_next_free_sgpr 22
		.amdhsa_reserve_vcc 1
		.amdhsa_float_round_mode_32 0
		.amdhsa_float_round_mode_16_64 0
		.amdhsa_float_denorm_mode_32 3
		.amdhsa_float_denorm_mode_16_64 3
		.amdhsa_dx10_clamp 1
		.amdhsa_ieee_mode 1
		.amdhsa_fp16_overflow 0
		.amdhsa_workgroup_processor_mode 1
		.amdhsa_memory_ordered 1
		.amdhsa_forward_progress 0
		.amdhsa_shared_vgpr_count 0
		.amdhsa_exception_fp_ieee_invalid_op 0
		.amdhsa_exception_fp_denorm_src 0
		.amdhsa_exception_fp_ieee_div_zero 0
		.amdhsa_exception_fp_ieee_overflow 0
		.amdhsa_exception_fp_ieee_underflow 0
		.amdhsa_exception_fp_ieee_inexact 0
		.amdhsa_exception_int_div_zero 0
	.end_amdhsa_kernel
	.section	.text._ZN5aiter24add_rmsnorm_quant_kernelIDF16_DF16_Li256ELi8ELb1ELb0ELb0ELi1EEEvPT0_PT_PfS4_S4_S4_diiiiiiib,"axG",@progbits,_ZN5aiter24add_rmsnorm_quant_kernelIDF16_DF16_Li256ELi8ELb1ELb0ELb0ELi1EEEvPT0_PT_PfS4_S4_S4_diiiiiiib,comdat
.Lfunc_end123:
	.size	_ZN5aiter24add_rmsnorm_quant_kernelIDF16_DF16_Li256ELi8ELb1ELb0ELb0ELi1EEEvPT0_PT_PfS4_S4_S4_diiiiiiib, .Lfunc_end123-_ZN5aiter24add_rmsnorm_quant_kernelIDF16_DF16_Li256ELi8ELb1ELb0ELb0ELi1EEEvPT0_PT_PfS4_S4_S4_diiiiiiib
                                        ; -- End function
	.section	.AMDGPU.csdata,"",@progbits
; Kernel info:
; codeLenInByte = 1136
; NumSgprs: 24
; NumVgprs: 25
; ScratchSize: 0
; MemoryBound: 0
; FloatMode: 240
; IeeeMode: 1
; LDSByteSize: 32 bytes/workgroup (compile time only)
; SGPRBlocks: 2
; VGPRBlocks: 3
; NumSGPRsForWavesPerEU: 24
; NumVGPRsForWavesPerEU: 25
; Occupancy: 16
; WaveLimiterHint : 0
; COMPUTE_PGM_RSRC2:SCRATCH_EN: 0
; COMPUTE_PGM_RSRC2:USER_SGPR: 15
; COMPUTE_PGM_RSRC2:TRAP_HANDLER: 0
; COMPUTE_PGM_RSRC2:TGID_X_EN: 1
; COMPUTE_PGM_RSRC2:TGID_Y_EN: 0
; COMPUTE_PGM_RSRC2:TGID_Z_EN: 0
; COMPUTE_PGM_RSRC2:TIDIG_COMP_CNT: 0
	.section	.text._ZN5aiter24add_rmsnorm_quant_kernelIttLi256ELi8ELb1ELb0ELb0ELi1EEEvPT0_PT_PfS4_S4_S4_diiiiiiib,"axG",@progbits,_ZN5aiter24add_rmsnorm_quant_kernelIttLi256ELi8ELb1ELb0ELb0ELi1EEEvPT0_PT_PfS4_S4_S4_diiiiiiib,comdat
	.protected	_ZN5aiter24add_rmsnorm_quant_kernelIttLi256ELi8ELb1ELb0ELb0ELi1EEEvPT0_PT_PfS4_S4_S4_diiiiiiib ; -- Begin function _ZN5aiter24add_rmsnorm_quant_kernelIttLi256ELi8ELb1ELb0ELb0ELi1EEEvPT0_PT_PfS4_S4_S4_diiiiiiib
	.globl	_ZN5aiter24add_rmsnorm_quant_kernelIttLi256ELi8ELb1ELb0ELb0ELi1EEEvPT0_PT_PfS4_S4_S4_diiiiiiib
	.p2align	8
	.type	_ZN5aiter24add_rmsnorm_quant_kernelIttLi256ELi8ELb1ELb0ELb0ELi1EEEvPT0_PT_PfS4_S4_S4_diiiiiiib,@function
_ZN5aiter24add_rmsnorm_quant_kernelIttLi256ELi8ELb1ELb0ELb0ELi1EEEvPT0_PT_PfS4_S4_S4_diiiiiiib: ; @_ZN5aiter24add_rmsnorm_quant_kernelIttLi256ELi8ELb1ELb0ELb0ELi1EEEvPT0_PT_PfS4_S4_S4_diiiiiiib
; %bb.0:
	s_load_b128 s[16:19], s[0:1], 0x38
	s_mov_b32 s20, s15
	s_mov_b32 s21, 0
	s_waitcnt lgkmcnt(0)
	s_ashr_i32 s3, s16, 31
	s_mov_b32 s2, s16
	s_delay_alu instid0(SALU_CYCLE_1) | instskip(NEXT) | instid1(VALU_DEP_1)
	v_cmp_ge_i64_e64 s2, s[20:21], s[2:3]
	s_and_b32 vcc_lo, exec_lo, s2
	s_cbranch_vccnz .LBB124_4
; %bb.1:
	s_load_b256 s[4:11], s[0:1], 0x18
	s_ashr_i32 s3, s18, 31
	s_mul_hi_u32 s12, s18, s20
	s_mul_i32 s3, s3, s20
	s_mul_i32 s2, s18, s20
	s_add_i32 s3, s12, s3
	s_mul_hi_u32 s14, s19, s20
	s_lshl_b64 s[2:3], s[2:3], 1
	v_lshlrev_b32_e32 v5, 4, v0
	s_mul_i32 s18, s19, s20
	s_mov_b32 s15, -1
	s_waitcnt lgkmcnt(0)
	s_add_u32 s12, s4, s2
	s_addc_u32 s2, s5, s3
	s_add_i32 s3, s17, 1
	s_and_b32 s5, s9, 0xffff
	s_ashr_i32 s4, s19, 31
	s_lshr_b32 s9, s3, 31
	s_mul_i32 s4, s4, s20
	s_add_i32 s3, s3, s9
	s_and_b32 s13, s2, 0xffff
	s_lshl_b32 s2, s3, 1
	s_add_i32 s19, s14, s4
	s_and_b32 s14, s2, -4
	s_lshl_b64 s[2:3], s[18:19], 1
	buffer_load_b128 v[6:9], v5, s[12:15], 0 offen glc slc
	s_add_u32 s12, s6, s2
	s_addc_u32 s2, s7, s3
	s_mov_b32 s7, s15
	s_and_b32 s13, s2, 0xffff
	s_mov_b32 s4, s8
	buffer_load_b128 v[10:13], v5, s[12:15], 0 offen glc slc
	s_mov_b32 s6, s14
	s_waitcnt vmcnt(1)
	v_lshrrev_b32_e32 v16, 16, v8
	v_and_b32_e32 v18, 0xffff, v8
	v_lshrrev_b32_e32 v15, 16, v7
	v_lshrrev_b32_e32 v19, 16, v9
	s_waitcnt vmcnt(0)
	v_and_b32_e32 v8, 0xffff, v10
	v_lshrrev_b32_e32 v17, 16, v10
	s_delay_alu instid0(VALU_DEP_2) | instskip(SKIP_2) | instid1(VALU_DEP_4)
	v_cvt_f32_u32_e32 v8, v8
	v_and_b32_e32 v14, 0xffff, v6
	v_lshrrev_b32_e32 v6, 16, v6
	v_cvt_f32_u32_e32 v10, v17
	s_delay_alu instid0(VALU_DEP_2) | instskip(NEXT) | instid1(VALU_DEP_1)
	v_cvt_f32_u32_e32 v6, v6
	v_add_f32_e32 v6, v6, v10
	buffer_load_b128 v[1:4], v5, s[4:7], 0 offen
	v_and_b32_e32 v7, 0xffff, v7
	s_clause 0x1
	s_load_b64 s[4:5], s[0:1], 0x48
	s_load_b128 s[0:3], s[0:1], 0x0
	v_mul_f32_e32 v20, v6, v6
	v_cvt_f32_u32_e32 v10, v7
	v_and_b32_e32 v17, 0xffff, v9
	v_cvt_f32_u32_e32 v9, v14
	v_and_b32_e32 v14, 0xffff, v11
	v_lshrrev_b32_e32 v11, 16, v11
	s_delay_alu instid0(VALU_DEP_3) | instskip(NEXT) | instid1(VALU_DEP_3)
	v_add_f32_e32 v7, v9, v8
	v_cvt_f32_u32_e32 v14, v14
	v_cvt_f32_u32_e32 v9, v15
	v_and_b32_e32 v15, 0xffff, v12
	v_cvt_f32_u32_e32 v11, v11
	v_fmac_f32_e32 v20, v7, v7
	v_add_f32_e32 v8, v10, v14
	v_lshrrev_b32_e32 v12, 16, v12
	v_cvt_f32_u32_e32 v14, v15
	v_add_f32_e32 v9, v9, v11
	v_cvt_f32_u32_e32 v10, v18
	v_dual_fmac_f32 v20, v8, v8 :: v_dual_and_b32 v15, 0xffff, v13
	v_cvt_f32_u32_e32 v11, v16
	v_cvt_f32_u32_e32 v12, v12
	s_delay_alu instid0(VALU_DEP_4) | instskip(NEXT) | instid1(VALU_DEP_4)
	v_add_f32_e32 v10, v10, v14
	v_fmac_f32_e32 v20, v9, v9
	v_cvt_f32_u32_e32 v14, v17
	v_lshrrev_b32_e32 v13, 16, v13
	v_cvt_f32_u32_e32 v15, v15
	s_delay_alu instid0(VALU_DEP_4) | instskip(SKIP_1) | instid1(VALU_DEP_4)
	v_dual_add_f32 v11, v11, v12 :: v_dual_fmac_f32 v20, v10, v10
	v_cvt_f32_u32_e32 v16, v19
	v_cvt_f32_u32_e32 v13, v13
	s_delay_alu instid0(VALU_DEP_4)
	v_add_f32_e32 v12, v14, v15
	s_waitcnt lgkmcnt(0)
	s_ashr_i32 s6, s4, 31
	v_fmac_f32_e32 v20, v11, v11
	s_mul_hi_u32 s7, s4, s20
	v_add_f32_e32 v13, v16, v13
	s_mul_i32 s8, s6, s20
	s_mul_i32 s6, s4, s20
	v_fmac_f32_e32 v20, v12, v12
	s_add_i32 s7, s7, s8
	v_perm_b32 v19, v13, v12, 0x7060302
	s_lshl_b64 s[6:7], s[6:7], 1
	v_perm_b32 v18, v11, v10, 0x7060302
	v_fmac_f32_e32 v20, v13, v13
	s_add_u32 s12, s2, s6
	v_perm_b32 v17, v9, v8, 0x7060302
	v_perm_b32 v16, v6, v7, 0x7060302
	s_addc_u32 s2, s3, s7
	v_mov_b32_dpp v14, v20 quad_perm:[1,0,3,2] row_mask:0xf bank_mask:0xf
	s_and_b32 s13, s2, 0xffff
	s_mov_b32 s2, exec_lo
	buffer_store_b128 v[16:19], v5, s[12:15], 0 offen glc slc
	;;#ASMSTART
	s_nop 0
	;;#ASMEND
	v_add_f32_e32 v14, v20, v14
	v_and_b32_e32 v20, 31, v0
	s_delay_alu instid0(VALU_DEP_2) | instskip(NEXT) | instid1(VALU_DEP_1)
	v_mov_b32_dpp v15, v14 quad_perm:[2,3,0,1] row_mask:0xf bank_mask:0xf
	v_add_f32_e32 v14, v14, v15
	s_delay_alu instid0(VALU_DEP_1) | instskip(NEXT) | instid1(VALU_DEP_1)
	v_mov_b32_dpp v15, v14 row_xmask:7 row_mask:0xf bank_mask:0xf
	v_add_f32_e32 v14, v14, v15
	s_delay_alu instid0(VALU_DEP_1)
	v_mov_b32_dpp v15, v14 row_xmask:15 row_mask:0xf bank_mask:0xf
	v_cmpx_eq_u32_e32 31, v20
	s_cbranch_execz .LBB124_3
; %bb.2:
	s_delay_alu instid0(VALU_DEP_2) | instskip(SKIP_2) | instid1(VALU_DEP_2)
	v_add_f32_e32 v14, v14, v15
	s_mov_b32 s3, 0x76543210
	v_lshrrev_b32_e32 v15, 3, v0
	v_permlanex16_b32 v16, v14, s3, 0xfedcba98 op_sel:[1,1]
	s_delay_alu instid0(VALU_DEP_1)
	v_dual_add_f32 v14, v14, v16 :: v_dual_and_b32 v15, 0x7c, v15
	ds_store_b32 v15, v14
.LBB124_3:
	s_or_b32 exec_lo, exec_lo, s2
	v_and_b32_e32 v0, 7, v0
	s_waitcnt vmcnt(0) lgkmcnt(0)
	s_waitcnt_vscnt null, 0x0
	s_barrier
	buffer_gl0_inv
	v_cvt_f32_i32_e32 v15, s17
	v_lshlrev_b32_e32 v0, 2, v0
	s_ashr_i32 s3, s5, 31
	s_mul_hi_u32 s4, s5, s20
	s_mul_i32 s3, s3, s20
	s_mul_i32 s2, s5, s20
	ds_load_b32 v0, v0
	s_add_i32 s3, s4, s3
	s_delay_alu instid0(SALU_CYCLE_1) | instskip(NEXT) | instid1(SALU_CYCLE_1)
	s_lshl_b64 s[2:3], s[2:3], 1
	s_add_u32 s12, s0, s2
	s_addc_u32 s0, s1, s3
	s_delay_alu instid0(SALU_CYCLE_1) | instskip(SKIP_2) | instid1(VALU_DEP_1)
	s_and_b32 s13, s0, 0xffff
	s_waitcnt lgkmcnt(0)
	v_mov_b32_dpp v14, v0 quad_perm:[1,0,3,2] row_mask:0xf bank_mask:0xf
	v_add_f32_e32 v0, v0, v14
	s_delay_alu instid0(VALU_DEP_1) | instskip(NEXT) | instid1(VALU_DEP_1)
	v_mov_b32_dpp v14, v0 quad_perm:[2,3,0,1] row_mask:0xf bank_mask:0xf
	v_add_f32_e32 v0, v0, v14
	s_delay_alu instid0(VALU_DEP_1) | instskip(NEXT) | instid1(VALU_DEP_1)
	v_mov_b32_dpp v14, v0 row_xmask:7 row_mask:0xf bank_mask:0xf
	v_add_f32_e32 v0, v0, v14
	s_delay_alu instid0(VALU_DEP_1) | instskip(SKIP_1) | instid1(VALU_DEP_2)
	v_div_scale_f32 v14, null, v15, v15, v0
	v_div_scale_f32 v18, vcc_lo, v0, v15, v0
	v_rcp_f32_e32 v16, v14
	s_waitcnt_depctr 0xfff
	v_fma_f32 v17, -v14, v16, 1.0
	s_delay_alu instid0(VALU_DEP_1) | instskip(NEXT) | instid1(VALU_DEP_1)
	v_fmac_f32_e32 v16, v17, v16
	v_mul_f32_e32 v17, v18, v16
	s_delay_alu instid0(VALU_DEP_1) | instskip(NEXT) | instid1(VALU_DEP_1)
	v_fma_f32 v19, -v14, v17, v18
	v_fmac_f32_e32 v17, v19, v16
	s_delay_alu instid0(VALU_DEP_1) | instskip(NEXT) | instid1(VALU_DEP_1)
	v_fma_f32 v14, -v14, v17, v18
	v_div_fmas_f32 v14, v14, v16, v17
	v_lshrrev_b32_e32 v16, 16, v3
	v_and_b32_e32 v3, 0xffff, v3
	v_lshrrev_b32_e32 v17, 16, v4
	s_delay_alu instid0(VALU_DEP_4) | instskip(NEXT) | instid1(VALU_DEP_4)
	v_div_fixup_f32 v0, v14, v15, v0
	v_cvt_f32_u32_e32 v16, v16
	s_delay_alu instid0(VALU_DEP_4) | instskip(NEXT) | instid1(VALU_DEP_4)
	v_cvt_f32_u32_e32 v3, v3
	v_cvt_f32_u32_e32 v17, v17
	s_delay_alu instid0(VALU_DEP_4) | instskip(NEXT) | instid1(VALU_DEP_1)
	v_cvt_f64_f32_e32 v[14:15], v0
	v_add_f64 v[14:15], v[14:15], s[10:11]
	s_delay_alu instid0(VALU_DEP_1) | instskip(SKIP_1) | instid1(VALU_DEP_1)
	v_cvt_f32_f64_e32 v0, v[14:15]
	v_lshrrev_b32_e32 v15, 16, v2
	v_cvt_f32_u32_e32 v15, v15
	s_delay_alu instid0(VALU_DEP_3) | instskip(SKIP_1) | instid1(VALU_DEP_2)
	v_mul_f32_e32 v14, 0x4b800000, v0
	v_cmp_gt_f32_e32 vcc_lo, 0x800000, v0
	v_cndmask_b32_e32 v0, v0, v14, vcc_lo
	v_lshrrev_b32_e32 v14, 16, v1
	v_and_b32_e32 v1, 0xffff, v1
	s_delay_alu instid0(VALU_DEP_3) | instskip(NEXT) | instid1(VALU_DEP_2)
	v_rsq_f32_e32 v0, v0
	v_cvt_f32_u32_e32 v14, v14
	s_delay_alu instid0(VALU_DEP_2) | instskip(SKIP_2) | instid1(VALU_DEP_1)
	v_cvt_f32_u32_e32 v1, v1
	s_waitcnt_depctr 0xfff
	v_mul_f32_e32 v18, 0x45800000, v0
	v_cndmask_b32_e32 v0, v0, v18, vcc_lo
	v_and_b32_e32 v2, 0xffff, v2
	s_delay_alu instid0(VALU_DEP_2) | instskip(SKIP_1) | instid1(VALU_DEP_2)
	v_dual_mul_f32 v11, v0, v11 :: v_dual_and_b32 v4, 0xffff, v4
	v_mul_f32_e32 v6, v6, v0
	v_cvt_f32_u32_e32 v4, v4
	v_mul_f32_e32 v7, v7, v0
	v_cvt_f32_u32_e32 v2, v2
	v_mul_f32_e32 v8, v0, v8
	v_mul_f32_e32 v9, v0, v9
	v_mul_f32_e32 v10, v0, v10
	v_mul_f32_e32 v12, v0, v12
	v_mul_f32_e32 v0, v0, v13
	v_mul_f32_e32 v7, v7, v1
	s_delay_alu instid0(VALU_DEP_4) | instskip(NEXT) | instid1(VALU_DEP_4)
	v_dual_mul_f32 v1, v8, v2 :: v_dual_mul_f32 v2, v10, v3
	v_mul_f32_e32 v3, v12, v4
	s_delay_alu instid0(VALU_DEP_4) | instskip(SKIP_3) | instid1(VALU_DEP_4)
	v_mul_f32_e32 v0, v0, v17
	v_mul_f32_e32 v4, v11, v16
	;; [unrolled: 1-line block ×4, first 2 shown]
	v_perm_b32 v3, v0, v3, 0x7060302
	s_delay_alu instid0(VALU_DEP_4) | instskip(NEXT) | instid1(VALU_DEP_4)
	v_perm_b32 v2, v4, v2, 0x7060302
	v_perm_b32 v1, v8, v1, 0x7060302
	s_delay_alu instid0(VALU_DEP_4)
	v_perm_b32 v0, v6, v7, 0x7060302
	buffer_store_b128 v[0:3], v5, s[12:15], 0 offen
	;;#ASMSTART
	s_nop 0
	;;#ASMEND
.LBB124_4:
	s_nop 0
	s_sendmsg sendmsg(MSG_DEALLOC_VGPRS)
	s_endpgm
	.section	.rodata,"a",@progbits
	.p2align	6, 0x0
	.amdhsa_kernel _ZN5aiter24add_rmsnorm_quant_kernelIttLi256ELi8ELb1ELb0ELb0ELi1EEEvPT0_PT_PfS4_S4_S4_diiiiiiib
		.amdhsa_group_segment_fixed_size 32
		.amdhsa_private_segment_fixed_size 0
		.amdhsa_kernarg_size 88
		.amdhsa_user_sgpr_count 15
		.amdhsa_user_sgpr_dispatch_ptr 0
		.amdhsa_user_sgpr_queue_ptr 0
		.amdhsa_user_sgpr_kernarg_segment_ptr 1
		.amdhsa_user_sgpr_dispatch_id 0
		.amdhsa_user_sgpr_private_segment_size 0
		.amdhsa_wavefront_size32 1
		.amdhsa_uses_dynamic_stack 0
		.amdhsa_enable_private_segment 0
		.amdhsa_system_sgpr_workgroup_id_x 1
		.amdhsa_system_sgpr_workgroup_id_y 0
		.amdhsa_system_sgpr_workgroup_id_z 0
		.amdhsa_system_sgpr_workgroup_info 0
		.amdhsa_system_vgpr_workitem_id 0
		.amdhsa_next_free_vgpr 21
		.amdhsa_next_free_sgpr 22
		.amdhsa_reserve_vcc 1
		.amdhsa_float_round_mode_32 0
		.amdhsa_float_round_mode_16_64 0
		.amdhsa_float_denorm_mode_32 3
		.amdhsa_float_denorm_mode_16_64 3
		.amdhsa_dx10_clamp 1
		.amdhsa_ieee_mode 1
		.amdhsa_fp16_overflow 0
		.amdhsa_workgroup_processor_mode 1
		.amdhsa_memory_ordered 1
		.amdhsa_forward_progress 0
		.amdhsa_shared_vgpr_count 0
		.amdhsa_exception_fp_ieee_invalid_op 0
		.amdhsa_exception_fp_denorm_src 0
		.amdhsa_exception_fp_ieee_div_zero 0
		.amdhsa_exception_fp_ieee_overflow 0
		.amdhsa_exception_fp_ieee_underflow 0
		.amdhsa_exception_fp_ieee_inexact 0
		.amdhsa_exception_int_div_zero 0
	.end_amdhsa_kernel
	.section	.text._ZN5aiter24add_rmsnorm_quant_kernelIttLi256ELi8ELb1ELb0ELb0ELi1EEEvPT0_PT_PfS4_S4_S4_diiiiiiib,"axG",@progbits,_ZN5aiter24add_rmsnorm_quant_kernelIttLi256ELi8ELb1ELb0ELb0ELi1EEEvPT0_PT_PfS4_S4_S4_diiiiiiib,comdat
.Lfunc_end124:
	.size	_ZN5aiter24add_rmsnorm_quant_kernelIttLi256ELi8ELb1ELb0ELb0ELi1EEEvPT0_PT_PfS4_S4_S4_diiiiiiib, .Lfunc_end124-_ZN5aiter24add_rmsnorm_quant_kernelIttLi256ELi8ELb1ELb0ELb0ELi1EEEvPT0_PT_PfS4_S4_S4_diiiiiiib
                                        ; -- End function
	.section	.AMDGPU.csdata,"",@progbits
; Kernel info:
; codeLenInByte = 1304
; NumSgprs: 24
; NumVgprs: 21
; ScratchSize: 0
; MemoryBound: 0
; FloatMode: 240
; IeeeMode: 1
; LDSByteSize: 32 bytes/workgroup (compile time only)
; SGPRBlocks: 2
; VGPRBlocks: 2
; NumSGPRsForWavesPerEU: 24
; NumVGPRsForWavesPerEU: 21
; Occupancy: 16
; WaveLimiterHint : 0
; COMPUTE_PGM_RSRC2:SCRATCH_EN: 0
; COMPUTE_PGM_RSRC2:USER_SGPR: 15
; COMPUTE_PGM_RSRC2:TRAP_HANDLER: 0
; COMPUTE_PGM_RSRC2:TGID_X_EN: 1
; COMPUTE_PGM_RSRC2:TGID_Y_EN: 0
; COMPUTE_PGM_RSRC2:TGID_Z_EN: 0
; COMPUTE_PGM_RSRC2:TIDIG_COMP_CNT: 0
	.section	.text._ZN5aiter24add_rmsnorm_quant_kernelIDF16_DF16_Li256ELi16ELb1ELb0ELb1ELi1EEEvPT0_PT_PfS4_S4_S4_diiiiiiib,"axG",@progbits,_ZN5aiter24add_rmsnorm_quant_kernelIDF16_DF16_Li256ELi16ELb1ELb0ELb1ELi1EEEvPT0_PT_PfS4_S4_S4_diiiiiiib,comdat
	.protected	_ZN5aiter24add_rmsnorm_quant_kernelIDF16_DF16_Li256ELi16ELb1ELb0ELb1ELi1EEEvPT0_PT_PfS4_S4_S4_diiiiiiib ; -- Begin function _ZN5aiter24add_rmsnorm_quant_kernelIDF16_DF16_Li256ELi16ELb1ELb0ELb1ELi1EEEvPT0_PT_PfS4_S4_S4_diiiiiiib
	.globl	_ZN5aiter24add_rmsnorm_quant_kernelIDF16_DF16_Li256ELi16ELb1ELb0ELb1ELi1EEEvPT0_PT_PfS4_S4_S4_diiiiiiib
	.p2align	8
	.type	_ZN5aiter24add_rmsnorm_quant_kernelIDF16_DF16_Li256ELi16ELb1ELb0ELb1ELi1EEEvPT0_PT_PfS4_S4_S4_diiiiiiib,@function
_ZN5aiter24add_rmsnorm_quant_kernelIDF16_DF16_Li256ELi16ELb1ELb0ELb1ELi1EEEvPT0_PT_PfS4_S4_S4_diiiiiiib: ; @_ZN5aiter24add_rmsnorm_quant_kernelIDF16_DF16_Li256ELi16ELb1ELb0ELb1ELi1EEEvPT0_PT_PfS4_S4_S4_diiiiiiib
; %bb.0:
	s_load_b128 s[16:19], s[0:1], 0x38
	s_mov_b32 s20, s15
	s_mov_b32 s21, 0
	s_waitcnt lgkmcnt(0)
	s_ashr_i32 s3, s16, 31
	s_mov_b32 s2, s16
	s_delay_alu instid0(SALU_CYCLE_1) | instskip(NEXT) | instid1(VALU_DEP_1)
	v_cmp_ge_i64_e64 s2, s[20:21], s[2:3]
	s_and_b32 vcc_lo, exec_lo, s2
	s_cbranch_vccnz .LBB125_4
; %bb.1:
	s_load_b256 s[4:11], s[0:1], 0x18
	s_ashr_i32 s3, s18, 31
	s_mul_hi_u32 s12, s18, s20
	s_mul_i32 s3, s3, s20
	s_mul_i32 s2, s18, s20
	v_lshlrev_b32_e32 v1, 5, v0
	s_add_i32 s3, s12, s3
	v_lshlrev_b32_e32 v2, 4, v0
	s_lshl_b64 s[2:3], s[2:3], 1
	s_mul_hi_u32 s14, s19, s20
	v_and_b32_e32 v1, 0x7c00, v1
	s_mul_i32 s18, s19, s20
	s_mov_b32 s15, -1
	s_movk_i32 s16, 0x200
	v_and_b32_e32 v36, 31, v0
	v_and_or_b32 v9, 0x1f0, v2, v1
	s_waitcnt lgkmcnt(0)
	s_add_u32 s12, s4, s2
	s_addc_u32 s2, s5, s3
	s_add_i32 s3, s17, 1
	s_and_b32 s5, s9, 0xffff
	s_ashr_i32 s4, s19, 31
	s_lshr_b32 s9, s3, 31
	s_mul_i32 s4, s4, s20
	s_add_i32 s3, s3, s9
	s_and_b32 s13, s2, 0xffff
	s_lshl_b32 s2, s3, 1
	s_add_i32 s19, s14, s4
	s_and_b32 s14, s2, -4
	s_lshl_b64 s[2:3], s[18:19], 1
	s_clause 0x1
	buffer_load_b128 v[12:15], v9, s[12:15], 0 offen glc slc
	buffer_load_b128 v[20:23], v9, s[12:15], s16 offen glc slc
	s_add_u32 s12, s6, s2
	s_addc_u32 s2, s7, s3
	s_mov_b32 s7, s15
	s_and_b32 s13, s2, 0xffff
	s_clause 0x1
	buffer_load_b128 v[16:19], v9, s[12:15], 0 offen glc slc
	buffer_load_b128 v[24:27], v9, s[12:15], s16 offen glc slc
	s_mov_b32 s4, s8
	s_mov_b32 s6, s14
	s_clause 0x1
	buffer_load_b128 v[5:8], v9, s[4:7], 0 offen
	buffer_load_b128 v[1:4], v9, s[4:7], s16 offen
	s_clause 0x1
	s_load_b64 s[4:5], s[0:1], 0x48
	s_load_b128 s[0:3], s[0:1], 0x0
	s_waitcnt lgkmcnt(0)
	s_ashr_i32 s6, s4, 31
	s_mul_hi_u32 s7, s4, s20
	s_mul_i32 s8, s6, s20
	s_mul_i32 s6, s4, s20
	s_add_i32 s7, s7, s8
	s_delay_alu instid0(SALU_CYCLE_1) | instskip(NEXT) | instid1(SALU_CYCLE_1)
	s_lshl_b64 s[6:7], s[6:7], 1
	s_add_u32 s12, s2, s6
	s_addc_u32 s2, s3, s7
	s_delay_alu instid0(SALU_CYCLE_1)
	s_and_b32 s13, s2, 0xffff
	s_mov_b32 s2, exec_lo
	s_waitcnt vmcnt(5)
	v_lshrrev_b32_e32 v10, 16, v12
	v_cvt_f32_f16_e32 v12, v12
	v_lshrrev_b32_e32 v28, 16, v13
	v_cvt_f32_f16_e32 v13, v13
	s_delay_alu instid0(VALU_DEP_4)
	v_cvt_f32_f16_e32 v10, v10
	s_waitcnt vmcnt(3)
	v_lshrrev_b32_e32 v11, 16, v16
	v_cvt_f32_f16_e32 v16, v16
	v_lshrrev_b32_e32 v29, 16, v17
	v_cvt_f32_f16_e32 v17, v17
	v_cvt_f32_f16_e32 v28, v28
	;; [unrolled: 1-line block ×3, first 2 shown]
	s_delay_alu instid0(VALU_DEP_4) | instskip(NEXT) | instid1(VALU_DEP_2)
	v_cvt_f32_f16_e32 v29, v29
	v_dual_add_f32 v10, v10, v11 :: v_dual_add_f32 v11, v12, v16
	v_add_f32_e32 v12, v13, v17
	v_lshrrev_b32_e32 v16, 16, v14
	v_cvt_f32_f16_e32 v14, v14
	v_lshrrev_b32_e32 v17, 16, v18
	v_cvt_f32_f16_e32 v18, v18
	v_add_f32_e32 v13, v28, v29
	v_lshrrev_b32_e32 v28, 16, v15
	v_cvt_f32_f16_e32 v16, v16
	v_cvt_f32_f16_e32 v17, v17
	v_cvt_f32_f16_e32 v15, v15
	v_add_f32_e32 v14, v14, v18
	v_lshrrev_b32_e32 v18, 16, v19
	v_cvt_f32_f16_e32 v19, v19
	v_mul_f32_e32 v30, v10, v10
	v_add_f32_e32 v16, v16, v17
	v_lshrrev_b32_e32 v29, 16, v20
	v_cvt_f32_f16_e32 v28, v28
	v_cvt_f32_f16_e32 v18, v18
	v_add_f32_e32 v17, v15, v19
	v_cvt_f32_f16_e32 v15, v20
	s_waitcnt vmcnt(2)
	v_lshrrev_b32_e32 v19, 16, v24
	v_cvt_f32_f16_e32 v24, v24
	v_add_f32_e32 v20, v28, v18
	v_lshrrev_b32_e32 v28, 16, v21
	v_cvt_f32_f16_e32 v18, v29
	v_cvt_f32_f16_e32 v19, v19
	v_add_f32_e32 v15, v15, v24
	v_cvt_f32_f16_e32 v21, v21
	v_lshrrev_b32_e32 v24, 16, v25
	v_cvt_f32_f16_e32 v25, v25
	v_fmac_f32_e32 v30, v11, v11
	v_add_f32_e32 v18, v18, v19
	v_lshrrev_b32_e32 v29, 16, v22
	v_cvt_f32_f16_e32 v28, v28
	s_delay_alu instid0(VALU_DEP_4) | instskip(SKIP_4) | instid1(VALU_DEP_4)
	v_dual_add_f32 v19, v21, v25 :: v_dual_fmac_f32 v30, v12, v12
	v_cvt_f32_f16_e32 v24, v24
	v_lshrrev_b32_e32 v25, 16, v26
	v_cvt_f32_f16_e32 v22, v22
	v_cvt_f32_f16_e32 v26, v26
	v_dual_fmac_f32 v30, v13, v13 :: v_dual_add_f32 v21, v28, v24
	v_cvt_f32_f16_e32 v28, v29
	v_cvt_f32_f16_e32 v25, v25
	v_lshrrev_b32_e32 v24, 16, v23
	s_delay_alu instid0(VALU_DEP_4)
	v_fmac_f32_e32 v30, v14, v14
	v_add_f32_e32 v22, v22, v26
	v_cvt_f32_f16_e32 v26, v23
	v_add_f32_e32 v23, v28, v25
	v_lshrrev_b32_e32 v29, 16, v27
	v_fmac_f32_e32 v30, v16, v16
	v_cvt_f32_f16_e32 v25, v24
	v_cvt_f32_f16_e32 v27, v27
	v_cvt_f16_f32_e32 v31, v17
	v_cvt_f32_f16_e32 v28, v29
	v_fmac_f32_e32 v30, v17, v17
	v_cvt_f16_f32_e32 v29, v14
	v_add_f32_e32 v24, v26, v27
	v_cvt_f16_f32_e32 v27, v11
	v_add_f32_e32 v25, v25, v28
	v_fmac_f32_e32 v30, v20, v20
	v_cvt_f16_f32_e32 v28, v12
	v_cvt_f16_f32_e32 v32, v15
	v_cvt_f16_f32_e32 v33, v19
	v_cvt_f16_f32_e32 v34, v22
	v_fmac_f32_e32 v30, v15, v15
	v_cvt_f16_f32_e32 v35, v24
	v_cvt_f16_f32_e32 v37, v10
	v_cvt_f16_f32_e32 v38, v13
	v_cvt_f16_f32_e32 v39, v16
	;; [unrolled: 5-line block ×3, first 2 shown]
	v_fmac_f32_e32 v30, v19, v19
	v_cvt_f16_f32_e32 v44, v25
	v_pack_b32_f16 v31, v31, v40
	v_pack_b32_f16 v33, v33, v42
	;; [unrolled: 1-line block ×3, first 2 shown]
	v_fmac_f32_e32 v30, v21, v21
	v_pack_b32_f16 v35, v35, v44
	v_pack_b32_f16 v32, v32, v41
	s_delay_alu instid0(VALU_DEP_3) | instskip(NEXT) | instid1(VALU_DEP_1)
	v_fmac_f32_e32 v30, v22, v22
	v_fmac_f32_e32 v30, v23, v23
	s_delay_alu instid0(VALU_DEP_1) | instskip(NEXT) | instid1(VALU_DEP_1)
	v_fmac_f32_e32 v30, v24, v24
	v_fmac_f32_e32 v30, v25, v25
	s_delay_alu instid0(VALU_DEP_1) | instskip(NEXT) | instid1(VALU_DEP_1)
	v_mov_b32_dpp v26, v30 quad_perm:[1,0,3,2] row_mask:0xf bank_mask:0xf
	v_add_f32_e32 v26, v30, v26
	s_delay_alu instid0(VALU_DEP_1) | instskip(NEXT) | instid1(VALU_DEP_1)
	v_mov_b32_dpp v30, v26 quad_perm:[2,3,0,1] row_mask:0xf bank_mask:0xf
	v_add_f32_e32 v26, v26, v30
	v_pack_b32_f16 v30, v29, v39
	v_pack_b32_f16 v29, v28, v38
	;; [unrolled: 1-line block ×3, first 2 shown]
	s_delay_alu instid0(VALU_DEP_4)
	v_mov_b32_dpp v45, v26 row_xmask:7 row_mask:0xf bank_mask:0xf
	buffer_store_b128 v[28:31], v9, s[12:15], 0 offen glc slc
	;;#ASMSTART
	s_nop 0
	;;#ASMEND
	v_add_f32_e32 v26, v26, v45
	buffer_store_b128 v[32:35], v9, s[12:15], s16 offen glc slc
	;;#ASMSTART
	s_nop 0
	;;#ASMEND
	v_mov_b32_dpp v27, v26 row_xmask:15 row_mask:0xf bank_mask:0xf
	v_cmpx_eq_u32_e32 31, v36
	s_cbranch_execz .LBB125_3
; %bb.2:
	s_delay_alu instid0(VALU_DEP_2) | instskip(SKIP_2) | instid1(VALU_DEP_2)
	v_add_f32_e32 v26, v26, v27
	s_mov_b32 s3, 0x76543210
	v_lshrrev_b32_e32 v27, 3, v0
	v_permlanex16_b32 v28, v26, s3, 0xfedcba98 op_sel:[1,1]
	s_delay_alu instid0(VALU_DEP_1)
	v_dual_add_f32 v26, v26, v28 :: v_dual_and_b32 v27, 0x7c, v27
	ds_store_b32 v27, v26
.LBB125_3:
	s_or_b32 exec_lo, exec_lo, s2
	v_and_b32_e32 v0, 7, v0
	s_waitcnt vmcnt(0) lgkmcnt(0)
	s_waitcnt_vscnt null, 0x0
	s_barrier
	buffer_gl0_inv
	v_cvt_f32_i32_e32 v27, s17
	v_lshlrev_b32_e32 v0, 2, v0
	s_ashr_i32 s2, s5, 31
	s_mul_hi_u32 s3, s5, s20
	s_mul_i32 s4, s2, s20
	s_mul_i32 s2, s5, s20
	ds_load_b32 v0, v0
	s_add_i32 s3, s3, s4
	s_delay_alu instid0(SALU_CYCLE_1) | instskip(NEXT) | instid1(SALU_CYCLE_1)
	s_lshl_b64 s[2:3], s[2:3], 1
	s_add_u32 s12, s0, s2
	s_addc_u32 s0, s1, s3
	s_delay_alu instid0(SALU_CYCLE_1) | instskip(SKIP_2) | instid1(VALU_DEP_1)
	s_and_b32 s13, s0, 0xffff
	s_waitcnt lgkmcnt(0)
	v_mov_b32_dpp v26, v0 quad_perm:[1,0,3,2] row_mask:0xf bank_mask:0xf
	v_add_f32_e32 v0, v0, v26
	s_delay_alu instid0(VALU_DEP_1) | instskip(NEXT) | instid1(VALU_DEP_1)
	v_mov_b32_dpp v26, v0 quad_perm:[2,3,0,1] row_mask:0xf bank_mask:0xf
	v_add_f32_e32 v0, v0, v26
	s_delay_alu instid0(VALU_DEP_1) | instskip(NEXT) | instid1(VALU_DEP_1)
	v_mov_b32_dpp v26, v0 row_xmask:7 row_mask:0xf bank_mask:0xf
	v_add_f32_e32 v0, v0, v26
	s_delay_alu instid0(VALU_DEP_1) | instskip(SKIP_1) | instid1(VALU_DEP_2)
	v_div_scale_f32 v26, null, v27, v27, v0
	v_div_scale_f32 v30, vcc_lo, v0, v27, v0
	v_rcp_f32_e32 v28, v26
	s_waitcnt_depctr 0xfff
	v_fma_f32 v29, -v26, v28, 1.0
	s_delay_alu instid0(VALU_DEP_1) | instskip(NEXT) | instid1(VALU_DEP_1)
	v_fmac_f32_e32 v28, v29, v28
	v_mul_f32_e32 v29, v30, v28
	s_delay_alu instid0(VALU_DEP_1) | instskip(NEXT) | instid1(VALU_DEP_1)
	v_fma_f32 v31, -v26, v29, v30
	v_fmac_f32_e32 v29, v31, v28
	s_delay_alu instid0(VALU_DEP_1) | instskip(NEXT) | instid1(VALU_DEP_1)
	v_fma_f32 v26, -v26, v29, v30
	v_div_fmas_f32 v26, v26, v28, v29
	s_delay_alu instid0(VALU_DEP_1) | instskip(NEXT) | instid1(VALU_DEP_1)
	v_div_fixup_f32 v0, v26, v27, v0
	v_cvt_f64_f32_e32 v[26:27], v0
	s_delay_alu instid0(VALU_DEP_1) | instskip(NEXT) | instid1(VALU_DEP_1)
	v_add_f64 v[26:27], v[26:27], s[10:11]
	v_cvt_f32_f64_e32 v0, v[26:27]
	s_delay_alu instid0(VALU_DEP_1) | instskip(SKIP_1) | instid1(VALU_DEP_2)
	v_mul_f32_e32 v26, 0x4b800000, v0
	v_cmp_gt_f32_e32 vcc_lo, 0x800000, v0
	v_cndmask_b32_e32 v0, v0, v26, vcc_lo
	s_delay_alu instid0(VALU_DEP_1) | instskip(SKIP_2) | instid1(VALU_DEP_1)
	v_rsq_f32_e32 v0, v0
	s_waitcnt_depctr 0xfff
	v_mul_f32_e32 v26, 0x45800000, v0
	v_cndmask_b32_e32 v0, v0, v26, vcc_lo
	s_delay_alu instid0(VALU_DEP_1)
	v_mul_f32_e32 v26, v10, v0
	v_mul_f32_e32 v10, v11, v0
	;; [unrolled: 1-line block ×16, first 2 shown]
	v_fma_mixlo_f16 v10, v10, v5, 0 op_sel_hi:[0,1,0]
	v_fma_mixlo_f16 v11, v11, v6, 0 op_sel_hi:[0,1,0]
	;; [unrolled: 1-line block ×8, first 2 shown]
	v_fma_mixhi_f16 v13, v20, v8, 0 op_sel:[0,1,0] op_sel_hi:[0,1,0]
	v_fma_mixhi_f16 v12, v28, v7, 0 op_sel:[0,1,0] op_sel_hi:[0,1,0]
	v_fma_mixhi_f16 v11, v27, v6, 0 op_sel:[0,1,0] op_sel_hi:[0,1,0]
	v_fma_mixhi_f16 v10, v26, v5, 0 op_sel:[0,1,0] op_sel_hi:[0,1,0]
	v_fma_mixhi_f16 v17, v22, v4, 0 op_sel:[0,1,0] op_sel_hi:[0,1,0]
	v_fma_mixhi_f16 v16, v19, v3, 0 op_sel:[0,1,0] op_sel_hi:[0,1,0]
	v_fma_mixhi_f16 v15, v21, v2, 0 op_sel:[0,1,0] op_sel_hi:[0,1,0]
	v_fma_mixhi_f16 v14, v18, v1, 0 op_sel:[0,1,0] op_sel_hi:[0,1,0]
	buffer_store_b128 v[10:13], v9, s[12:15], 0 offen
	;;#ASMSTART
	s_nop 0
	;;#ASMEND
	buffer_store_b128 v[14:17], v9, s[12:15], s16 offen
	;;#ASMSTART
	s_nop 0
	;;#ASMEND
.LBB125_4:
	s_nop 0
	s_sendmsg sendmsg(MSG_DEALLOC_VGPRS)
	s_endpgm
	.section	.rodata,"a",@progbits
	.p2align	6, 0x0
	.amdhsa_kernel _ZN5aiter24add_rmsnorm_quant_kernelIDF16_DF16_Li256ELi16ELb1ELb0ELb1ELi1EEEvPT0_PT_PfS4_S4_S4_diiiiiiib
		.amdhsa_group_segment_fixed_size 32
		.amdhsa_private_segment_fixed_size 0
		.amdhsa_kernarg_size 88
		.amdhsa_user_sgpr_count 15
		.amdhsa_user_sgpr_dispatch_ptr 0
		.amdhsa_user_sgpr_queue_ptr 0
		.amdhsa_user_sgpr_kernarg_segment_ptr 1
		.amdhsa_user_sgpr_dispatch_id 0
		.amdhsa_user_sgpr_private_segment_size 0
		.amdhsa_wavefront_size32 1
		.amdhsa_uses_dynamic_stack 0
		.amdhsa_enable_private_segment 0
		.amdhsa_system_sgpr_workgroup_id_x 1
		.amdhsa_system_sgpr_workgroup_id_y 0
		.amdhsa_system_sgpr_workgroup_id_z 0
		.amdhsa_system_sgpr_workgroup_info 0
		.amdhsa_system_vgpr_workitem_id 0
		.amdhsa_next_free_vgpr 46
		.amdhsa_next_free_sgpr 22
		.amdhsa_reserve_vcc 1
		.amdhsa_float_round_mode_32 0
		.amdhsa_float_round_mode_16_64 0
		.amdhsa_float_denorm_mode_32 3
		.amdhsa_float_denorm_mode_16_64 3
		.amdhsa_dx10_clamp 1
		.amdhsa_ieee_mode 1
		.amdhsa_fp16_overflow 0
		.amdhsa_workgroup_processor_mode 1
		.amdhsa_memory_ordered 1
		.amdhsa_forward_progress 0
		.amdhsa_shared_vgpr_count 0
		.amdhsa_exception_fp_ieee_invalid_op 0
		.amdhsa_exception_fp_denorm_src 0
		.amdhsa_exception_fp_ieee_div_zero 0
		.amdhsa_exception_fp_ieee_overflow 0
		.amdhsa_exception_fp_ieee_underflow 0
		.amdhsa_exception_fp_ieee_inexact 0
		.amdhsa_exception_int_div_zero 0
	.end_amdhsa_kernel
	.section	.text._ZN5aiter24add_rmsnorm_quant_kernelIDF16_DF16_Li256ELi16ELb1ELb0ELb1ELi1EEEvPT0_PT_PfS4_S4_S4_diiiiiiib,"axG",@progbits,_ZN5aiter24add_rmsnorm_quant_kernelIDF16_DF16_Li256ELi16ELb1ELb0ELb1ELi1EEEvPT0_PT_PfS4_S4_S4_diiiiiiib,comdat
.Lfunc_end125:
	.size	_ZN5aiter24add_rmsnorm_quant_kernelIDF16_DF16_Li256ELi16ELb1ELb0ELb1ELi1EEEvPT0_PT_PfS4_S4_S4_diiiiiiib, .Lfunc_end125-_ZN5aiter24add_rmsnorm_quant_kernelIDF16_DF16_Li256ELi16ELb1ELb0ELb1ELi1EEEvPT0_PT_PfS4_S4_S4_diiiiiiib
                                        ; -- End function
	.section	.AMDGPU.csdata,"",@progbits
; Kernel info:
; codeLenInByte = 1584
; NumSgprs: 24
; NumVgprs: 46
; ScratchSize: 0
; MemoryBound: 0
; FloatMode: 240
; IeeeMode: 1
; LDSByteSize: 32 bytes/workgroup (compile time only)
; SGPRBlocks: 2
; VGPRBlocks: 5
; NumSGPRsForWavesPerEU: 24
; NumVGPRsForWavesPerEU: 46
; Occupancy: 16
; WaveLimiterHint : 0
; COMPUTE_PGM_RSRC2:SCRATCH_EN: 0
; COMPUTE_PGM_RSRC2:USER_SGPR: 15
; COMPUTE_PGM_RSRC2:TRAP_HANDLER: 0
; COMPUTE_PGM_RSRC2:TGID_X_EN: 1
; COMPUTE_PGM_RSRC2:TGID_Y_EN: 0
; COMPUTE_PGM_RSRC2:TGID_Z_EN: 0
; COMPUTE_PGM_RSRC2:TIDIG_COMP_CNT: 0
	.section	.text._ZN5aiter24add_rmsnorm_quant_kernelIttLi256ELi16ELb1ELb0ELb1ELi1EEEvPT0_PT_PfS4_S4_S4_diiiiiiib,"axG",@progbits,_ZN5aiter24add_rmsnorm_quant_kernelIttLi256ELi16ELb1ELb0ELb1ELi1EEEvPT0_PT_PfS4_S4_S4_diiiiiiib,comdat
	.protected	_ZN5aiter24add_rmsnorm_quant_kernelIttLi256ELi16ELb1ELb0ELb1ELi1EEEvPT0_PT_PfS4_S4_S4_diiiiiiib ; -- Begin function _ZN5aiter24add_rmsnorm_quant_kernelIttLi256ELi16ELb1ELb0ELb1ELi1EEEvPT0_PT_PfS4_S4_S4_diiiiiiib
	.globl	_ZN5aiter24add_rmsnorm_quant_kernelIttLi256ELi16ELb1ELb0ELb1ELi1EEEvPT0_PT_PfS4_S4_S4_diiiiiiib
	.p2align	8
	.type	_ZN5aiter24add_rmsnorm_quant_kernelIttLi256ELi16ELb1ELb0ELb1ELi1EEEvPT0_PT_PfS4_S4_S4_diiiiiiib,@function
_ZN5aiter24add_rmsnorm_quant_kernelIttLi256ELi16ELb1ELb0ELb1ELi1EEEvPT0_PT_PfS4_S4_S4_diiiiiiib: ; @_ZN5aiter24add_rmsnorm_quant_kernelIttLi256ELi16ELb1ELb0ELb1ELi1EEEvPT0_PT_PfS4_S4_S4_diiiiiiib
; %bb.0:
	s_load_b128 s[16:19], s[0:1], 0x38
	s_mov_b32 s20, s15
	s_mov_b32 s21, 0
	s_waitcnt lgkmcnt(0)
	s_ashr_i32 s3, s16, 31
	s_mov_b32 s2, s16
	s_delay_alu instid0(SALU_CYCLE_1) | instskip(NEXT) | instid1(VALU_DEP_1)
	v_cmp_ge_i64_e64 s2, s[20:21], s[2:3]
	s_and_b32 vcc_lo, exec_lo, s2
	s_cbranch_vccnz .LBB126_4
; %bb.1:
	s_load_b256 s[4:11], s[0:1], 0x18
	s_ashr_i32 s2, s18, 31
	s_mul_hi_u32 s3, s18, s20
	s_mul_i32 s12, s2, s20
	s_mul_i32 s2, s18, s20
	s_add_i32 s3, s3, s12
	v_lshlrev_b32_e32 v1, 5, v0
	s_lshl_b64 s[2:3], s[2:3], 1
	v_lshlrev_b32_e32 v2, 4, v0
	s_mov_b32 s15, -1
	s_movk_i32 s16, 0x200
	v_and_b32_e32 v1, 0x7c00, v1
	s_delay_alu instid0(VALU_DEP_1)
	v_and_or_b32 v9, 0x1f0, v2, v1
	s_waitcnt lgkmcnt(0)
	s_add_u32 s12, s4, s2
	s_addc_u32 s2, s5, s3
	s_add_i32 s3, s17, 1
	s_and_b32 s13, s2, 0xffff
	s_lshr_b32 s4, s3, 31
	s_ashr_i32 s2, s19, 31
	s_add_i32 s3, s3, s4
	s_mul_i32 s4, s2, s20
	s_lshl_b32 s3, s3, 1
	s_mul_i32 s2, s19, s20
	s_and_b32 s14, s3, -4
	s_mul_hi_u32 s3, s19, s20
	s_and_b32 s5, s9, 0xffff
	s_add_i32 s3, s3, s4
	s_clause 0x1
	buffer_load_b128 v[10:13], v9, s[12:15], 0 offen glc slc
	buffer_load_b128 v[14:17], v9, s[12:15], s16 offen glc slc
	s_lshl_b64 s[2:3], s[2:3], 1
	s_mov_b32 s4, s8
	s_add_u32 s12, s6, s2
	s_addc_u32 s2, s7, s3
	s_mov_b32 s7, s15
	s_and_b32 s13, s2, 0xffff
	s_clause 0x1
	buffer_load_b128 v[18:21], v9, s[12:15], 0 offen glc slc
	buffer_load_b128 v[22:25], v9, s[12:15], s16 offen glc slc
	s_mov_b32 s6, s14
	s_clause 0x1
	buffer_load_b128 v[5:8], v9, s[4:7], 0 offen
	buffer_load_b128 v[1:4], v9, s[4:7], s16 offen
	s_clause 0x1
	s_load_b64 s[4:5], s[0:1], 0x48
	s_load_b128 s[0:3], s[0:1], 0x0
	s_waitcnt lgkmcnt(0)
	s_ashr_i32 s6, s4, 31
	s_mul_hi_u32 s7, s4, s20
	s_mul_i32 s8, s6, s20
	s_mul_i32 s6, s4, s20
	s_add_i32 s7, s7, s8
	s_delay_alu instid0(SALU_CYCLE_1) | instskip(NEXT) | instid1(SALU_CYCLE_1)
	s_lshl_b64 s[6:7], s[6:7], 1
	s_add_u32 s12, s2, s6
	s_addc_u32 s2, s3, s7
	s_delay_alu instid0(SALU_CYCLE_1)
	s_and_b32 s13, s2, 0xffff
	s_mov_b32 s2, exec_lo
	s_waitcnt vmcnt(5)
	v_and_b32_e32 v29, 0xffff, v12
	s_waitcnt vmcnt(4)
	v_and_b32_e32 v37, 0xffff, v16
	v_lshrrev_b32_e32 v38, 16, v16
	v_and_b32_e32 v39, 0xffff, v17
	v_lshrrev_b32_e32 v40, 16, v17
	v_lshrrev_b32_e32 v30, 16, v12
	;; [unrolled: 1-line block ×4, first 2 shown]
	s_waitcnt vmcnt(3)
	v_lshrrev_b32_e32 v16, 16, v19
	v_and_b32_e32 v17, 0xffff, v20
	v_and_b32_e32 v31, 0xffff, v13
	v_lshrrev_b32_e32 v32, 16, v13
	v_lshrrev_b32_e32 v36, 16, v15
	v_cvt_f32_u32_e32 v16, v16
	v_and_b32_e32 v12, 0xffff, v18
	v_cvt_f32_u32_e32 v17, v17
	v_and_b32_e32 v33, 0xffff, v14
	v_and_b32_e32 v14, 0xffff, v19
	v_lshrrev_b32_e32 v19, 16, v21
	v_cvt_f32_u32_e32 v12, v12
	v_and_b32_e32 v26, 0xffff, v10
	v_lshrrev_b32_e32 v10, 16, v10
	v_cvt_f32_u32_e32 v14, v14
	;; [unrolled: 3-line block ×3, first 2 shown]
	v_cvt_f32_u32_e32 v10, v10
	v_cvt_f32_u32_e32 v19, v19
	s_delay_alu instid0(VALU_DEP_4) | instskip(NEXT) | instid1(VALU_DEP_1)
	v_cvt_f32_u32_e32 v11, v11
	v_dual_add_f32 v10, v10, v11 :: v_dual_add_f32 v11, v13, v12
	v_cvt_f32_u32_e32 v13, v28
	s_waitcnt vmcnt(2)
	v_and_b32_e32 v28, 0xffff, v25
	v_lshrrev_b32_e32 v25, 16, v25
	s_delay_alu instid0(VALU_DEP_3) | instskip(SKIP_2) | instid1(VALU_DEP_3)
	v_dual_mul_f32 v26, v10, v10 :: v_dual_add_f32 v13, v13, v16
	v_and_b32_e32 v35, 0xffff, v15
	v_cvt_f32_u32_e32 v15, v27
	v_fmac_f32_e32 v26, v11, v11
	v_cvt_f32_u32_e32 v16, v30
	v_cvt_f32_u32_e32 v25, v25
	;; [unrolled: 1-line block ×3, first 2 shown]
	v_add_f32_e32 v12, v15, v14
	v_lshrrev_b32_e32 v15, 16, v20
	v_cvt_f32_u32_e32 v14, v29
	v_cvt_f32_u32_e32 v29, v40
	s_delay_alu instid0(VALU_DEP_4) | instskip(NEXT) | instid1(VALU_DEP_4)
	v_dual_fmac_f32 v26, v12, v12 :: v_dual_and_b32 v27, 0xffff, v23
	v_cvt_f32_u32_e32 v15, v15
	s_delay_alu instid0(VALU_DEP_4) | instskip(SKIP_2) | instid1(VALU_DEP_4)
	v_add_f32_e32 v14, v14, v17
	v_cvt_f32_u32_e32 v17, v31
	v_lshrrev_b32_e32 v23, 16, v23
	v_dual_fmac_f32 v26, v13, v13 :: v_dual_add_f32 v15, v16, v15
	v_cvt_f32_u32_e32 v16, v32
	v_and_b32_e32 v18, 0xffff, v21
	v_lshrrev_b32_e32 v21, 16, v22
	s_delay_alu instid0(VALU_DEP_4)
	v_fmac_f32_e32 v26, v14, v14
	v_perm_b32 v30, v15, v14, 0x7060302
	v_add_f32_e32 v19, v16, v19
	v_cvt_f32_u32_e32 v18, v18
	v_cvt_f32_u32_e32 v23, v23
	v_fmac_f32_e32 v26, v15, v15
	v_and_b32_e32 v20, 0xffff, v22
	v_cvt_f32_u32_e32 v22, v34
	v_add_f32_e32 v17, v17, v18
	v_cvt_f32_u32_e32 v18, v33
	v_cvt_f32_u32_e32 v21, v21
	;; [unrolled: 1-line block ×4, first 2 shown]
	v_fmac_f32_e32 v26, v17, v17
	v_add_f32_e32 v25, v29, v25
	v_perm_b32 v31, v19, v17, 0x7060302
	v_add_f32_e32 v16, v18, v20
	v_add_f32_e32 v18, v22, v21
	v_fmac_f32_e32 v26, v19, v19
	v_cvt_f32_u32_e32 v21, v36
	v_and_b32_e32 v22, 0xffff, v24
	v_lshrrev_b32_e32 v24, 16, v24
	v_cvt_f32_u32_e32 v20, v35
	s_delay_alu instid0(VALU_DEP_4) | instskip(SKIP_1) | instid1(VALU_DEP_4)
	v_dual_fmac_f32 v26, v16, v16 :: v_dual_add_f32 v21, v21, v23
	v_cvt_f32_u32_e32 v23, v38
	v_cvt_f32_u32_e32 v24, v24
	s_delay_alu instid0(VALU_DEP_4)
	v_add_f32_e32 v20, v20, v27
	v_cvt_f32_u32_e32 v27, v37
	v_cvt_f32_u32_e32 v22, v22
	v_and_b32_e32 v36, 31, v0
	v_dual_add_f32 v23, v23, v24 :: v_dual_fmac_f32 v26, v18, v18
	v_perm_b32 v29, v13, v12, 0x7060302
	s_delay_alu instid0(VALU_DEP_4)
	v_add_f32_e32 v22, v27, v22
	v_cvt_f32_u32_e32 v27, v39
	v_perm_b32 v33, v21, v20, 0x7060302
	v_fmac_f32_e32 v26, v20, v20
	v_perm_b32 v32, v18, v16, 0x7060302
	v_perm_b32 v34, v23, v22, 0x7060302
	v_add_f32_e32 v24, v27, v28
	v_perm_b32 v28, v10, v11, 0x7060302
	v_fmac_f32_e32 v26, v21, v21
	s_delay_alu instid0(VALU_DEP_3)
	v_perm_b32 v35, v25, v24, 0x7060302
	buffer_store_b128 v[28:31], v9, s[12:15], 0 offen glc slc
	v_fmac_f32_e32 v26, v22, v22
	;;#ASMSTART
	s_nop 0
	;;#ASMEND
	buffer_store_b128 v[32:35], v9, s[12:15], s16 offen glc slc
	;;#ASMSTART
	s_nop 0
	;;#ASMEND
	v_fmac_f32_e32 v26, v23, v23
	s_delay_alu instid0(VALU_DEP_1) | instskip(NEXT) | instid1(VALU_DEP_1)
	v_fmac_f32_e32 v26, v24, v24
	v_fmac_f32_e32 v26, v25, v25
	s_delay_alu instid0(VALU_DEP_1) | instskip(NEXT) | instid1(VALU_DEP_1)
	v_mov_b32_dpp v27, v26 quad_perm:[1,0,3,2] row_mask:0xf bank_mask:0xf
	v_add_f32_e32 v26, v26, v27
	s_delay_alu instid0(VALU_DEP_1) | instskip(NEXT) | instid1(VALU_DEP_1)
	v_mov_b32_dpp v27, v26 quad_perm:[2,3,0,1] row_mask:0xf bank_mask:0xf
	v_add_f32_e32 v26, v26, v27
	s_delay_alu instid0(VALU_DEP_1) | instskip(NEXT) | instid1(VALU_DEP_1)
	v_mov_b32_dpp v27, v26 row_xmask:7 row_mask:0xf bank_mask:0xf
	v_add_f32_e32 v26, v26, v27
	s_delay_alu instid0(VALU_DEP_1)
	v_mov_b32_dpp v27, v26 row_xmask:15 row_mask:0xf bank_mask:0xf
	v_cmpx_eq_u32_e32 31, v36
	s_cbranch_execz .LBB126_3
; %bb.2:
	s_delay_alu instid0(VALU_DEP_2) | instskip(SKIP_2) | instid1(VALU_DEP_2)
	v_add_f32_e32 v26, v26, v27
	s_mov_b32 s3, 0x76543210
	v_lshrrev_b32_e32 v27, 3, v0
	v_permlanex16_b32 v28, v26, s3, 0xfedcba98 op_sel:[1,1]
	s_delay_alu instid0(VALU_DEP_1)
	v_dual_add_f32 v26, v26, v28 :: v_dual_and_b32 v27, 0x7c, v27
	ds_store_b32 v27, v26
.LBB126_3:
	s_or_b32 exec_lo, exec_lo, s2
	v_and_b32_e32 v0, 7, v0
	s_waitcnt vmcnt(0) lgkmcnt(0)
	s_waitcnt_vscnt null, 0x0
	s_barrier
	buffer_gl0_inv
	v_cvt_f32_i32_e32 v27, s17
	v_lshlrev_b32_e32 v0, 2, v0
	v_lshrrev_b32_e32 v32, 16, v3
	v_lshrrev_b32_e32 v34, 16, v4
	s_ashr_i32 s3, s5, 31
	s_mul_hi_u32 s4, s5, s20
	ds_load_b32 v0, v0
	v_cvt_f32_u32_e32 v32, v32
	v_cvt_f32_u32_e32 v34, v34
	s_mul_i32 s3, s3, s20
	s_mul_i32 s2, s5, s20
	s_add_i32 s3, s4, s3
	s_delay_alu instid0(SALU_CYCLE_1) | instskip(NEXT) | instid1(SALU_CYCLE_1)
	s_lshl_b64 s[2:3], s[2:3], 1
	s_add_u32 s12, s0, s2
	s_addc_u32 s0, s1, s3
	s_delay_alu instid0(SALU_CYCLE_1) | instskip(SKIP_2) | instid1(VALU_DEP_1)
	s_and_b32 s13, s0, 0xffff
	s_waitcnt lgkmcnt(0)
	v_mov_b32_dpp v26, v0 quad_perm:[1,0,3,2] row_mask:0xf bank_mask:0xf
	v_add_f32_e32 v0, v0, v26
	s_delay_alu instid0(VALU_DEP_1) | instskip(NEXT) | instid1(VALU_DEP_1)
	v_mov_b32_dpp v26, v0 quad_perm:[2,3,0,1] row_mask:0xf bank_mask:0xf
	v_add_f32_e32 v0, v0, v26
	s_delay_alu instid0(VALU_DEP_1) | instskip(NEXT) | instid1(VALU_DEP_1)
	v_mov_b32_dpp v26, v0 row_xmask:7 row_mask:0xf bank_mask:0xf
	v_add_f32_e32 v0, v0, v26
	s_delay_alu instid0(VALU_DEP_1) | instskip(SKIP_1) | instid1(VALU_DEP_2)
	v_div_scale_f32 v26, null, v27, v27, v0
	v_div_scale_f32 v30, vcc_lo, v0, v27, v0
	v_rcp_f32_e32 v28, v26
	s_waitcnt_depctr 0xfff
	v_fma_f32 v29, -v26, v28, 1.0
	s_delay_alu instid0(VALU_DEP_1) | instskip(NEXT) | instid1(VALU_DEP_1)
	v_fmac_f32_e32 v28, v29, v28
	v_mul_f32_e32 v29, v30, v28
	s_delay_alu instid0(VALU_DEP_1) | instskip(NEXT) | instid1(VALU_DEP_1)
	v_fma_f32 v31, -v26, v29, v30
	v_fmac_f32_e32 v29, v31, v28
	v_lshrrev_b32_e32 v31, 16, v2
	s_delay_alu instid0(VALU_DEP_2) | instskip(SKIP_1) | instid1(VALU_DEP_3)
	v_fma_f32 v26, -v26, v29, v30
	v_lshrrev_b32_e32 v30, 16, v1
	v_cvt_f32_u32_e32 v31, v31
	s_delay_alu instid0(VALU_DEP_3)
	v_div_fmas_f32 v26, v26, v28, v29
	v_lshrrev_b32_e32 v28, 16, v7
	v_and_b32_e32 v7, 0xffff, v7
	v_cvt_f32_u32_e32 v30, v30
	v_lshrrev_b32_e32 v29, 16, v8
	v_div_fixup_f32 v0, v26, v27, v0
	v_cvt_f32_u32_e32 v28, v28
	v_cvt_f32_u32_e32 v7, v7
	s_delay_alu instid0(VALU_DEP_4) | instskip(NEXT) | instid1(VALU_DEP_4)
	v_cvt_f32_u32_e32 v29, v29
	v_cvt_f64_f32_e32 v[26:27], v0
	s_delay_alu instid0(VALU_DEP_1) | instskip(NEXT) | instid1(VALU_DEP_1)
	v_add_f64 v[26:27], v[26:27], s[10:11]
	v_cvt_f32_f64_e32 v0, v[26:27]
	v_lshrrev_b32_e32 v26, 16, v5
	v_lshrrev_b32_e32 v27, 16, v6
	v_and_b32_e32 v5, 0xffff, v5
	s_delay_alu instid0(VALU_DEP_3) | instskip(NEXT) | instid1(VALU_DEP_3)
	v_cvt_f32_u32_e32 v26, v26
	v_cvt_f32_u32_e32 v27, v27
	s_delay_alu instid0(VALU_DEP_3) | instskip(SKIP_2) | instid1(VALU_DEP_2)
	v_cvt_f32_u32_e32 v5, v5
	v_mul_f32_e32 v33, 0x4b800000, v0
	v_cmp_gt_f32_e32 vcc_lo, 0x800000, v0
	v_dual_cndmask_b32 v0, v0, v33 :: v_dual_and_b32 v3, 0xffff, v3
	s_delay_alu instid0(VALU_DEP_1) | instskip(NEXT) | instid1(VALU_DEP_2)
	v_cvt_f32_u32_e32 v3, v3
	v_rsq_f32_e32 v0, v0
	s_waitcnt_depctr 0xfff
	v_mul_f32_e32 v33, 0x45800000, v0
	s_delay_alu instid0(VALU_DEP_1) | instskip(NEXT) | instid1(VALU_DEP_1)
	v_cndmask_b32_e32 v0, v0, v33, vcc_lo
	v_dual_mul_f32 v19, v19, v0 :: v_dual_and_b32 v6, 0xffff, v6
	s_delay_alu instid0(VALU_DEP_1) | instskip(SKIP_4) | instid1(VALU_DEP_3)
	v_cvt_f32_u32_e32 v6, v6
	v_mul_f32_e32 v15, v15, v0
	v_mul_f32_e32 v12, v12, v0
	v_mul_f32_e32 v18, v18, v0
	v_and_b32_e32 v4, 0xffff, v4
	v_mul_f32_e32 v6, v12, v6
	s_delay_alu instid0(VALU_DEP_3) | instskip(SKIP_3) | instid1(VALU_DEP_3)
	v_dual_mul_f32 v12, v15, v28 :: v_dual_mul_f32 v15, v18, v30
	v_dual_mul_f32 v17, v17, v0 :: v_dual_and_b32 v2, 0xffff, v2
	v_dual_mul_f32 v14, v14, v0 :: v_dual_and_b32 v1, 0xffff, v1
	v_and_b32_e32 v8, 0xffff, v8
	v_cvt_f32_u32_e32 v2, v2
	v_mul_f32_e32 v22, v22, v0
	v_mul_f32_e32 v11, v11, v0
	;; [unrolled: 1-line block ×4, first 2 shown]
	v_cvt_f32_u32_e32 v1, v1
	v_mul_f32_e32 v10, v10, v0
	v_mul_f32_e32 v25, v25, v0
	;; [unrolled: 1-line block ×5, first 2 shown]
	v_dual_mul_f32 v0, v16, v0 :: v_dual_mul_f32 v7, v14, v7
	v_cvt_f32_u32_e32 v8, v8
	v_mul_f32_e32 v16, v20, v2
	v_mul_f32_e32 v20, v25, v34
	v_dual_mul_f32 v18, v22, v3 :: v_dual_mul_f32 v5, v11, v5
	v_mul_f32_e32 v11, v13, v27
	v_mul_f32_e32 v13, v19, v29
	v_cvt_f32_u32_e32 v4, v4
	v_mul_f32_e32 v10, v10, v26
	v_mul_f32_e32 v8, v17, v8
	v_dual_mul_f32 v14, v0, v1 :: v_dual_mul_f32 v17, v21, v31
	v_mul_f32_e32 v19, v23, v32
	v_mul_f32_e32 v4, v24, v4
	s_delay_alu instid0(VALU_DEP_4)
	v_perm_b32 v3, v13, v8, 0x7060302
	v_perm_b32 v2, v12, v7, 0x7060302
	;; [unrolled: 1-line block ×8, first 2 shown]
	buffer_store_b128 v[0:3], v9, s[12:15], 0 offen
	;;#ASMSTART
	s_nop 0
	;;#ASMEND
	buffer_store_b128 v[4:7], v9, s[12:15], s16 offen
	;;#ASMSTART
	s_nop 0
	;;#ASMEND
.LBB126_4:
	s_nop 0
	s_sendmsg sendmsg(MSG_DEALLOC_VGPRS)
	s_endpgm
	.section	.rodata,"a",@progbits
	.p2align	6, 0x0
	.amdhsa_kernel _ZN5aiter24add_rmsnorm_quant_kernelIttLi256ELi16ELb1ELb0ELb1ELi1EEEvPT0_PT_PfS4_S4_S4_diiiiiiib
		.amdhsa_group_segment_fixed_size 32
		.amdhsa_private_segment_fixed_size 0
		.amdhsa_kernarg_size 88
		.amdhsa_user_sgpr_count 15
		.amdhsa_user_sgpr_dispatch_ptr 0
		.amdhsa_user_sgpr_queue_ptr 0
		.amdhsa_user_sgpr_kernarg_segment_ptr 1
		.amdhsa_user_sgpr_dispatch_id 0
		.amdhsa_user_sgpr_private_segment_size 0
		.amdhsa_wavefront_size32 1
		.amdhsa_uses_dynamic_stack 0
		.amdhsa_enable_private_segment 0
		.amdhsa_system_sgpr_workgroup_id_x 1
		.amdhsa_system_sgpr_workgroup_id_y 0
		.amdhsa_system_sgpr_workgroup_id_z 0
		.amdhsa_system_sgpr_workgroup_info 0
		.amdhsa_system_vgpr_workitem_id 0
		.amdhsa_next_free_vgpr 41
		.amdhsa_next_free_sgpr 22
		.amdhsa_reserve_vcc 1
		.amdhsa_float_round_mode_32 0
		.amdhsa_float_round_mode_16_64 0
		.amdhsa_float_denorm_mode_32 3
		.amdhsa_float_denorm_mode_16_64 3
		.amdhsa_dx10_clamp 1
		.amdhsa_ieee_mode 1
		.amdhsa_fp16_overflow 0
		.amdhsa_workgroup_processor_mode 1
		.amdhsa_memory_ordered 1
		.amdhsa_forward_progress 0
		.amdhsa_shared_vgpr_count 0
		.amdhsa_exception_fp_ieee_invalid_op 0
		.amdhsa_exception_fp_denorm_src 0
		.amdhsa_exception_fp_ieee_div_zero 0
		.amdhsa_exception_fp_ieee_overflow 0
		.amdhsa_exception_fp_ieee_underflow 0
		.amdhsa_exception_fp_ieee_inexact 0
		.amdhsa_exception_int_div_zero 0
	.end_amdhsa_kernel
	.section	.text._ZN5aiter24add_rmsnorm_quant_kernelIttLi256ELi16ELb1ELb0ELb1ELi1EEEvPT0_PT_PfS4_S4_S4_diiiiiiib,"axG",@progbits,_ZN5aiter24add_rmsnorm_quant_kernelIttLi256ELi16ELb1ELb0ELb1ELi1EEEvPT0_PT_PfS4_S4_S4_diiiiiiib,comdat
.Lfunc_end126:
	.size	_ZN5aiter24add_rmsnorm_quant_kernelIttLi256ELi16ELb1ELb0ELb1ELi1EEEvPT0_PT_PfS4_S4_S4_diiiiiiib, .Lfunc_end126-_ZN5aiter24add_rmsnorm_quant_kernelIttLi256ELi16ELb1ELb0ELb1ELi1EEEvPT0_PT_PfS4_S4_S4_diiiiiiib
                                        ; -- End function
	.section	.AMDGPU.csdata,"",@progbits
; Kernel info:
; codeLenInByte = 1920
; NumSgprs: 24
; NumVgprs: 41
; ScratchSize: 0
; MemoryBound: 0
; FloatMode: 240
; IeeeMode: 1
; LDSByteSize: 32 bytes/workgroup (compile time only)
; SGPRBlocks: 2
; VGPRBlocks: 5
; NumSGPRsForWavesPerEU: 24
; NumVGPRsForWavesPerEU: 41
; Occupancy: 16
; WaveLimiterHint : 0
; COMPUTE_PGM_RSRC2:SCRATCH_EN: 0
; COMPUTE_PGM_RSRC2:USER_SGPR: 15
; COMPUTE_PGM_RSRC2:TRAP_HANDLER: 0
; COMPUTE_PGM_RSRC2:TGID_X_EN: 1
; COMPUTE_PGM_RSRC2:TGID_Y_EN: 0
; COMPUTE_PGM_RSRC2:TGID_Z_EN: 0
; COMPUTE_PGM_RSRC2:TIDIG_COMP_CNT: 0
	.section	.text._ZN5aiter24add_rmsnorm_quant_kernelIDF16_DF16_Li256ELi16ELb1ELb0ELb0ELi1EEEvPT0_PT_PfS4_S4_S4_diiiiiiib,"axG",@progbits,_ZN5aiter24add_rmsnorm_quant_kernelIDF16_DF16_Li256ELi16ELb1ELb0ELb0ELi1EEEvPT0_PT_PfS4_S4_S4_diiiiiiib,comdat
	.protected	_ZN5aiter24add_rmsnorm_quant_kernelIDF16_DF16_Li256ELi16ELb1ELb0ELb0ELi1EEEvPT0_PT_PfS4_S4_S4_diiiiiiib ; -- Begin function _ZN5aiter24add_rmsnorm_quant_kernelIDF16_DF16_Li256ELi16ELb1ELb0ELb0ELi1EEEvPT0_PT_PfS4_S4_S4_diiiiiiib
	.globl	_ZN5aiter24add_rmsnorm_quant_kernelIDF16_DF16_Li256ELi16ELb1ELb0ELb0ELi1EEEvPT0_PT_PfS4_S4_S4_diiiiiiib
	.p2align	8
	.type	_ZN5aiter24add_rmsnorm_quant_kernelIDF16_DF16_Li256ELi16ELb1ELb0ELb0ELi1EEEvPT0_PT_PfS4_S4_S4_diiiiiiib,@function
_ZN5aiter24add_rmsnorm_quant_kernelIDF16_DF16_Li256ELi16ELb1ELb0ELb0ELi1EEEvPT0_PT_PfS4_S4_S4_diiiiiiib: ; @_ZN5aiter24add_rmsnorm_quant_kernelIDF16_DF16_Li256ELi16ELb1ELb0ELb0ELi1EEEvPT0_PT_PfS4_S4_S4_diiiiiiib
; %bb.0:
	s_load_b128 s[16:19], s[0:1], 0x38
	s_mov_b32 s20, s15
	s_mov_b32 s21, 0
	s_waitcnt lgkmcnt(0)
	s_ashr_i32 s3, s16, 31
	s_mov_b32 s2, s16
	s_delay_alu instid0(SALU_CYCLE_1) | instskip(NEXT) | instid1(VALU_DEP_1)
	v_cmp_ge_i64_e64 s2, s[20:21], s[2:3]
	s_and_b32 vcc_lo, exec_lo, s2
	s_cbranch_vccnz .LBB127_4
; %bb.1:
	s_load_b256 s[4:11], s[0:1], 0x18
	s_ashr_i32 s3, s18, 31
	s_mul_hi_u32 s12, s18, s20
	s_mul_i32 s3, s3, s20
	s_mul_i32 s2, s18, s20
	s_add_i32 s3, s12, s3
	s_mul_hi_u32 s14, s19, s20
	s_lshl_b64 s[2:3], s[2:3], 1
	v_lshlrev_b32_e32 v9, 5, v0
	s_mul_i32 s18, s19, s20
	s_mov_b32 s15, -1
	v_and_b32_e32 v36, 31, v0
	s_waitcnt lgkmcnt(0)
	s_add_u32 s12, s4, s2
	s_addc_u32 s2, s5, s3
	s_add_i32 s3, s17, 1
	s_and_b32 s5, s9, 0xffff
	s_ashr_i32 s4, s19, 31
	s_lshr_b32 s9, s3, 31
	s_mul_i32 s4, s4, s20
	s_add_i32 s3, s3, s9
	s_and_b32 s13, s2, 0xffff
	s_lshl_b32 s2, s3, 1
	s_add_i32 s19, s14, s4
	s_and_b32 s14, s2, -4
	s_lshl_b64 s[2:3], s[18:19], 1
	s_clause 0x1
	buffer_load_b128 v[12:15], v9, s[12:15], 0 offen
	buffer_load_b128 v[20:23], v9, s[12:15], 16 offen
	s_add_u32 s12, s6, s2
	s_addc_u32 s2, s7, s3
	s_mov_b32 s7, s15
	s_and_b32 s13, s2, 0xffff
	s_clause 0x1
	buffer_load_b128 v[16:19], v9, s[12:15], 0 offen
	buffer_load_b128 v[24:27], v9, s[12:15], 16 offen
	s_mov_b32 s4, s8
	s_mov_b32 s6, s14
	s_waitcnt vmcnt(3)
	v_lshrrev_b32_e32 v10, 16, v12
	v_cvt_f32_f16_e32 v12, v12
	v_lshrrev_b32_e32 v28, 16, v13
	v_cvt_f32_f16_e32 v13, v13
	s_delay_alu instid0(VALU_DEP_4)
	v_cvt_f32_f16_e32 v10, v10
	s_waitcnt vmcnt(1)
	v_lshrrev_b32_e32 v11, 16, v16
	v_cvt_f32_f16_e32 v16, v16
	v_lshrrev_b32_e32 v29, 16, v17
	v_cvt_f32_f16_e32 v17, v17
	v_cvt_f32_f16_e32 v28, v28
	;; [unrolled: 1-line block ×3, first 2 shown]
	s_delay_alu instid0(VALU_DEP_4) | instskip(NEXT) | instid1(VALU_DEP_2)
	v_cvt_f32_f16_e32 v29, v29
	v_add_f32_e32 v10, v10, v11
	s_clause 0x1
	buffer_load_b128 v[5:8], v9, s[4:7], 0 offen
	buffer_load_b128 v[1:4], v9, s[4:7], 16 offen
	v_add_f32_e32 v11, v12, v16
	v_lshrrev_b32_e32 v16, 16, v14
	v_add_f32_e32 v12, v13, v17
	v_mul_f32_e32 v30, v10, v10
	v_cvt_f32_f16_e32 v14, v14
	v_lshrrev_b32_e32 v17, 16, v18
	v_cvt_f32_f16_e32 v18, v18
	s_delay_alu instid0(VALU_DEP_4)
	v_dual_add_f32 v13, v28, v29 :: v_dual_fmac_f32 v30, v11, v11
	v_lshrrev_b32_e32 v28, 16, v15
	v_cvt_f32_f16_e32 v16, v16
	v_cvt_f32_f16_e32 v17, v17
	v_add_f32_e32 v14, v14, v18
	v_cvt_f32_f16_e32 v15, v15
	v_lshrrev_b32_e32 v18, 16, v19
	v_cvt_f32_f16_e32 v19, v19
	v_add_f32_e32 v16, v16, v17
	v_lshrrev_b32_e32 v29, 16, v20
	v_cvt_f32_f16_e32 v28, v28
	v_cvt_f32_f16_e32 v18, v18
	v_add_f32_e32 v17, v15, v19
	v_cvt_f32_f16_e32 v15, v20
	s_waitcnt vmcnt(2)
	v_lshrrev_b32_e32 v19, 16, v24
	v_cvt_f32_f16_e32 v24, v24
	v_add_f32_e32 v20, v28, v18
	v_lshrrev_b32_e32 v28, 16, v21
	v_cvt_f32_f16_e32 v18, v29
	v_cvt_f32_f16_e32 v19, v19
	v_add_f32_e32 v15, v15, v24
	v_cvt_f32_f16_e32 v21, v21
	v_lshrrev_b32_e32 v24, 16, v25
	v_cvt_f32_f16_e32 v25, v25
	v_fmac_f32_e32 v30, v12, v12
	v_add_f32_e32 v18, v18, v19
	v_lshrrev_b32_e32 v29, 16, v22
	v_cvt_f32_f16_e32 v28, v28
	v_add_f32_e32 v19, v21, v25
	v_cvt_f32_f16_e32 v24, v24
	v_lshrrev_b32_e32 v25, 16, v26
	v_fmac_f32_e32 v30, v13, v13
	v_cvt_f32_f16_e32 v22, v22
	v_cvt_f32_f16_e32 v26, v26
	v_add_f32_e32 v21, v28, v24
	v_lshrrev_b32_e32 v24, 16, v23
	v_cvt_f32_f16_e32 v28, v29
	v_cvt_f32_f16_e32 v25, v25
	v_lshrrev_b32_e32 v29, 16, v27
	v_fmac_f32_e32 v30, v14, v14
	v_add_f32_e32 v22, v22, v26
	v_cvt_f32_f16_e32 v26, v23
	v_add_f32_e32 v23, v28, v25
	v_cvt_f32_f16_e32 v25, v24
	v_cvt_f32_f16_e32 v28, v29
	;; [unrolled: 1-line block ×3, first 2 shown]
	s_clause 0x1
	s_load_b64 s[4:5], s[0:1], 0x48
	s_load_b128 s[0:3], s[0:1], 0x0
	v_cvt_f16_f32_e32 v29, v14
	v_add_f32_e32 v25, v25, v28
	v_fmac_f32_e32 v30, v16, v16
	v_add_f32_e32 v24, v26, v27
	v_cvt_f16_f32_e32 v27, v11
	v_cvt_f16_f32_e32 v28, v12
	;; [unrolled: 1-line block ×3, first 2 shown]
	v_fmac_f32_e32 v30, v17, v17
	v_cvt_f16_f32_e32 v32, v15
	v_cvt_f16_f32_e32 v33, v19
	;; [unrolled: 1-line block ×4, first 2 shown]
	v_fmac_f32_e32 v30, v20, v20
	v_cvt_f16_f32_e32 v37, v10
	v_cvt_f16_f32_e32 v38, v13
	;; [unrolled: 1-line block ×4, first 2 shown]
	v_fmac_f32_e32 v30, v15, v15
	s_waitcnt lgkmcnt(0)
	s_ashr_i32 s6, s4, 31
	s_mul_hi_u32 s7, s4, s20
	s_mul_i32 s8, s6, s20
	v_cvt_f16_f32_e32 v41, v18
	v_fmac_f32_e32 v30, v18, v18
	v_cvt_f16_f32_e32 v42, v21
	v_cvt_f16_f32_e32 v43, v23
	;; [unrolled: 1-line block ×3, first 2 shown]
	s_mul_i32 s6, s4, s20
	v_fmac_f32_e32 v30, v19, v19
	s_add_i32 s7, s7, s8
	v_pack_b32_f16 v31, v31, v40
	s_lshl_b64 s[6:7], s[6:7], 1
	v_pack_b32_f16 v35, v35, v44
	v_fmac_f32_e32 v30, v21, v21
	s_add_u32 s12, s2, s6
	v_pack_b32_f16 v34, v34, v43
	v_pack_b32_f16 v33, v33, v42
	;; [unrolled: 1-line block ×3, first 2 shown]
	v_fmac_f32_e32 v30, v22, v22
	s_addc_u32 s2, s3, s7
	s_delay_alu instid0(SALU_CYCLE_1) | instskip(SKIP_1) | instid1(VALU_DEP_1)
	s_and_b32 s13, s2, 0xffff
	s_mov_b32 s2, exec_lo
	v_fmac_f32_e32 v30, v23, v23
	s_delay_alu instid0(VALU_DEP_1) | instskip(NEXT) | instid1(VALU_DEP_1)
	v_fmac_f32_e32 v30, v24, v24
	v_fmac_f32_e32 v30, v25, v25
	s_delay_alu instid0(VALU_DEP_1) | instskip(NEXT) | instid1(VALU_DEP_1)
	v_mov_b32_dpp v26, v30 quad_perm:[1,0,3,2] row_mask:0xf bank_mask:0xf
	v_add_f32_e32 v26, v30, v26
	s_delay_alu instid0(VALU_DEP_1) | instskip(NEXT) | instid1(VALU_DEP_1)
	v_mov_b32_dpp v30, v26 quad_perm:[2,3,0,1] row_mask:0xf bank_mask:0xf
	v_add_f32_e32 v26, v26, v30
	v_pack_b32_f16 v30, v29, v39
	v_pack_b32_f16 v29, v28, v38
	;; [unrolled: 1-line block ×3, first 2 shown]
	s_delay_alu instid0(VALU_DEP_4)
	v_mov_b32_dpp v45, v26 row_xmask:7 row_mask:0xf bank_mask:0xf
	buffer_store_b128 v[28:31], v9, s[12:15], 0 offen
	;;#ASMSTART
	s_nop 0
	;;#ASMEND
	v_add_f32_e32 v26, v26, v45
	buffer_store_b128 v[32:35], v9, s[12:15], 16 offen
	;;#ASMSTART
	s_nop 0
	;;#ASMEND
	v_mov_b32_dpp v27, v26 row_xmask:15 row_mask:0xf bank_mask:0xf
	v_cmpx_eq_u32_e32 31, v36
	s_cbranch_execz .LBB127_3
; %bb.2:
	s_delay_alu instid0(VALU_DEP_2) | instskip(SKIP_2) | instid1(VALU_DEP_2)
	v_add_f32_e32 v26, v26, v27
	s_mov_b32 s3, 0x76543210
	v_lshrrev_b32_e32 v27, 3, v0
	v_permlanex16_b32 v28, v26, s3, 0xfedcba98 op_sel:[1,1]
	s_delay_alu instid0(VALU_DEP_1)
	v_dual_add_f32 v26, v26, v28 :: v_dual_and_b32 v27, 0x7c, v27
	ds_store_b32 v27, v26
.LBB127_3:
	s_or_b32 exec_lo, exec_lo, s2
	v_and_b32_e32 v0, 7, v0
	s_waitcnt vmcnt(0) lgkmcnt(0)
	s_waitcnt_vscnt null, 0x0
	s_barrier
	buffer_gl0_inv
	v_cvt_f32_i32_e32 v27, s17
	v_lshlrev_b32_e32 v0, 2, v0
	s_ashr_i32 s2, s5, 31
	s_mul_hi_u32 s3, s5, s20
	s_mul_i32 s4, s2, s20
	s_mul_i32 s2, s5, s20
	ds_load_b32 v0, v0
	s_add_i32 s3, s3, s4
	s_delay_alu instid0(SALU_CYCLE_1) | instskip(NEXT) | instid1(SALU_CYCLE_1)
	s_lshl_b64 s[2:3], s[2:3], 1
	s_add_u32 s12, s0, s2
	s_addc_u32 s0, s1, s3
	s_delay_alu instid0(SALU_CYCLE_1) | instskip(SKIP_2) | instid1(VALU_DEP_1)
	s_and_b32 s13, s0, 0xffff
	s_waitcnt lgkmcnt(0)
	v_mov_b32_dpp v26, v0 quad_perm:[1,0,3,2] row_mask:0xf bank_mask:0xf
	v_add_f32_e32 v0, v0, v26
	s_delay_alu instid0(VALU_DEP_1) | instskip(NEXT) | instid1(VALU_DEP_1)
	v_mov_b32_dpp v26, v0 quad_perm:[2,3,0,1] row_mask:0xf bank_mask:0xf
	v_add_f32_e32 v0, v0, v26
	s_delay_alu instid0(VALU_DEP_1) | instskip(NEXT) | instid1(VALU_DEP_1)
	v_mov_b32_dpp v26, v0 row_xmask:7 row_mask:0xf bank_mask:0xf
	v_add_f32_e32 v0, v0, v26
	s_delay_alu instid0(VALU_DEP_1) | instskip(SKIP_1) | instid1(VALU_DEP_2)
	v_div_scale_f32 v26, null, v27, v27, v0
	v_div_scale_f32 v30, vcc_lo, v0, v27, v0
	v_rcp_f32_e32 v28, v26
	s_waitcnt_depctr 0xfff
	v_fma_f32 v29, -v26, v28, 1.0
	s_delay_alu instid0(VALU_DEP_1) | instskip(NEXT) | instid1(VALU_DEP_1)
	v_fmac_f32_e32 v28, v29, v28
	v_mul_f32_e32 v29, v30, v28
	s_delay_alu instid0(VALU_DEP_1) | instskip(NEXT) | instid1(VALU_DEP_1)
	v_fma_f32 v31, -v26, v29, v30
	v_fmac_f32_e32 v29, v31, v28
	s_delay_alu instid0(VALU_DEP_1) | instskip(NEXT) | instid1(VALU_DEP_1)
	v_fma_f32 v26, -v26, v29, v30
	v_div_fmas_f32 v26, v26, v28, v29
	s_delay_alu instid0(VALU_DEP_1) | instskip(NEXT) | instid1(VALU_DEP_1)
	v_div_fixup_f32 v0, v26, v27, v0
	v_cvt_f64_f32_e32 v[26:27], v0
	s_delay_alu instid0(VALU_DEP_1) | instskip(NEXT) | instid1(VALU_DEP_1)
	v_add_f64 v[26:27], v[26:27], s[10:11]
	v_cvt_f32_f64_e32 v0, v[26:27]
	s_delay_alu instid0(VALU_DEP_1) | instskip(SKIP_1) | instid1(VALU_DEP_2)
	v_mul_f32_e32 v26, 0x4b800000, v0
	v_cmp_gt_f32_e32 vcc_lo, 0x800000, v0
	v_cndmask_b32_e32 v0, v0, v26, vcc_lo
	s_delay_alu instid0(VALU_DEP_1) | instskip(SKIP_2) | instid1(VALU_DEP_1)
	v_rsq_f32_e32 v0, v0
	s_waitcnt_depctr 0xfff
	v_mul_f32_e32 v26, 0x45800000, v0
	v_cndmask_b32_e32 v0, v0, v26, vcc_lo
	s_delay_alu instid0(VALU_DEP_1)
	v_mul_f32_e32 v26, v10, v0
	v_mul_f32_e32 v10, v11, v0
	;; [unrolled: 1-line block ×16, first 2 shown]
	v_fma_mixlo_f16 v10, v10, v5, 0 op_sel_hi:[0,1,0]
	v_fma_mixlo_f16 v11, v11, v6, 0 op_sel_hi:[0,1,0]
	;; [unrolled: 1-line block ×8, first 2 shown]
	v_fma_mixhi_f16 v13, v20, v8, 0 op_sel:[0,1,0] op_sel_hi:[0,1,0]
	v_fma_mixhi_f16 v12, v28, v7, 0 op_sel:[0,1,0] op_sel_hi:[0,1,0]
	;; [unrolled: 1-line block ×8, first 2 shown]
	buffer_store_b128 v[10:13], v9, s[12:15], 0 offen
	;;#ASMSTART
	s_nop 0
	;;#ASMEND
	buffer_store_b128 v[14:17], v9, s[12:15], 16 offen
	;;#ASMSTART
	s_nop 0
	;;#ASMEND
.LBB127_4:
	s_nop 0
	s_sendmsg sendmsg(MSG_DEALLOC_VGPRS)
	s_endpgm
	.section	.rodata,"a",@progbits
	.p2align	6, 0x0
	.amdhsa_kernel _ZN5aiter24add_rmsnorm_quant_kernelIDF16_DF16_Li256ELi16ELb1ELb0ELb0ELi1EEEvPT0_PT_PfS4_S4_S4_diiiiiiib
		.amdhsa_group_segment_fixed_size 32
		.amdhsa_private_segment_fixed_size 0
		.amdhsa_kernarg_size 88
		.amdhsa_user_sgpr_count 15
		.amdhsa_user_sgpr_dispatch_ptr 0
		.amdhsa_user_sgpr_queue_ptr 0
		.amdhsa_user_sgpr_kernarg_segment_ptr 1
		.amdhsa_user_sgpr_dispatch_id 0
		.amdhsa_user_sgpr_private_segment_size 0
		.amdhsa_wavefront_size32 1
		.amdhsa_uses_dynamic_stack 0
		.amdhsa_enable_private_segment 0
		.amdhsa_system_sgpr_workgroup_id_x 1
		.amdhsa_system_sgpr_workgroup_id_y 0
		.amdhsa_system_sgpr_workgroup_id_z 0
		.amdhsa_system_sgpr_workgroup_info 0
		.amdhsa_system_vgpr_workitem_id 0
		.amdhsa_next_free_vgpr 46
		.amdhsa_next_free_sgpr 22
		.amdhsa_reserve_vcc 1
		.amdhsa_float_round_mode_32 0
		.amdhsa_float_round_mode_16_64 0
		.amdhsa_float_denorm_mode_32 3
		.amdhsa_float_denorm_mode_16_64 3
		.amdhsa_dx10_clamp 1
		.amdhsa_ieee_mode 1
		.amdhsa_fp16_overflow 0
		.amdhsa_workgroup_processor_mode 1
		.amdhsa_memory_ordered 1
		.amdhsa_forward_progress 0
		.amdhsa_shared_vgpr_count 0
		.amdhsa_exception_fp_ieee_invalid_op 0
		.amdhsa_exception_fp_denorm_src 0
		.amdhsa_exception_fp_ieee_div_zero 0
		.amdhsa_exception_fp_ieee_overflow 0
		.amdhsa_exception_fp_ieee_underflow 0
		.amdhsa_exception_fp_ieee_inexact 0
		.amdhsa_exception_int_div_zero 0
	.end_amdhsa_kernel
	.section	.text._ZN5aiter24add_rmsnorm_quant_kernelIDF16_DF16_Li256ELi16ELb1ELb0ELb0ELi1EEEvPT0_PT_PfS4_S4_S4_diiiiiiib,"axG",@progbits,_ZN5aiter24add_rmsnorm_quant_kernelIDF16_DF16_Li256ELi16ELb1ELb0ELb0ELi1EEEvPT0_PT_PfS4_S4_S4_diiiiiiib,comdat
.Lfunc_end127:
	.size	_ZN5aiter24add_rmsnorm_quant_kernelIDF16_DF16_Li256ELi16ELb1ELb0ELb0ELi1EEEvPT0_PT_PfS4_S4_S4_diiiiiiib, .Lfunc_end127-_ZN5aiter24add_rmsnorm_quant_kernelIDF16_DF16_Li256ELi16ELb1ELb0ELb0ELi1EEEvPT0_PT_PfS4_S4_S4_diiiiiiib
                                        ; -- End function
	.section	.AMDGPU.csdata,"",@progbits
; Kernel info:
; codeLenInByte = 1544
; NumSgprs: 24
; NumVgprs: 46
; ScratchSize: 0
; MemoryBound: 0
; FloatMode: 240
; IeeeMode: 1
; LDSByteSize: 32 bytes/workgroup (compile time only)
; SGPRBlocks: 2
; VGPRBlocks: 5
; NumSGPRsForWavesPerEU: 24
; NumVGPRsForWavesPerEU: 46
; Occupancy: 16
; WaveLimiterHint : 0
; COMPUTE_PGM_RSRC2:SCRATCH_EN: 0
; COMPUTE_PGM_RSRC2:USER_SGPR: 15
; COMPUTE_PGM_RSRC2:TRAP_HANDLER: 0
; COMPUTE_PGM_RSRC2:TGID_X_EN: 1
; COMPUTE_PGM_RSRC2:TGID_Y_EN: 0
; COMPUTE_PGM_RSRC2:TGID_Z_EN: 0
; COMPUTE_PGM_RSRC2:TIDIG_COMP_CNT: 0
	.section	.text._ZN5aiter24add_rmsnorm_quant_kernelIttLi256ELi16ELb1ELb0ELb0ELi1EEEvPT0_PT_PfS4_S4_S4_diiiiiiib,"axG",@progbits,_ZN5aiter24add_rmsnorm_quant_kernelIttLi256ELi16ELb1ELb0ELb0ELi1EEEvPT0_PT_PfS4_S4_S4_diiiiiiib,comdat
	.protected	_ZN5aiter24add_rmsnorm_quant_kernelIttLi256ELi16ELb1ELb0ELb0ELi1EEEvPT0_PT_PfS4_S4_S4_diiiiiiib ; -- Begin function _ZN5aiter24add_rmsnorm_quant_kernelIttLi256ELi16ELb1ELb0ELb0ELi1EEEvPT0_PT_PfS4_S4_S4_diiiiiiib
	.globl	_ZN5aiter24add_rmsnorm_quant_kernelIttLi256ELi16ELb1ELb0ELb0ELi1EEEvPT0_PT_PfS4_S4_S4_diiiiiiib
	.p2align	8
	.type	_ZN5aiter24add_rmsnorm_quant_kernelIttLi256ELi16ELb1ELb0ELb0ELi1EEEvPT0_PT_PfS4_S4_S4_diiiiiiib,@function
_ZN5aiter24add_rmsnorm_quant_kernelIttLi256ELi16ELb1ELb0ELb0ELi1EEEvPT0_PT_PfS4_S4_S4_diiiiiiib: ; @_ZN5aiter24add_rmsnorm_quant_kernelIttLi256ELi16ELb1ELb0ELb0ELi1EEEvPT0_PT_PfS4_S4_S4_diiiiiiib
; %bb.0:
	s_load_b128 s[16:19], s[0:1], 0x38
	s_mov_b32 s20, s15
	s_mov_b32 s21, 0
	s_waitcnt lgkmcnt(0)
	s_ashr_i32 s3, s16, 31
	s_mov_b32 s2, s16
	s_delay_alu instid0(SALU_CYCLE_1) | instskip(NEXT) | instid1(VALU_DEP_1)
	v_cmp_ge_i64_e64 s2, s[20:21], s[2:3]
	s_and_b32 vcc_lo, exec_lo, s2
	s_cbranch_vccnz .LBB128_4
; %bb.1:
	s_load_b256 s[4:11], s[0:1], 0x18
	s_ashr_i32 s2, s18, 31
	s_mul_hi_u32 s3, s18, s20
	s_mul_i32 s12, s2, s20
	s_mul_i32 s2, s18, s20
	s_add_i32 s3, s3, s12
	v_lshlrev_b32_e32 v9, 5, v0
	s_lshl_b64 s[2:3], s[2:3], 1
	s_mov_b32 s15, -1
	s_waitcnt lgkmcnt(0)
	s_add_u32 s12, s4, s2
	s_addc_u32 s2, s5, s3
	s_add_i32 s3, s17, 1
	s_and_b32 s13, s2, 0xffff
	s_lshr_b32 s4, s3, 31
	s_ashr_i32 s2, s19, 31
	s_add_i32 s3, s3, s4
	s_mul_i32 s4, s2, s20
	s_lshl_b32 s3, s3, 1
	s_mul_i32 s2, s19, s20
	s_and_b32 s14, s3, -4
	s_mul_hi_u32 s3, s19, s20
	s_and_b32 s5, s9, 0xffff
	s_add_i32 s3, s3, s4
	s_clause 0x1
	buffer_load_b128 v[10:13], v9, s[12:15], 0 offen
	buffer_load_b128 v[14:17], v9, s[12:15], 16 offen
	s_lshl_b64 s[2:3], s[2:3], 1
	s_mov_b32 s4, s8
	s_add_u32 s12, s6, s2
	s_addc_u32 s2, s7, s3
	s_mov_b32 s7, s15
	s_and_b32 s13, s2, 0xffff
	s_clause 0x1
	buffer_load_b128 v[18:21], v9, s[12:15], 0 offen
	buffer_load_b128 v[22:25], v9, s[12:15], 16 offen
	s_mov_b32 s6, s14
	s_waitcnt vmcnt(3)
	v_lshrrev_b32_e32 v30, 16, v12
	s_waitcnt vmcnt(2)
	v_and_b32_e32 v33, 0xffff, v14
	v_lshrrev_b32_e32 v34, 16, v14
	v_and_b32_e32 v27, 0xffff, v11
	v_lshrrev_b32_e32 v28, 16, v11
	;; [unrolled: 2-line block ×3, first 2 shown]
	v_and_b32_e32 v39, 0xffff, v17
	s_waitcnt vmcnt(1)
	v_and_b32_e32 v14, 0xffff, v19
	v_lshrrev_b32_e32 v11, 16, v18
	v_lshrrev_b32_e32 v40, 16, v17
	v_and_b32_e32 v17, 0xffff, v20
	v_lshrrev_b32_e32 v36, 16, v15
	v_cvt_f32_u32_e32 v14, v14
	v_and_b32_e32 v29, 0xffff, v12
	v_and_b32_e32 v12, 0xffff, v18
	v_cvt_f32_u32_e32 v11, v11
	v_cvt_f32_u32_e32 v17, v17
	v_and_b32_e32 v35, 0xffff, v15
	v_lshrrev_b32_e32 v38, 16, v16
	v_cvt_f32_u32_e32 v12, v12
	v_and_b32_e32 v26, 0xffff, v10
	v_lshrrev_b32_e32 v10, 16, v10
	s_delay_alu instid0(VALU_DEP_2) | instskip(NEXT) | instid1(VALU_DEP_2)
	v_cvt_f32_u32_e32 v13, v26
	v_cvt_f32_u32_e32 v10, v10
	s_delay_alu instid0(VALU_DEP_1)
	v_dual_add_f32 v10, v10, v11 :: v_dual_add_f32 v11, v13, v12
	s_clause 0x1
	buffer_load_b128 v[5:8], v9, s[4:7], 0 offen
	buffer_load_b128 v[1:4], v9, s[4:7], 16 offen
	v_cvt_f32_u32_e32 v13, v28
	s_waitcnt vmcnt(2)
	v_and_b32_e32 v28, 0xffff, v25
	v_mul_f32_e32 v26, v10, v10
	v_cvt_f32_u32_e32 v15, v27
	v_lshrrev_b32_e32 v25, 16, v25
	s_load_b64 s[4:5], s[0:1], 0x48
	v_cvt_f32_u32_e32 v28, v28
	v_fmac_f32_e32 v26, v11, v11
	v_add_f32_e32 v12, v15, v14
	v_cvt_f32_u32_e32 v14, v29
	v_lshrrev_b32_e32 v15, 16, v20
	v_cvt_f32_u32_e32 v29, v40
	v_cvt_f32_u32_e32 v25, v25
	v_fmac_f32_e32 v26, v12, v12
	v_and_b32_e32 v37, 0xffff, v16
	v_lshrrev_b32_e32 v16, 16, v19
	v_cvt_f32_u32_e32 v15, v15
	v_add_f32_e32 v14, v14, v17
	v_cvt_f32_u32_e32 v17, v31
	v_lshrrev_b32_e32 v19, 16, v21
	v_cvt_f32_u32_e32 v16, v16
	s_load_b128 s[0:3], s[0:1], 0x0
	v_and_b32_e32 v27, 0xffff, v23
	v_lshrrev_b32_e32 v23, 16, v23
	v_cvt_f32_u32_e32 v19, v19
	v_add_f32_e32 v13, v13, v16
	v_cvt_f32_u32_e32 v16, v30
	v_and_b32_e32 v18, 0xffff, v21
	v_lshrrev_b32_e32 v21, 16, v22
	s_waitcnt lgkmcnt(0)
	s_ashr_i32 s6, s4, 31
	v_dual_fmac_f32 v26, v13, v13 :: v_dual_add_f32 v15, v16, v15
	v_cvt_f32_u32_e32 v18, v18
	v_cvt_f32_u32_e32 v16, v32
	v_and_b32_e32 v20, 0xffff, v22
	s_delay_alu instid0(VALU_DEP_4)
	v_fmac_f32_e32 v26, v14, v14
	v_cvt_f32_u32_e32 v22, v34
	v_add_f32_e32 v17, v17, v18
	v_add_f32_e32 v19, v16, v19
	v_cvt_f32_u32_e32 v18, v33
	v_fmac_f32_e32 v26, v15, v15
	v_cvt_f32_u32_e32 v20, v20
	v_cvt_f32_u32_e32 v21, v21
	;; [unrolled: 1-line block ×4, first 2 shown]
	v_fmac_f32_e32 v26, v17, v17
	v_add_f32_e32 v16, v18, v20
	v_add_f32_e32 v18, v22, v21
	v_cvt_f32_u32_e32 v21, v36
	v_and_b32_e32 v22, 0xffff, v24
	v_dual_fmac_f32 v26, v19, v19 :: v_dual_add_f32 v25, v29, v25
	v_lshrrev_b32_e32 v24, 16, v24
	v_cvt_f32_u32_e32 v20, v35
	s_delay_alu instid0(VALU_DEP_3) | instskip(SKIP_1) | instid1(VALU_DEP_4)
	v_dual_add_f32 v21, v21, v23 :: v_dual_fmac_f32 v26, v16, v16
	v_cvt_f32_u32_e32 v23, v38
	v_cvt_f32_u32_e32 v24, v24
	s_delay_alu instid0(VALU_DEP_4)
	v_add_f32_e32 v20, v20, v27
	v_cvt_f32_u32_e32 v27, v37
	v_cvt_f32_u32_e32 v22, v22
	s_mul_hi_u32 s7, s4, s20
	v_dual_add_f32 v23, v23, v24 :: v_dual_fmac_f32 v26, v18, v18
	s_mul_i32 s8, s6, s20
	s_delay_alu instid0(VALU_DEP_2)
	v_add_f32_e32 v22, v27, v22
	v_cvt_f32_u32_e32 v27, v39
	s_mul_i32 s6, s4, s20
	v_fmac_f32_e32 v26, v20, v20
	s_add_i32 s7, s7, s8
	v_and_b32_e32 v36, 31, v0
	v_add_f32_e32 v24, v27, v28
	s_lshl_b64 s[6:7], s[6:7], 1
	v_fmac_f32_e32 v26, v21, v21
	s_add_u32 s12, s2, s6
	v_perm_b32 v31, v19, v17, 0x7060302
	v_perm_b32 v30, v15, v14, 0x7060302
	v_perm_b32 v29, v13, v12, 0x7060302
	v_fmac_f32_e32 v26, v22, v22
	v_perm_b32 v28, v10, v11, 0x7060302
	v_perm_b32 v35, v25, v24, 0x7060302
	;; [unrolled: 1-line block ×4, first 2 shown]
	v_fmac_f32_e32 v26, v23, v23
	v_perm_b32 v32, v18, v16, 0x7060302
	s_addc_u32 s2, s3, s7
	s_delay_alu instid0(SALU_CYCLE_1) | instskip(NEXT) | instid1(VALU_DEP_2)
	s_and_b32 s13, s2, 0xffff
	v_fmac_f32_e32 v26, v24, v24
	s_mov_b32 s2, exec_lo
	buffer_store_b128 v[28:31], v9, s[12:15], 0 offen
	;;#ASMSTART
	s_nop 0
	;;#ASMEND
	buffer_store_b128 v[32:35], v9, s[12:15], 16 offen
	v_fmac_f32_e32 v26, v25, v25
	;;#ASMSTART
	s_nop 0
	;;#ASMEND
	s_delay_alu instid0(VALU_DEP_1) | instskip(NEXT) | instid1(VALU_DEP_1)
	v_mov_b32_dpp v27, v26 quad_perm:[1,0,3,2] row_mask:0xf bank_mask:0xf
	v_add_f32_e32 v26, v26, v27
	s_delay_alu instid0(VALU_DEP_1) | instskip(NEXT) | instid1(VALU_DEP_1)
	v_mov_b32_dpp v27, v26 quad_perm:[2,3,0,1] row_mask:0xf bank_mask:0xf
	v_add_f32_e32 v26, v26, v27
	s_delay_alu instid0(VALU_DEP_1) | instskip(NEXT) | instid1(VALU_DEP_1)
	v_mov_b32_dpp v27, v26 row_xmask:7 row_mask:0xf bank_mask:0xf
	v_add_f32_e32 v26, v26, v27
	s_delay_alu instid0(VALU_DEP_1)
	v_mov_b32_dpp v27, v26 row_xmask:15 row_mask:0xf bank_mask:0xf
	v_cmpx_eq_u32_e32 31, v36
	s_cbranch_execz .LBB128_3
; %bb.2:
	s_delay_alu instid0(VALU_DEP_2) | instskip(SKIP_2) | instid1(VALU_DEP_2)
	v_add_f32_e32 v26, v26, v27
	s_mov_b32 s3, 0x76543210
	v_lshrrev_b32_e32 v27, 3, v0
	v_permlanex16_b32 v28, v26, s3, 0xfedcba98 op_sel:[1,1]
	s_delay_alu instid0(VALU_DEP_1)
	v_dual_add_f32 v26, v26, v28 :: v_dual_and_b32 v27, 0x7c, v27
	ds_store_b32 v27, v26
.LBB128_3:
	s_or_b32 exec_lo, exec_lo, s2
	v_and_b32_e32 v0, 7, v0
	s_waitcnt vmcnt(0) lgkmcnt(0)
	s_waitcnt_vscnt null, 0x0
	s_barrier
	buffer_gl0_inv
	v_cvt_f32_i32_e32 v27, s17
	v_lshlrev_b32_e32 v0, 2, v0
	v_lshrrev_b32_e32 v32, 16, v3
	v_lshrrev_b32_e32 v34, 16, v4
	s_ashr_i32 s3, s5, 31
	s_mul_hi_u32 s4, s5, s20
	ds_load_b32 v0, v0
	v_cvt_f32_u32_e32 v32, v32
	v_cvt_f32_u32_e32 v34, v34
	s_mul_i32 s3, s3, s20
	s_mul_i32 s2, s5, s20
	s_add_i32 s3, s4, s3
	s_delay_alu instid0(SALU_CYCLE_1) | instskip(NEXT) | instid1(SALU_CYCLE_1)
	s_lshl_b64 s[2:3], s[2:3], 1
	s_add_u32 s12, s0, s2
	s_addc_u32 s0, s1, s3
	s_delay_alu instid0(SALU_CYCLE_1) | instskip(SKIP_2) | instid1(VALU_DEP_1)
	s_and_b32 s13, s0, 0xffff
	s_waitcnt lgkmcnt(0)
	v_mov_b32_dpp v26, v0 quad_perm:[1,0,3,2] row_mask:0xf bank_mask:0xf
	v_add_f32_e32 v0, v0, v26
	s_delay_alu instid0(VALU_DEP_1) | instskip(NEXT) | instid1(VALU_DEP_1)
	v_mov_b32_dpp v26, v0 quad_perm:[2,3,0,1] row_mask:0xf bank_mask:0xf
	v_add_f32_e32 v0, v0, v26
	s_delay_alu instid0(VALU_DEP_1) | instskip(NEXT) | instid1(VALU_DEP_1)
	v_mov_b32_dpp v26, v0 row_xmask:7 row_mask:0xf bank_mask:0xf
	v_add_f32_e32 v0, v0, v26
	s_delay_alu instid0(VALU_DEP_1) | instskip(SKIP_1) | instid1(VALU_DEP_2)
	v_div_scale_f32 v26, null, v27, v27, v0
	v_div_scale_f32 v30, vcc_lo, v0, v27, v0
	v_rcp_f32_e32 v28, v26
	s_waitcnt_depctr 0xfff
	v_fma_f32 v29, -v26, v28, 1.0
	s_delay_alu instid0(VALU_DEP_1) | instskip(NEXT) | instid1(VALU_DEP_1)
	v_fmac_f32_e32 v28, v29, v28
	v_mul_f32_e32 v29, v30, v28
	s_delay_alu instid0(VALU_DEP_1) | instskip(NEXT) | instid1(VALU_DEP_1)
	v_fma_f32 v31, -v26, v29, v30
	v_fmac_f32_e32 v29, v31, v28
	v_lshrrev_b32_e32 v31, 16, v2
	s_delay_alu instid0(VALU_DEP_2) | instskip(SKIP_1) | instid1(VALU_DEP_3)
	v_fma_f32 v26, -v26, v29, v30
	v_lshrrev_b32_e32 v30, 16, v1
	v_cvt_f32_u32_e32 v31, v31
	s_delay_alu instid0(VALU_DEP_3)
	v_div_fmas_f32 v26, v26, v28, v29
	v_lshrrev_b32_e32 v28, 16, v7
	v_and_b32_e32 v7, 0xffff, v7
	v_cvt_f32_u32_e32 v30, v30
	v_lshrrev_b32_e32 v29, 16, v8
	v_div_fixup_f32 v0, v26, v27, v0
	v_cvt_f32_u32_e32 v28, v28
	v_cvt_f32_u32_e32 v7, v7
	s_delay_alu instid0(VALU_DEP_4) | instskip(NEXT) | instid1(VALU_DEP_4)
	v_cvt_f32_u32_e32 v29, v29
	v_cvt_f64_f32_e32 v[26:27], v0
	s_delay_alu instid0(VALU_DEP_1) | instskip(NEXT) | instid1(VALU_DEP_1)
	v_add_f64 v[26:27], v[26:27], s[10:11]
	v_cvt_f32_f64_e32 v0, v[26:27]
	v_lshrrev_b32_e32 v26, 16, v5
	v_lshrrev_b32_e32 v27, 16, v6
	v_and_b32_e32 v5, 0xffff, v5
	s_delay_alu instid0(VALU_DEP_3) | instskip(NEXT) | instid1(VALU_DEP_3)
	v_cvt_f32_u32_e32 v26, v26
	v_cvt_f32_u32_e32 v27, v27
	s_delay_alu instid0(VALU_DEP_3) | instskip(SKIP_2) | instid1(VALU_DEP_2)
	v_cvt_f32_u32_e32 v5, v5
	v_mul_f32_e32 v33, 0x4b800000, v0
	v_cmp_gt_f32_e32 vcc_lo, 0x800000, v0
	v_dual_cndmask_b32 v0, v0, v33 :: v_dual_and_b32 v3, 0xffff, v3
	s_delay_alu instid0(VALU_DEP_1) | instskip(NEXT) | instid1(VALU_DEP_2)
	v_cvt_f32_u32_e32 v3, v3
	v_rsq_f32_e32 v0, v0
	s_waitcnt_depctr 0xfff
	v_mul_f32_e32 v33, 0x45800000, v0
	s_delay_alu instid0(VALU_DEP_1) | instskip(NEXT) | instid1(VALU_DEP_1)
	v_cndmask_b32_e32 v0, v0, v33, vcc_lo
	v_dual_mul_f32 v19, v19, v0 :: v_dual_and_b32 v6, 0xffff, v6
	s_delay_alu instid0(VALU_DEP_1) | instskip(SKIP_4) | instid1(VALU_DEP_3)
	v_cvt_f32_u32_e32 v6, v6
	v_mul_f32_e32 v15, v15, v0
	v_mul_f32_e32 v12, v12, v0
	;; [unrolled: 1-line block ×3, first 2 shown]
	v_and_b32_e32 v4, 0xffff, v4
	v_mul_f32_e32 v6, v12, v6
	s_delay_alu instid0(VALU_DEP_3) | instskip(SKIP_3) | instid1(VALU_DEP_3)
	v_dual_mul_f32 v12, v15, v28 :: v_dual_mul_f32 v15, v18, v30
	v_dual_mul_f32 v17, v17, v0 :: v_dual_and_b32 v2, 0xffff, v2
	v_dual_mul_f32 v14, v14, v0 :: v_dual_and_b32 v1, 0xffff, v1
	v_and_b32_e32 v8, 0xffff, v8
	v_cvt_f32_u32_e32 v2, v2
	v_mul_f32_e32 v22, v22, v0
	v_mul_f32_e32 v11, v11, v0
	;; [unrolled: 1-line block ×4, first 2 shown]
	v_cvt_f32_u32_e32 v1, v1
	v_mul_f32_e32 v10, v10, v0
	v_mul_f32_e32 v25, v25, v0
	;; [unrolled: 1-line block ×5, first 2 shown]
	v_dual_mul_f32 v0, v16, v0 :: v_dual_mul_f32 v7, v14, v7
	v_cvt_f32_u32_e32 v8, v8
	v_mul_f32_e32 v16, v20, v2
	v_mul_f32_e32 v20, v25, v34
	v_dual_mul_f32 v18, v22, v3 :: v_dual_mul_f32 v5, v11, v5
	v_mul_f32_e32 v11, v13, v27
	v_mul_f32_e32 v13, v19, v29
	v_cvt_f32_u32_e32 v4, v4
	v_mul_f32_e32 v10, v10, v26
	v_mul_f32_e32 v8, v17, v8
	v_dual_mul_f32 v14, v0, v1 :: v_dual_mul_f32 v17, v21, v31
	v_mul_f32_e32 v19, v23, v32
	v_mul_f32_e32 v4, v24, v4
	s_delay_alu instid0(VALU_DEP_4)
	v_perm_b32 v3, v13, v8, 0x7060302
	v_perm_b32 v2, v12, v7, 0x7060302
	;; [unrolled: 1-line block ×8, first 2 shown]
	buffer_store_b128 v[0:3], v9, s[12:15], 0 offen
	;;#ASMSTART
	s_nop 0
	;;#ASMEND
	buffer_store_b128 v[4:7], v9, s[12:15], 16 offen
	;;#ASMSTART
	s_nop 0
	;;#ASMEND
.LBB128_4:
	s_nop 0
	s_sendmsg sendmsg(MSG_DEALLOC_VGPRS)
	s_endpgm
	.section	.rodata,"a",@progbits
	.p2align	6, 0x0
	.amdhsa_kernel _ZN5aiter24add_rmsnorm_quant_kernelIttLi256ELi16ELb1ELb0ELb0ELi1EEEvPT0_PT_PfS4_S4_S4_diiiiiiib
		.amdhsa_group_segment_fixed_size 32
		.amdhsa_private_segment_fixed_size 0
		.amdhsa_kernarg_size 88
		.amdhsa_user_sgpr_count 15
		.amdhsa_user_sgpr_dispatch_ptr 0
		.amdhsa_user_sgpr_queue_ptr 0
		.amdhsa_user_sgpr_kernarg_segment_ptr 1
		.amdhsa_user_sgpr_dispatch_id 0
		.amdhsa_user_sgpr_private_segment_size 0
		.amdhsa_wavefront_size32 1
		.amdhsa_uses_dynamic_stack 0
		.amdhsa_enable_private_segment 0
		.amdhsa_system_sgpr_workgroup_id_x 1
		.amdhsa_system_sgpr_workgroup_id_y 0
		.amdhsa_system_sgpr_workgroup_id_z 0
		.amdhsa_system_sgpr_workgroup_info 0
		.amdhsa_system_vgpr_workitem_id 0
		.amdhsa_next_free_vgpr 41
		.amdhsa_next_free_sgpr 22
		.amdhsa_reserve_vcc 1
		.amdhsa_float_round_mode_32 0
		.amdhsa_float_round_mode_16_64 0
		.amdhsa_float_denorm_mode_32 3
		.amdhsa_float_denorm_mode_16_64 3
		.amdhsa_dx10_clamp 1
		.amdhsa_ieee_mode 1
		.amdhsa_fp16_overflow 0
		.amdhsa_workgroup_processor_mode 1
		.amdhsa_memory_ordered 1
		.amdhsa_forward_progress 0
		.amdhsa_shared_vgpr_count 0
		.amdhsa_exception_fp_ieee_invalid_op 0
		.amdhsa_exception_fp_denorm_src 0
		.amdhsa_exception_fp_ieee_div_zero 0
		.amdhsa_exception_fp_ieee_overflow 0
		.amdhsa_exception_fp_ieee_underflow 0
		.amdhsa_exception_fp_ieee_inexact 0
		.amdhsa_exception_int_div_zero 0
	.end_amdhsa_kernel
	.section	.text._ZN5aiter24add_rmsnorm_quant_kernelIttLi256ELi16ELb1ELb0ELb0ELi1EEEvPT0_PT_PfS4_S4_S4_diiiiiiib,"axG",@progbits,_ZN5aiter24add_rmsnorm_quant_kernelIttLi256ELi16ELb1ELb0ELb0ELi1EEEvPT0_PT_PfS4_S4_S4_diiiiiiib,comdat
.Lfunc_end128:
	.size	_ZN5aiter24add_rmsnorm_quant_kernelIttLi256ELi16ELb1ELb0ELb0ELi1EEEvPT0_PT_PfS4_S4_S4_diiiiiiib, .Lfunc_end128-_ZN5aiter24add_rmsnorm_quant_kernelIttLi256ELi16ELb1ELb0ELb0ELi1EEEvPT0_PT_PfS4_S4_S4_diiiiiiib
                                        ; -- End function
	.section	.AMDGPU.csdata,"",@progbits
; Kernel info:
; codeLenInByte = 1864
; NumSgprs: 24
; NumVgprs: 41
; ScratchSize: 0
; MemoryBound: 0
; FloatMode: 240
; IeeeMode: 1
; LDSByteSize: 32 bytes/workgroup (compile time only)
; SGPRBlocks: 2
; VGPRBlocks: 5
; NumSGPRsForWavesPerEU: 24
; NumVGPRsForWavesPerEU: 41
; Occupancy: 16
; WaveLimiterHint : 0
; COMPUTE_PGM_RSRC2:SCRATCH_EN: 0
; COMPUTE_PGM_RSRC2:USER_SGPR: 15
; COMPUTE_PGM_RSRC2:TRAP_HANDLER: 0
; COMPUTE_PGM_RSRC2:TGID_X_EN: 1
; COMPUTE_PGM_RSRC2:TGID_Y_EN: 0
; COMPUTE_PGM_RSRC2:TGID_Z_EN: 0
; COMPUTE_PGM_RSRC2:TIDIG_COMP_CNT: 0
	.section	.text._ZN5aiter24add_rmsnorm_quant_kernelIDF16_DF16_Li256ELi24ELb1ELb0ELb1ELi1EEEvPT0_PT_PfS4_S4_S4_diiiiiiib,"axG",@progbits,_ZN5aiter24add_rmsnorm_quant_kernelIDF16_DF16_Li256ELi24ELb1ELb0ELb1ELi1EEEvPT0_PT_PfS4_S4_S4_diiiiiiib,comdat
	.protected	_ZN5aiter24add_rmsnorm_quant_kernelIDF16_DF16_Li256ELi24ELb1ELb0ELb1ELi1EEEvPT0_PT_PfS4_S4_S4_diiiiiiib ; -- Begin function _ZN5aiter24add_rmsnorm_quant_kernelIDF16_DF16_Li256ELi24ELb1ELb0ELb1ELi1EEEvPT0_PT_PfS4_S4_S4_diiiiiiib
	.globl	_ZN5aiter24add_rmsnorm_quant_kernelIDF16_DF16_Li256ELi24ELb1ELb0ELb1ELi1EEEvPT0_PT_PfS4_S4_S4_diiiiiiib
	.p2align	8
	.type	_ZN5aiter24add_rmsnorm_quant_kernelIDF16_DF16_Li256ELi24ELb1ELb0ELb1ELi1EEEvPT0_PT_PfS4_S4_S4_diiiiiiib,@function
_ZN5aiter24add_rmsnorm_quant_kernelIDF16_DF16_Li256ELi24ELb1ELb0ELb1ELi1EEEvPT0_PT_PfS4_S4_S4_diiiiiiib: ; @_ZN5aiter24add_rmsnorm_quant_kernelIDF16_DF16_Li256ELi24ELb1ELb0ELb1ELi1EEEvPT0_PT_PfS4_S4_S4_diiiiiiib
; %bb.0:
	s_load_b128 s[16:19], s[0:1], 0x38
	s_mov_b32 s20, s15
	s_mov_b32 s21, 0
	s_waitcnt lgkmcnt(0)
	s_ashr_i32 s3, s16, 31
	s_mov_b32 s2, s16
	s_delay_alu instid0(SALU_CYCLE_1) | instskip(NEXT) | instid1(VALU_DEP_1)
	v_cmp_ge_i64_e64 s2, s[20:21], s[2:3]
	s_and_b32 vcc_lo, exec_lo, s2
	s_cbranch_vccnz .LBB129_4
; %bb.1:
	s_load_b256 s[4:11], s[0:1], 0x18
	v_and_b32_e32 v1, 0x3e0, v0
	s_ashr_i32 s3, s18, 31
	s_mul_hi_u32 s12, s18, s20
	s_mul_i32 s3, s3, s20
	s_mul_i32 s2, s18, s20
	v_lshlrev_b32_e32 v2, 3, v0
	v_mul_u32_u24_e32 v1, 24, v1
	s_add_i32 s3, s12, s3
	s_mul_hi_u32 s14, s19, s20
	s_lshl_b64 s[2:3], s[2:3], 1
	s_mul_i32 s22, s19, s20
	v_and_or_b32 v1, 0xf8, v2, v1
	s_mov_b32 s15, -1
	s_movk_i32 s18, 0x200
	s_movk_i32 s16, 0x400
	s_delay_alu instid0(VALU_DEP_1)
	v_lshlrev_b32_e32 v13, 1, v1
	s_waitcnt lgkmcnt(0)
	s_add_u32 s12, s4, s2
	s_addc_u32 s2, s5, s3
	s_add_i32 s3, s17, 1
	s_and_b32 s5, s9, 0xffff
	s_ashr_i32 s4, s19, 31
	s_lshr_b32 s9, s3, 31
	s_mul_i32 s4, s4, s20
	s_add_i32 s3, s3, s9
	s_and_b32 s13, s2, 0xffff
	s_lshl_b32 s2, s3, 1
	s_add_i32 s23, s14, s4
	s_and_b32 s14, s2, -4
	s_lshl_b64 s[2:3], s[22:23], 1
	s_clause 0x2
	buffer_load_b128 v[14:17], v13, s[12:15], 0 offen glc slc
	buffer_load_b128 v[23:26], v13, s[12:15], s18 offen glc slc
	buffer_load_b128 v[31:34], v13, s[12:15], s16 offen glc slc
	s_add_u32 s12, s6, s2
	s_addc_u32 s2, s7, s3
	s_mov_b32 s7, s15
	s_and_b32 s13, s2, 0xffff
	s_clause 0x2
	buffer_load_b128 v[18:21], v13, s[12:15], 0 offen glc slc
	buffer_load_b128 v[27:30], v13, s[12:15], s18 offen glc slc
	;; [unrolled: 1-line block ×3, first 2 shown]
	s_mov_b32 s4, s8
	s_mov_b32 s6, s14
	s_waitcnt vmcnt(5)
	v_lshrrev_b32_e32 v22, 16, v14
	v_cvt_f32_f16_e32 v40, v14
	v_lshrrev_b32_e32 v41, 16, v15
	v_lshrrev_b32_e32 v42, 16, v16
	v_cvt_f32_f16_e32 v43, v16
	v_cvt_f32_f16_e32 v14, v22
	s_waitcnt vmcnt(2)
	v_lshrrev_b32_e32 v39, 16, v18
	v_lshrrev_b32_e32 v16, 16, v19
	;; [unrolled: 1-line block ×3, first 2 shown]
	v_cvt_f32_f16_e32 v21, v21
	s_delay_alu instid0(VALU_DEP_4) | instskip(SKIP_3) | instid1(VALU_DEP_4)
	v_cvt_f32_f16_e32 v22, v39
	v_cvt_f32_f16_e32 v39, v15
	;; [unrolled: 1-line block ×4, first 2 shown]
	v_dual_add_f32 v14, v14, v22 :: v_dual_and_b32 v51, 31, v0
	v_lshrrev_b32_e32 v22, 16, v17
	s_delay_alu instid0(VALU_DEP_4)
	v_add_f32_e32 v15, v40, v15
	v_cvt_f32_f16_e32 v19, v17
	v_cvt_f32_f16_e32 v17, v41
	v_mul_f32_e32 v40, v14, v14
	s_clause 0x2
	buffer_load_b128 v[9:12], v13, s[4:7], 0 offen
	buffer_load_b128 v[5:8], v13, s[4:7], s18 offen
	;; [unrolled: 1-line block ×3, first 2 shown]
	v_cvt_f32_f16_e32 v41, v16
	v_add_f32_e32 v16, v39, v18
	v_lshrrev_b32_e32 v18, 16, v20
	v_fmac_f32_e32 v40, v15, v15
	v_cvt_f32_f16_e32 v20, v20
	v_add_f32_e32 v17, v17, v41
	v_cvt_f32_f16_e32 v41, v42
	v_cvt_f32_f16_e32 v42, v18
	v_lshrrev_b32_e32 v39, 16, v23
	v_cvt_f32_f16_e32 v23, v23
	v_add_f32_e32 v18, v43, v20
	v_lshrrev_b32_e32 v43, 16, v24
	v_add_f32_e32 v20, v41, v42
	v_cvt_f32_f16_e32 v41, v24
	v_cvt_f32_f16_e32 v24, v22
	v_add_f32_e32 v22, v19, v21
	s_waitcnt vmcnt(4)
	v_lshrrev_b32_e32 v19, 16, v27
	v_cvt_f32_f16_e32 v21, v27
	v_fmac_f32_e32 v40, v16, v16
	v_cvt_f32_f16_e32 v42, v44
	v_lshrrev_b32_e32 v44, 16, v25
	v_cvt_f32_f16_e32 v27, v25
	v_cvt_f32_f16_e32 v25, v39
	v_cvt_f32_f16_e32 v39, v19
	v_add_f32_e32 v19, v23, v21
	v_lshrrev_b32_e32 v23, 16, v28
	v_cvt_f32_f16_e32 v28, v28
	v_add_f32_e32 v24, v24, v42
	v_lshrrev_b32_e32 v42, 16, v26
	v_add_f32_e32 v21, v25, v39
	v_cvt_f32_f16_e32 v39, v26
	v_cvt_f32_f16_e32 v25, v43
	;; [unrolled: 1-line block ×3, first 2 shown]
	v_add_f32_e32 v23, v41, v28
	v_lshrrev_b32_e32 v28, 16, v29
	v_cvt_f32_f16_e32 v29, v29
	v_cvt_f32_f16_e32 v43, v44
	v_add_f32_e32 v25, v25, v26
	v_lshrrev_b32_e32 v41, 16, v31
	v_cvt_f32_f16_e32 v28, v28
	v_add_f32_e32 v26, v27, v29
	v_lshrrev_b32_e32 v27, 16, v30
	v_cvt_f32_f16_e32 v29, v30
	v_cvt_f32_f16_e32 v31, v31
	v_lshrrev_b32_e32 v44, 16, v32
	v_add_f32_e32 v28, v43, v28
	v_cvt_f32_f16_e32 v43, v32
	v_cvt_f32_f16_e32 v32, v42
	;; [unrolled: 1-line block ×3, first 2 shown]
	v_add_f32_e32 v30, v39, v29
	s_waitcnt vmcnt(3)
	v_lshrrev_b32_e32 v29, 16, v35
	v_cvt_f32_f16_e32 v35, v35
	v_fmac_f32_e32 v40, v17, v17
	v_lshrrev_b32_e32 v39, 16, v33
	v_add_f32_e32 v32, v32, v27
	v_cvt_f32_f16_e32 v42, v33
	v_add_f32_e32 v27, v31, v35
	v_cvt_f32_f16_e32 v33, v41
	v_cvt_f32_f16_e32 v29, v29
	v_fmac_f32_e32 v40, v18, v18
	v_lshrrev_b32_e32 v31, 16, v36
	v_cvt_f32_f16_e32 v36, v36
	v_lshrrev_b32_e32 v35, 16, v34
	v_add_f32_e32 v29, v33, v29
	v_cvt_f32_f16_e32 v41, v34
	v_cvt_f32_f16_e32 v33, v44
	;; [unrolled: 1-line block ×3, first 2 shown]
	v_add_f32_e32 v31, v43, v36
	v_fmac_f32_e32 v40, v20, v20
	v_cvt_f32_f16_e32 v36, v39
	v_lshrrev_b32_e32 v39, 16, v37
	v_add_f32_e32 v33, v33, v34
	v_cvt_f32_f16_e32 v37, v37
	v_fmac_f32_e32 v40, v22, v22
	v_cvt_f32_f16_e32 v43, v35
	v_lshrrev_b32_e32 v35, 16, v38
	v_cvt_f32_f16_e32 v39, v39
	v_add_f32_e32 v34, v42, v37
	v_cvt_f32_f16_e32 v37, v38
	s_clause 0x1
	s_load_b64 s[4:5], s[0:1], 0x48
	s_load_b128 s[0:3], s[0:1], 0x0
	v_cvt_f32_f16_e32 v38, v35
	v_add_f32_e32 v36, v36, v39
	v_cvt_f16_f32_e32 v55, v20
	v_dual_add_f32 v35, v41, v37 :: v_dual_fmac_f32 v40, v24, v24
	s_delay_alu instid0(VALU_DEP_4)
	v_add_f32_e32 v37, v43, v38
	v_cvt_f16_f32_e32 v41, v18
	v_cvt_f16_f32_e32 v38, v15
	;; [unrolled: 1-line block ×3, first 2 shown]
	v_fmac_f32_e32 v40, v19, v19
	v_cvt_f16_f32_e32 v52, v14
	v_cvt_f16_f32_e32 v53, v17
	v_pack_b32_f16 v41, v41, v55
	v_cvt_f16_f32_e32 v42, v22
	v_fmac_f32_e32 v40, v21, v21
	v_cvt_f16_f32_e32 v56, v24
	v_cvt_f16_f32_e32 v43, v19
	;; [unrolled: 1-line block ×3, first 2 shown]
	s_waitcnt lgkmcnt(0)
	s_ashr_i32 s6, s4, 31
	v_fmac_f32_e32 v40, v23, v23
	s_mul_hi_u32 s7, s4, s20
	s_mul_i32 s8, s6, s20
	s_mul_i32 s6, s4, s20
	s_add_i32 s7, s7, s8
	v_fmac_f32_e32 v40, v25, v25
	s_lshl_b64 s[6:7], s[6:7], 1
	v_cvt_f16_f32_e32 v46, v30
	s_add_u32 s12, s2, s6
	v_cvt_f16_f32_e32 v47, v27
	v_fmac_f32_e32 v40, v26, v26
	v_cvt_f16_f32_e32 v48, v31
	v_cvt_f16_f32_e32 v49, v34
	;; [unrolled: 1-line block ×4, first 2 shown]
	v_fmac_f32_e32 v40, v28, v28
	v_cvt_f16_f32_e32 v58, v25
	v_cvt_f16_f32_e32 v59, v32
	;; [unrolled: 1-line block ×4, first 2 shown]
	v_fmac_f32_e32 v40, v30, v30
	v_cvt_f16_f32_e32 v63, v36
	v_cvt_f16_f32_e32 v64, v37
	v_pack_b32_f16 v42, v42, v56
	s_addc_u32 s2, s3, s7
	v_fmac_f32_e32 v40, v32, v32
	s_and_b32 s13, s2, 0xffff
	v_pack_b32_f16 v46, v46, v59
	v_pack_b32_f16 v44, v44, v58
	;; [unrolled: 1-line block ×3, first 2 shown]
	v_fmac_f32_e32 v40, v27, v27
	v_pack_b32_f16 v50, v50, v64
	v_pack_b32_f16 v49, v49, v63
	;; [unrolled: 1-line block ×4, first 2 shown]
	v_fmac_f32_e32 v40, v29, v29
	s_mov_b32 s2, exec_lo
	s_delay_alu instid0(VALU_DEP_1) | instskip(NEXT) | instid1(VALU_DEP_1)
	v_fmac_f32_e32 v40, v31, v31
	v_fmac_f32_e32 v40, v33, v33
	s_delay_alu instid0(VALU_DEP_1) | instskip(NEXT) | instid1(VALU_DEP_1)
	v_fmac_f32_e32 v40, v34, v34
	v_fmac_f32_e32 v40, v36, v36
	;; [unrolled: 3-line block ×3, first 2 shown]
	s_delay_alu instid0(VALU_DEP_1) | instskip(NEXT) | instid1(VALU_DEP_1)
	v_mov_b32_dpp v54, v40 quad_perm:[1,0,3,2] row_mask:0xf bank_mask:0xf
	v_add_f32_e32 v40, v40, v54
	v_cvt_f16_f32_e32 v54, v28
	s_delay_alu instid0(VALU_DEP_2) | instskip(NEXT) | instid1(VALU_DEP_1)
	v_mov_b32_dpp v62, v40 quad_perm:[2,3,0,1] row_mask:0xf bank_mask:0xf
	v_add_f32_e32 v55, v40, v62
	v_pack_b32_f16 v40, v39, v53
	v_pack_b32_f16 v39, v38, v52
	v_cvt_f16_f32_e32 v45, v26
	s_delay_alu instid0(VALU_DEP_4)
	v_mov_b32_dpp v38, v55 row_xmask:7 row_mask:0xf bank_mask:0xf
	buffer_store_b128 v[39:42], v13, s[12:15], 0 offen glc slc
	v_pack_b32_f16 v45, v45, v54
	;;#ASMSTART
	s_nop 0
	;;#ASMEND
	v_add_f32_e32 v38, v55, v38
	buffer_store_b128 v[43:46], v13, s[12:15], s18 offen glc slc
	;;#ASMSTART
	s_nop 0
	;;#ASMEND
	v_mov_b32_dpp v39, v38 row_xmask:15 row_mask:0xf bank_mask:0xf
	buffer_store_b128 v[47:50], v13, s[12:15], s16 offen glc slc
	;;#ASMSTART
	s_nop 0
	;;#ASMEND
	v_cmpx_eq_u32_e32 31, v51
	s_cbranch_execz .LBB129_3
; %bb.2:
	v_add_f32_e32 v38, v38, v39
	s_mov_b32 s3, 0x76543210
	v_lshrrev_b32_e32 v39, 3, v0
	s_delay_alu instid0(VALU_DEP_2) | instskip(NEXT) | instid1(VALU_DEP_1)
	v_permlanex16_b32 v40, v38, s3, 0xfedcba98 op_sel:[1,1]
	v_dual_add_f32 v38, v38, v40 :: v_dual_and_b32 v39, 0x7c, v39
	ds_store_b32 v39, v38
.LBB129_3:
	s_or_b32 exec_lo, exec_lo, s2
	v_and_b32_e32 v0, 7, v0
	s_waitcnt vmcnt(0) lgkmcnt(0)
	s_waitcnt_vscnt null, 0x0
	s_barrier
	buffer_gl0_inv
	v_cvt_f32_i32_e32 v39, s17
	v_lshlrev_b32_e32 v0, 2, v0
	s_ashr_i32 s2, s5, 31
	s_mul_hi_u32 s3, s5, s20
	s_mul_i32 s4, s2, s20
	s_mul_i32 s2, s5, s20
	ds_load_b32 v0, v0
	s_add_i32 s3, s3, s4
	s_delay_alu instid0(SALU_CYCLE_1) | instskip(NEXT) | instid1(SALU_CYCLE_1)
	s_lshl_b64 s[2:3], s[2:3], 1
	s_add_u32 s12, s0, s2
	s_addc_u32 s0, s1, s3
	s_delay_alu instid0(SALU_CYCLE_1) | instskip(SKIP_2) | instid1(VALU_DEP_1)
	s_and_b32 s13, s0, 0xffff
	s_waitcnt lgkmcnt(0)
	v_mov_b32_dpp v38, v0 quad_perm:[1,0,3,2] row_mask:0xf bank_mask:0xf
	v_add_f32_e32 v0, v0, v38
	s_delay_alu instid0(VALU_DEP_1) | instskip(NEXT) | instid1(VALU_DEP_1)
	v_mov_b32_dpp v38, v0 quad_perm:[2,3,0,1] row_mask:0xf bank_mask:0xf
	v_add_f32_e32 v0, v0, v38
	s_delay_alu instid0(VALU_DEP_1) | instskip(NEXT) | instid1(VALU_DEP_1)
	v_mov_b32_dpp v38, v0 row_xmask:7 row_mask:0xf bank_mask:0xf
	v_add_f32_e32 v0, v0, v38
	s_delay_alu instid0(VALU_DEP_1) | instskip(SKIP_1) | instid1(VALU_DEP_2)
	v_div_scale_f32 v38, null, v39, v39, v0
	v_div_scale_f32 v42, vcc_lo, v0, v39, v0
	v_rcp_f32_e32 v40, v38
	s_waitcnt_depctr 0xfff
	v_fma_f32 v41, -v38, v40, 1.0
	s_delay_alu instid0(VALU_DEP_1) | instskip(NEXT) | instid1(VALU_DEP_1)
	v_fmac_f32_e32 v40, v41, v40
	v_mul_f32_e32 v41, v42, v40
	s_delay_alu instid0(VALU_DEP_1) | instskip(NEXT) | instid1(VALU_DEP_1)
	v_fma_f32 v43, -v38, v41, v42
	v_fmac_f32_e32 v41, v43, v40
	s_delay_alu instid0(VALU_DEP_1) | instskip(NEXT) | instid1(VALU_DEP_1)
	v_fma_f32 v38, -v38, v41, v42
	v_div_fmas_f32 v38, v38, v40, v41
	s_delay_alu instid0(VALU_DEP_1) | instskip(NEXT) | instid1(VALU_DEP_1)
	v_div_fixup_f32 v0, v38, v39, v0
	v_cvt_f64_f32_e32 v[38:39], v0
	s_delay_alu instid0(VALU_DEP_1) | instskip(NEXT) | instid1(VALU_DEP_1)
	v_add_f64 v[38:39], v[38:39], s[10:11]
	v_cvt_f32_f64_e32 v0, v[38:39]
	s_delay_alu instid0(VALU_DEP_1) | instskip(SKIP_1) | instid1(VALU_DEP_2)
	v_mul_f32_e32 v38, 0x4b800000, v0
	v_cmp_gt_f32_e32 vcc_lo, 0x800000, v0
	v_cndmask_b32_e32 v0, v0, v38, vcc_lo
	s_delay_alu instid0(VALU_DEP_1) | instskip(SKIP_2) | instid1(VALU_DEP_1)
	v_rsq_f32_e32 v0, v0
	s_waitcnt_depctr 0xfff
	v_mul_f32_e32 v38, 0x45800000, v0
	v_cndmask_b32_e32 v0, v0, v38, vcc_lo
	s_delay_alu instid0(VALU_DEP_1)
	v_mul_f32_e32 v38, v14, v0
	v_mul_f32_e32 v14, v15, v0
	v_mul_f32_e32 v39, v17, v0
	v_mul_f32_e32 v15, v16, v0
	v_mul_f32_e32 v40, v20, v0
	v_mul_f32_e32 v16, v18, v0
	v_mul_f32_e32 v41, v24, v0
	v_mul_f32_e32 v17, v22, v0
	v_mul_f32_e32 v42, v21, v0
	v_mul_f32_e32 v18, v19, v0
	v_mul_f32_e32 v43, v25, v0
	v_mul_f32_e32 v19, v23, v0
	v_mul_f32_e32 v28, v28, v0
	v_mul_f32_e32 v20, v26, v0
	v_mul_f32_e32 v26, v32, v0
	v_mul_f32_e32 v21, v30, v0
	v_mul_f32_e32 v29, v29, v0
	v_mul_f32_e32 v22, v27, v0
	v_mul_f32_e32 v27, v33, v0
	v_mul_f32_e32 v23, v31, v0
	v_mul_f32_e32 v30, v36, v0
	v_mul_f32_e32 v24, v34, v0
	v_mul_f32_e32 v31, v37, v0
	v_mul_f32_e32 v0, v35, v0
	v_fma_mixlo_f16 v14, v14, v9, 0 op_sel_hi:[0,1,0]
	v_fma_mixlo_f16 v15, v15, v10, 0 op_sel_hi:[0,1,0]
	;; [unrolled: 1-line block ×12, first 2 shown]
	v_fma_mixhi_f16 v17, v41, v12, 0 op_sel:[0,1,0] op_sel_hi:[0,1,0]
	v_fma_mixhi_f16 v16, v40, v11, 0 op_sel:[0,1,0] op_sel_hi:[0,1,0]
	;; [unrolled: 1-line block ×12, first 2 shown]
	buffer_store_b128 v[14:17], v13, s[12:15], 0 offen
	;;#ASMSTART
	s_nop 0
	;;#ASMEND
	buffer_store_b128 v[18:21], v13, s[12:15], s18 offen
	;;#ASMSTART
	s_nop 0
	;;#ASMEND
	buffer_store_b128 v[22:25], v13, s[12:15], s16 offen
	;;#ASMSTART
	s_nop 0
	;;#ASMEND
.LBB129_4:
	s_nop 0
	s_sendmsg sendmsg(MSG_DEALLOC_VGPRS)
	s_endpgm
	.section	.rodata,"a",@progbits
	.p2align	6, 0x0
	.amdhsa_kernel _ZN5aiter24add_rmsnorm_quant_kernelIDF16_DF16_Li256ELi24ELb1ELb0ELb1ELi1EEEvPT0_PT_PfS4_S4_S4_diiiiiiib
		.amdhsa_group_segment_fixed_size 32
		.amdhsa_private_segment_fixed_size 0
		.amdhsa_kernarg_size 88
		.amdhsa_user_sgpr_count 15
		.amdhsa_user_sgpr_dispatch_ptr 0
		.amdhsa_user_sgpr_queue_ptr 0
		.amdhsa_user_sgpr_kernarg_segment_ptr 1
		.amdhsa_user_sgpr_dispatch_id 0
		.amdhsa_user_sgpr_private_segment_size 0
		.amdhsa_wavefront_size32 1
		.amdhsa_uses_dynamic_stack 0
		.amdhsa_enable_private_segment 0
		.amdhsa_system_sgpr_workgroup_id_x 1
		.amdhsa_system_sgpr_workgroup_id_y 0
		.amdhsa_system_sgpr_workgroup_id_z 0
		.amdhsa_system_sgpr_workgroup_info 0
		.amdhsa_system_vgpr_workitem_id 0
		.amdhsa_next_free_vgpr 65
		.amdhsa_next_free_sgpr 24
		.amdhsa_reserve_vcc 1
		.amdhsa_float_round_mode_32 0
		.amdhsa_float_round_mode_16_64 0
		.amdhsa_float_denorm_mode_32 3
		.amdhsa_float_denorm_mode_16_64 3
		.amdhsa_dx10_clamp 1
		.amdhsa_ieee_mode 1
		.amdhsa_fp16_overflow 0
		.amdhsa_workgroup_processor_mode 1
		.amdhsa_memory_ordered 1
		.amdhsa_forward_progress 0
		.amdhsa_shared_vgpr_count 0
		.amdhsa_exception_fp_ieee_invalid_op 0
		.amdhsa_exception_fp_denorm_src 0
		.amdhsa_exception_fp_ieee_div_zero 0
		.amdhsa_exception_fp_ieee_overflow 0
		.amdhsa_exception_fp_ieee_underflow 0
		.amdhsa_exception_fp_ieee_inexact 0
		.amdhsa_exception_int_div_zero 0
	.end_amdhsa_kernel
	.section	.text._ZN5aiter24add_rmsnorm_quant_kernelIDF16_DF16_Li256ELi24ELb1ELb0ELb1ELi1EEEvPT0_PT_PfS4_S4_S4_diiiiiiib,"axG",@progbits,_ZN5aiter24add_rmsnorm_quant_kernelIDF16_DF16_Li256ELi24ELb1ELb0ELb1ELi1EEEvPT0_PT_PfS4_S4_S4_diiiiiiib,comdat
.Lfunc_end129:
	.size	_ZN5aiter24add_rmsnorm_quant_kernelIDF16_DF16_Li256ELi24ELb1ELb0ELb1ELi1EEEvPT0_PT_PfS4_S4_S4_diiiiiiib, .Lfunc_end129-_ZN5aiter24add_rmsnorm_quant_kernelIDF16_DF16_Li256ELi24ELb1ELb0ELb1ELi1EEEvPT0_PT_PfS4_S4_S4_diiiiiiib
                                        ; -- End function
	.section	.AMDGPU.csdata,"",@progbits
; Kernel info:
; codeLenInByte = 1988
; NumSgprs: 26
; NumVgprs: 65
; ScratchSize: 0
; MemoryBound: 0
; FloatMode: 240
; IeeeMode: 1
; LDSByteSize: 32 bytes/workgroup (compile time only)
; SGPRBlocks: 3
; VGPRBlocks: 8
; NumSGPRsForWavesPerEU: 26
; NumVGPRsForWavesPerEU: 65
; Occupancy: 16
; WaveLimiterHint : 0
; COMPUTE_PGM_RSRC2:SCRATCH_EN: 0
; COMPUTE_PGM_RSRC2:USER_SGPR: 15
; COMPUTE_PGM_RSRC2:TRAP_HANDLER: 0
; COMPUTE_PGM_RSRC2:TGID_X_EN: 1
; COMPUTE_PGM_RSRC2:TGID_Y_EN: 0
; COMPUTE_PGM_RSRC2:TGID_Z_EN: 0
; COMPUTE_PGM_RSRC2:TIDIG_COMP_CNT: 0
	.section	.text._ZN5aiter24add_rmsnorm_quant_kernelIttLi256ELi24ELb1ELb0ELb1ELi1EEEvPT0_PT_PfS4_S4_S4_diiiiiiib,"axG",@progbits,_ZN5aiter24add_rmsnorm_quant_kernelIttLi256ELi24ELb1ELb0ELb1ELi1EEEvPT0_PT_PfS4_S4_S4_diiiiiiib,comdat
	.protected	_ZN5aiter24add_rmsnorm_quant_kernelIttLi256ELi24ELb1ELb0ELb1ELi1EEEvPT0_PT_PfS4_S4_S4_diiiiiiib ; -- Begin function _ZN5aiter24add_rmsnorm_quant_kernelIttLi256ELi24ELb1ELb0ELb1ELi1EEEvPT0_PT_PfS4_S4_S4_diiiiiiib
	.globl	_ZN5aiter24add_rmsnorm_quant_kernelIttLi256ELi24ELb1ELb0ELb1ELi1EEEvPT0_PT_PfS4_S4_S4_diiiiiiib
	.p2align	8
	.type	_ZN5aiter24add_rmsnorm_quant_kernelIttLi256ELi24ELb1ELb0ELb1ELi1EEEvPT0_PT_PfS4_S4_S4_diiiiiiib,@function
_ZN5aiter24add_rmsnorm_quant_kernelIttLi256ELi24ELb1ELb0ELb1ELi1EEEvPT0_PT_PfS4_S4_S4_diiiiiiib: ; @_ZN5aiter24add_rmsnorm_quant_kernelIttLi256ELi24ELb1ELb0ELb1ELi1EEEvPT0_PT_PfS4_S4_S4_diiiiiiib
; %bb.0:
	s_load_b128 s[16:19], s[0:1], 0x38
	s_mov_b32 s20, s15
	s_mov_b32 s21, 0
	s_waitcnt lgkmcnt(0)
	s_ashr_i32 s3, s16, 31
	s_mov_b32 s2, s16
	s_delay_alu instid0(SALU_CYCLE_1) | instskip(NEXT) | instid1(VALU_DEP_1)
	v_cmp_ge_i64_e64 s2, s[20:21], s[2:3]
	s_and_b32 vcc_lo, exec_lo, s2
	s_cbranch_vccnz .LBB130_4
; %bb.1:
	s_load_b256 s[4:11], s[0:1], 0x18
	s_ashr_i32 s2, s18, 31
	s_mul_hi_u32 s3, s18, s20
	s_mul_i32 s12, s2, s20
	v_and_b32_e32 v1, 0x3e0, v0
	s_mul_i32 s2, s18, s20
	s_add_i32 s3, s3, s12
	v_lshlrev_b32_e32 v2, 3, v0
	s_lshl_b64 s[2:3], s[2:3], 1
	v_mul_u32_u24_e32 v1, 24, v1
	s_mov_b32 s15, -1
	s_movk_i32 s18, 0x200
	s_movk_i32 s16, 0x400
	s_delay_alu instid0(VALU_DEP_1) | instskip(NEXT) | instid1(VALU_DEP_1)
	v_and_or_b32 v1, 0xf8, v2, v1
	v_lshlrev_b32_e32 v13, 1, v1
	s_waitcnt lgkmcnt(0)
	s_add_u32 s12, s4, s2
	s_addc_u32 s2, s5, s3
	s_add_i32 s3, s17, 1
	s_and_b32 s13, s2, 0xffff
	s_lshr_b32 s4, s3, 31
	s_ashr_i32 s2, s19, 31
	s_add_i32 s3, s3, s4
	s_mul_i32 s4, s2, s20
	s_lshl_b32 s3, s3, 1
	s_mul_i32 s2, s19, s20
	s_and_b32 s14, s3, -4
	s_mul_hi_u32 s3, s19, s20
	s_and_b32 s5, s9, 0xffff
	s_add_i32 s3, s3, s4
	s_clause 0x1
	buffer_load_b128 v[14:17], v13, s[12:15], 0 offen glc slc
	buffer_load_b128 v[22:25], v13, s[12:15], s16 offen glc slc
	s_lshl_b64 s[2:3], s[2:3], 1
	buffer_load_b128 v[18:21], v13, s[12:15], s18 offen glc slc
	s_add_u32 s12, s6, s2
	s_addc_u32 s2, s7, s3
	s_mov_b32 s7, s15
	s_and_b32 s13, s2, 0xffff
	s_clause 0x2
	buffer_load_b128 v[26:29], v13, s[12:15], 0 offen glc slc
	buffer_load_b128 v[30:33], v13, s[12:15], s18 offen glc slc
	;; [unrolled: 1-line block ×3, first 2 shown]
	s_mov_b32 s4, s8
	s_mov_b32 s6, s14
	s_waitcnt vmcnt(5)
	v_and_b32_e32 v41, 0xffff, v16
	v_lshrrev_b32_e32 v42, 16, v16
	v_lshrrev_b32_e32 v40, 16, v15
	s_waitcnt vmcnt(3)
	v_and_b32_e32 v49, 0xffff, v20
	v_lshrrev_b32_e32 v50, 16, v20
	v_and_b32_e32 v51, 0xffff, v21
	v_lshrrev_b32_e32 v52, 16, v21
	s_waitcnt vmcnt(2)
	v_lshrrev_b32_e32 v20, 16, v27
	v_and_b32_e32 v21, 0xffff, v28
	v_lshrrev_b32_e32 v46, 16, v18
	v_and_b32_e32 v43, 0xffff, v17
	v_lshrrev_b32_e32 v44, 16, v17
	v_cvt_f32_u32_e32 v20, v20
	v_and_b32_e32 v16, 0xffff, v26
	v_cvt_f32_u32_e32 v21, v21
	v_and_b32_e32 v45, 0xffff, v18
	v_and_b32_e32 v18, 0xffff, v27
	v_lshrrev_b32_e32 v48, 16, v19
	v_cvt_f32_u32_e32 v16, v16
	v_and_b32_e32 v38, 0xffff, v14
	v_lshrrev_b32_e32 v14, 16, v14
	v_cvt_f32_u32_e32 v18, v18
	;; [unrolled: 3-line block ×3, first 2 shown]
	v_cvt_f32_u32_e32 v14, v14
	v_lshrrev_b32_e32 v54, 16, v22
	v_lshrrev_b32_e32 v58, 16, v24
	v_cvt_f32_u32_e32 v15, v15
	v_lshrrev_b32_e32 v56, 16, v23
	v_lshrrev_b32_e32 v60, 16, v25
	v_cvt_f32_u32_e32 v26, v46
	s_delay_alu instid0(VALU_DEP_4)
	v_dual_add_f32 v14, v14, v15 :: v_dual_add_f32 v15, v17, v16
	v_cvt_f32_u32_e32 v17, v40
	s_waitcnt vmcnt(0)
	v_and_b32_e32 v40, 0xffff, v36
	v_lshrrev_b32_e32 v36, 16, v36
	v_mul_f32_e32 v38, v14, v14
	s_clause 0x2
	buffer_load_b128 v[9:12], v13, s[4:7], 0 offen
	buffer_load_b128 v[5:8], v13, s[4:7], s18 offen
	;; [unrolled: 1-line block ×3, first 2 shown]
	v_add_f32_e32 v17, v17, v20
	v_and_b32_e32 v47, 0xffff, v19
	v_cvt_f32_u32_e32 v19, v39
	v_fmac_f32_e32 v38, v15, v15
	v_cvt_f32_u32_e32 v20, v42
	v_cvt_f32_u32_e32 v40, v40
	;; [unrolled: 1-line block ×3, first 2 shown]
	v_add_f32_e32 v16, v19, v18
	v_cvt_f32_u32_e32 v18, v41
	v_lshrrev_b32_e32 v19, 16, v28
	v_lshrrev_b32_e32 v28, 16, v31
	s_load_b64 s[4:5], s[0:1], 0x48
	v_fmac_f32_e32 v38, v16, v16
	v_add_f32_e32 v18, v18, v21
	v_cvt_f32_u32_e32 v19, v19
	v_cvt_f32_u32_e32 v21, v43
	;; [unrolled: 1-line block ×3, first 2 shown]
	v_fmac_f32_e32 v38, v17, v17
	s_load_b128 s[0:3], s[0:1], 0x0
	v_add_f32_e32 v19, v20, v19
	v_cvt_f32_u32_e32 v20, v44
	s_delay_alu instid0(VALU_DEP_3) | instskip(SKIP_3) | instid1(VALU_DEP_4)
	v_dual_fmac_f32 v38, v18, v18 :: v_dual_and_b32 v39, 0xffff, v35
	v_lshrrev_b32_e32 v35, 16, v35
	v_and_b32_e32 v41, 0xffff, v37
	v_lshrrev_b32_e32 v37, 16, v37
	v_cvt_f32_u32_e32 v39, v39
	v_dual_fmac_f32 v38, v19, v19 :: v_dual_and_b32 v53, 0xffff, v22
	v_and_b32_e32 v22, 0xffff, v29
	v_cvt_f32_u32_e32 v35, v35
	s_waitcnt lgkmcnt(0)
	s_ashr_i32 s6, s4, 31
	s_mul_hi_u32 s7, s4, s20
	s_mul_i32 s8, s6, s20
	v_cvt_f32_u32_e32 v22, v22
	s_mul_i32 s6, s4, s20
	s_add_i32 s7, s7, s8
	v_cvt_f32_u32_e32 v37, v37
	s_lshl_b64 s[6:7], s[6:7], 1
	v_add_f32_e32 v21, v21, v22
	v_cvt_f32_u32_e32 v22, v45
	s_add_u32 s12, s2, s6
	s_addc_u32 s2, s3, s7
	s_delay_alu instid0(VALU_DEP_2) | instskip(SKIP_3) | instid1(VALU_DEP_1)
	v_dual_fmac_f32 v38, v21, v21 :: v_dual_and_b32 v57, 0xffff, v24
	v_and_b32_e32 v24, 0xffff, v30
	s_and_b32 s13, s2, 0xffff
	s_mov_b32 s2, exec_lo
	v_cvt_f32_u32_e32 v24, v24
	v_and_b32_e32 v55, 0xffff, v23
	v_lshrrev_b32_e32 v23, 16, v29
	v_lshrrev_b32_e32 v29, 16, v32
	s_delay_alu instid0(VALU_DEP_2) | instskip(NEXT) | instid1(VALU_DEP_2)
	v_cvt_f32_u32_e32 v23, v23
	v_cvt_f32_u32_e32 v29, v29
	s_delay_alu instid0(VALU_DEP_2) | instskip(SKIP_1) | instid1(VALU_DEP_2)
	v_dual_add_f32 v23, v20, v23 :: v_dual_add_f32 v20, v22, v24
	v_cvt_f32_u32_e32 v24, v47
	v_dual_fmac_f32 v38, v23, v23 :: v_dual_and_b32 v59, 0xffff, v25
	v_lshrrev_b32_e32 v25, 16, v30
	v_perm_b32 v42, v23, v21, 0x7060302
	s_delay_alu instid0(VALU_DEP_3) | instskip(NEXT) | instid1(VALU_DEP_3)
	v_fmac_f32_e32 v38, v20, v20
	v_cvt_f32_u32_e32 v25, v25
	s_delay_alu instid0(VALU_DEP_1) | instskip(SKIP_2) | instid1(VALU_DEP_3)
	v_dual_add_f32 v22, v26, v25 :: v_dual_and_b32 v27, 0xffff, v31
	v_cvt_f32_u32_e32 v25, v48
	v_cvt_f32_u32_e32 v31, v51
	v_dual_fmac_f32 v38, v22, v22 :: v_dual_and_b32 v51, 31, v0
	s_delay_alu instid0(VALU_DEP_4) | instskip(NEXT) | instid1(VALU_DEP_4)
	v_cvt_f32_u32_e32 v27, v27
	v_add_f32_e32 v25, v25, v28
	v_cvt_f32_u32_e32 v28, v50
	v_and_b32_e32 v26, 0xffff, v32
	v_lshrrev_b32_e32 v32, 16, v33
	v_add_f32_e32 v24, v24, v27
	v_cvt_f32_u32_e32 v27, v49
	v_perm_b32 v43, v22, v20, 0x7060302
	v_cvt_f32_u32_e32 v26, v26
	v_cvt_f32_u32_e32 v32, v32
	s_delay_alu instid0(VALU_DEP_2)
	v_dual_add_f32 v26, v27, v26 :: v_dual_add_f32 v27, v28, v29
	v_cvt_f32_u32_e32 v28, v52
	v_and_b32_e32 v30, 0xffff, v33
	v_and_b32_e32 v33, 0xffff, v34
	v_lshrrev_b32_e32 v34, 16, v34
	v_perm_b32 v45, v27, v26, 0x7060302
	v_perm_b32 v44, v25, v24, 0x7060302
	v_cvt_f32_u32_e32 v30, v30
	v_fmac_f32_e32 v38, v24, v24
	v_cvt_f32_u32_e32 v33, v33
	v_cvt_f32_u32_e32 v34, v34
	s_delay_alu instid0(VALU_DEP_4) | instskip(SKIP_3) | instid1(VALU_DEP_3)
	v_add_f32_e32 v29, v31, v30
	v_cvt_f32_u32_e32 v30, v53
	v_add_f32_e32 v31, v28, v32
	v_cvt_f32_u32_e32 v32, v54
	;; [unrolled: 2-line block ×3, first 2 shown]
	s_delay_alu instid0(VALU_DEP_3)
	v_add_f32_e32 v30, v32, v34
	v_cvt_f32_u32_e32 v34, v56
	v_fmac_f32_e32 v38, v25, v25
	v_perm_b32 v46, v31, v29, 0x7060302
	v_add_f32_e32 v32, v33, v39
	v_cvt_f32_u32_e32 v39, v57
	v_add_f32_e32 v33, v34, v35
	v_fmac_f32_e32 v38, v26, v26
	v_cvt_f32_u32_e32 v35, v58
	s_delay_alu instid0(VALU_DEP_4)
	v_add_f32_e32 v34, v39, v40
	v_cvt_f32_u32_e32 v40, v41
	v_cvt_f32_u32_e32 v41, v60
	v_fmac_f32_e32 v38, v27, v27
	v_add_f32_e32 v35, v35, v36
	v_cvt_f32_u32_e32 v39, v59
	v_perm_b32 v48, v33, v32, 0x7060302
	v_add_f32_e32 v37, v41, v37
	v_fmac_f32_e32 v38, v29, v29
	v_perm_b32 v41, v19, v18, 0x7060302
	v_add_f32_e32 v36, v39, v40
	v_perm_b32 v40, v17, v16, 0x7060302
	v_perm_b32 v49, v35, v34, 0x7060302
	v_fmac_f32_e32 v38, v31, v31
	s_delay_alu instid0(VALU_DEP_4) | instskip(NEXT) | instid1(VALU_DEP_2)
	v_perm_b32 v50, v37, v36, 0x7060302
	v_fmac_f32_e32 v38, v28, v28
	s_delay_alu instid0(VALU_DEP_1) | instskip(NEXT) | instid1(VALU_DEP_1)
	v_fmac_f32_e32 v38, v30, v30
	v_fmac_f32_e32 v38, v32, v32
	s_delay_alu instid0(VALU_DEP_1) | instskip(NEXT) | instid1(VALU_DEP_1)
	v_fmac_f32_e32 v38, v33, v33
	;; [unrolled: 3-line block ×4, first 2 shown]
	v_mov_b32_dpp v39, v38 quad_perm:[1,0,3,2] row_mask:0xf bank_mask:0xf
	s_delay_alu instid0(VALU_DEP_1) | instskip(NEXT) | instid1(VALU_DEP_1)
	v_add_f32_e32 v38, v38, v39
	v_mov_b32_dpp v39, v38 quad_perm:[2,3,0,1] row_mask:0xf bank_mask:0xf
	s_delay_alu instid0(VALU_DEP_1) | instskip(SKIP_1) | instid1(VALU_DEP_2)
	v_add_f32_e32 v38, v38, v39
	v_perm_b32 v39, v14, v15, 0x7060302
	v_mov_b32_dpp v47, v38 row_xmask:7 row_mask:0xf bank_mask:0xf
	buffer_store_b128 v[39:42], v13, s[12:15], 0 offen glc slc
	;;#ASMSTART
	s_nop 0
	;;#ASMEND
	buffer_store_b128 v[43:46], v13, s[12:15], s18 offen glc slc
	;;#ASMSTART
	s_nop 0
	;;#ASMEND
	v_add_f32_e32 v38, v38, v47
	v_perm_b32 v47, v30, v28, 0x7060302
	s_delay_alu instid0(VALU_DEP_2)
	v_mov_b32_dpp v39, v38 row_xmask:15 row_mask:0xf bank_mask:0xf
	buffer_store_b128 v[47:50], v13, s[12:15], s16 offen glc slc
	;;#ASMSTART
	s_nop 0
	;;#ASMEND
	v_cmpx_eq_u32_e32 31, v51
	s_cbranch_execz .LBB130_3
; %bb.2:
	v_add_f32_e32 v38, v38, v39
	s_mov_b32 s3, 0x76543210
	v_lshrrev_b32_e32 v39, 3, v0
	s_delay_alu instid0(VALU_DEP_2) | instskip(NEXT) | instid1(VALU_DEP_1)
	v_permlanex16_b32 v40, v38, s3, 0xfedcba98 op_sel:[1,1]
	v_dual_add_f32 v38, v38, v40 :: v_dual_and_b32 v39, 0x7c, v39
	ds_store_b32 v39, v38
.LBB130_3:
	s_or_b32 exec_lo, exec_lo, s2
	v_and_b32_e32 v0, 7, v0
	s_waitcnt vmcnt(0) lgkmcnt(0)
	s_waitcnt_vscnt null, 0x0
	s_barrier
	buffer_gl0_inv
	v_cvt_f32_i32_e32 v39, s17
	v_lshlrev_b32_e32 v0, 2, v0
	v_lshrrev_b32_e32 v46, 16, v1
	v_lshrrev_b32_e32 v44, 16, v7
	;; [unrolled: 1-line block ×4, first 2 shown]
	ds_load_b32 v0, v0
	v_cvt_f32_u32_e32 v46, v46
	v_lshrrev_b32_e32 v48, 16, v3
	v_lshrrev_b32_e32 v49, 16, v4
	v_cvt_f32_u32_e32 v45, v45
	v_cvt_f32_u32_e32 v47, v47
	;; [unrolled: 1-line block ×5, first 2 shown]
	s_ashr_i32 s3, s5, 31
	s_mul_hi_u32 s4, s5, s20
	s_mul_i32 s3, s3, s20
	s_mul_i32 s2, s5, s20
	s_add_i32 s3, s4, s3
	s_delay_alu instid0(SALU_CYCLE_1) | instskip(NEXT) | instid1(SALU_CYCLE_1)
	s_lshl_b64 s[2:3], s[2:3], 1
	s_add_u32 s12, s0, s2
	s_addc_u32 s0, s1, s3
	s_delay_alu instid0(SALU_CYCLE_1) | instskip(SKIP_2) | instid1(VALU_DEP_1)
	s_and_b32 s13, s0, 0xffff
	s_waitcnt lgkmcnt(0)
	v_mov_b32_dpp v38, v0 quad_perm:[1,0,3,2] row_mask:0xf bank_mask:0xf
	v_add_f32_e32 v0, v0, v38
	s_delay_alu instid0(VALU_DEP_1) | instskip(NEXT) | instid1(VALU_DEP_1)
	v_mov_b32_dpp v38, v0 quad_perm:[2,3,0,1] row_mask:0xf bank_mask:0xf
	v_add_f32_e32 v0, v0, v38
	s_delay_alu instid0(VALU_DEP_1) | instskip(NEXT) | instid1(VALU_DEP_1)
	v_mov_b32_dpp v38, v0 row_xmask:7 row_mask:0xf bank_mask:0xf
	v_add_f32_e32 v0, v0, v38
	s_delay_alu instid0(VALU_DEP_1) | instskip(SKIP_1) | instid1(VALU_DEP_2)
	v_div_scale_f32 v38, null, v39, v39, v0
	v_div_scale_f32 v42, vcc_lo, v0, v39, v0
	v_rcp_f32_e32 v40, v38
	s_waitcnt_depctr 0xfff
	v_fma_f32 v41, -v38, v40, 1.0
	s_delay_alu instid0(VALU_DEP_1) | instskip(NEXT) | instid1(VALU_DEP_1)
	v_fmac_f32_e32 v40, v41, v40
	v_mul_f32_e32 v41, v42, v40
	s_delay_alu instid0(VALU_DEP_1) | instskip(NEXT) | instid1(VALU_DEP_1)
	v_fma_f32 v43, -v38, v41, v42
	v_fmac_f32_e32 v41, v43, v40
	v_lshrrev_b32_e32 v43, 16, v6
	s_delay_alu instid0(VALU_DEP_2) | instskip(SKIP_1) | instid1(VALU_DEP_3)
	v_fma_f32 v38, -v38, v41, v42
	v_lshrrev_b32_e32 v42, 16, v5
	v_cvt_f32_u32_e32 v43, v43
	s_delay_alu instid0(VALU_DEP_3)
	v_div_fmas_f32 v38, v38, v40, v41
	v_lshrrev_b32_e32 v40, 16, v11
	v_and_b32_e32 v11, 0xffff, v11
	v_lshrrev_b32_e32 v41, 16, v12
	v_cvt_f32_u32_e32 v42, v42
	v_div_fixup_f32 v0, v38, v39, v0
	v_cvt_f32_u32_e32 v40, v40
	v_cvt_f32_u32_e32 v11, v11
	;; [unrolled: 1-line block ×3, first 2 shown]
	s_delay_alu instid0(VALU_DEP_4) | instskip(NEXT) | instid1(VALU_DEP_1)
	v_cvt_f64_f32_e32 v[38:39], v0
	v_add_f64 v[38:39], v[38:39], s[10:11]
	s_delay_alu instid0(VALU_DEP_1) | instskip(SKIP_3) | instid1(VALU_DEP_3)
	v_cvt_f32_f64_e32 v0, v[38:39]
	v_lshrrev_b32_e32 v38, 16, v9
	v_and_b32_e32 v9, 0xffff, v9
	v_lshrrev_b32_e32 v39, 16, v10
	v_cvt_f32_u32_e32 v38, v38
	s_delay_alu instid0(VALU_DEP_3) | instskip(NEXT) | instid1(VALU_DEP_3)
	v_cvt_f32_u32_e32 v9, v9
	v_cvt_f32_u32_e32 v39, v39
	v_mul_f32_e32 v50, 0x4b800000, v0
	v_cmp_gt_f32_e32 vcc_lo, 0x800000, v0
	s_delay_alu instid0(VALU_DEP_2) | instskip(NEXT) | instid1(VALU_DEP_1)
	v_dual_cndmask_b32 v0, v0, v50 :: v_dual_and_b32 v5, 0xffff, v5
	v_cvt_f32_u32_e32 v5, v5
	s_delay_alu instid0(VALU_DEP_2) | instskip(SKIP_2) | instid1(VALU_DEP_1)
	v_rsq_f32_e32 v0, v0
	s_waitcnt_depctr 0xfff
	v_mul_f32_e32 v50, 0x45800000, v0
	v_dual_cndmask_b32 v0, v0, v50 :: v_dual_and_b32 v7, 0xffff, v7
	v_and_b32_e32 v6, 0xffff, v6
	v_and_b32_e32 v1, 0xffff, v1
	;; [unrolled: 1-line block ×3, first 2 shown]
	s_delay_alu instid0(VALU_DEP_4)
	v_dual_mul_f32 v23, v23, v0 :: v_dual_and_b32 v10, 0xffff, v10
	v_mul_f32_e32 v18, v18, v0
	v_mul_f32_e32 v20, v20, v0
	v_and_b32_e32 v12, 0xffff, v12
	v_cvt_f32_u32_e32 v7, v7
	v_cvt_f32_u32_e32 v1, v1
	v_mul_f32_e32 v11, v18, v11
	v_mul_f32_e32 v21, v21, v0
	v_cvt_f32_u32_e32 v6, v6
	v_mul_f32_e32 v16, v16, v0
	v_cvt_f32_u32_e32 v3, v3
	v_dual_mul_f32 v31, v31, v0 :: v_dual_mul_f32 v18, v20, v5
	v_mul_f32_e32 v25, v25, v0
	v_mul_f32_e32 v24, v24, v0
	;; [unrolled: 1-line block ×6, first 2 shown]
	v_and_b32_e32 v8, 0xffff, v8
	v_dual_mul_f32 v19, v19, v0 :: v_dual_and_b32 v2, 0xffff, v2
	v_cvt_f32_u32_e32 v10, v10
	v_mul_f32_e32 v15, v15, v0
	v_mul_f32_e32 v29, v29, v0
	v_dual_mul_f32 v27, v27, v0 :: v_dual_mul_f32 v20, v25, v43
	v_mul_f32_e32 v22, v22, v0
	v_dual_mul_f32 v5, v24, v6 :: v_dual_and_b32 v4, 0xffff, v4
	v_mul_f32_e32 v6, v26, v7
	v_mul_f32_e32 v26, v34, v3
	v_dual_mul_f32 v14, v14, v0 :: v_dual_mul_f32 v25, v33, v47
	v_mul_f32_e32 v17, v17, v0
	v_cvt_f32_u32_e32 v12, v12
	v_cvt_f32_u32_e32 v2, v2
	s_delay_alu instid0(VALU_DEP_4)
	v_mul_f32_e32 v14, v14, v38
	v_mul_f32_e32 v36, v36, v0
	;; [unrolled: 1-line block ×7, first 2 shown]
	v_dual_mul_f32 v24, v32, v2 :: v_dual_mul_f32 v9, v15, v9
	v_dual_mul_f32 v15, v17, v39 :: v_dual_mul_f32 v16, v19, v40
	v_mul_f32_e32 v17, v23, v41
	v_cvt_f32_u32_e32 v8, v8
	v_mul_f32_e32 v19, v22, v42
	v_cvt_f32_u32_e32 v4, v4
	v_mul_f32_e32 v12, v21, v12
	v_mul_f32_e32 v21, v27, v44
	v_dual_mul_f32 v7, v29, v8 :: v_dual_mul_f32 v8, v31, v45
	v_dual_mul_f32 v22, v0, v1 :: v_dual_mul_f32 v23, v30, v46
	v_mul_f32_e32 v27, v35, v48
	v_dual_mul_f32 v28, v36, v4 :: v_dual_mul_f32 v29, v37, v49
	v_perm_b32 v3, v17, v12, 0x7060302
	v_perm_b32 v2, v16, v11, 0x7060302
	;; [unrolled: 1-line block ×12, first 2 shown]
	buffer_store_b128 v[0:3], v13, s[12:15], 0 offen
	;;#ASMSTART
	s_nop 0
	;;#ASMEND
	buffer_store_b128 v[4:7], v13, s[12:15], s18 offen
	;;#ASMSTART
	s_nop 0
	;;#ASMEND
	;; [unrolled: 4-line block ×3, first 2 shown]
.LBB130_4:
	s_nop 0
	s_sendmsg sendmsg(MSG_DEALLOC_VGPRS)
	s_endpgm
	.section	.rodata,"a",@progbits
	.p2align	6, 0x0
	.amdhsa_kernel _ZN5aiter24add_rmsnorm_quant_kernelIttLi256ELi24ELb1ELb0ELb1ELi1EEEvPT0_PT_PfS4_S4_S4_diiiiiiib
		.amdhsa_group_segment_fixed_size 32
		.amdhsa_private_segment_fixed_size 0
		.amdhsa_kernarg_size 88
		.amdhsa_user_sgpr_count 15
		.amdhsa_user_sgpr_dispatch_ptr 0
		.amdhsa_user_sgpr_queue_ptr 0
		.amdhsa_user_sgpr_kernarg_segment_ptr 1
		.amdhsa_user_sgpr_dispatch_id 0
		.amdhsa_user_sgpr_private_segment_size 0
		.amdhsa_wavefront_size32 1
		.amdhsa_uses_dynamic_stack 0
		.amdhsa_enable_private_segment 0
		.amdhsa_system_sgpr_workgroup_id_x 1
		.amdhsa_system_sgpr_workgroup_id_y 0
		.amdhsa_system_sgpr_workgroup_id_z 0
		.amdhsa_system_sgpr_workgroup_info 0
		.amdhsa_system_vgpr_workitem_id 0
		.amdhsa_next_free_vgpr 61
		.amdhsa_next_free_sgpr 22
		.amdhsa_reserve_vcc 1
		.amdhsa_float_round_mode_32 0
		.amdhsa_float_round_mode_16_64 0
		.amdhsa_float_denorm_mode_32 3
		.amdhsa_float_denorm_mode_16_64 3
		.amdhsa_dx10_clamp 1
		.amdhsa_ieee_mode 1
		.amdhsa_fp16_overflow 0
		.amdhsa_workgroup_processor_mode 1
		.amdhsa_memory_ordered 1
		.amdhsa_forward_progress 0
		.amdhsa_shared_vgpr_count 0
		.amdhsa_exception_fp_ieee_invalid_op 0
		.amdhsa_exception_fp_denorm_src 0
		.amdhsa_exception_fp_ieee_div_zero 0
		.amdhsa_exception_fp_ieee_overflow 0
		.amdhsa_exception_fp_ieee_underflow 0
		.amdhsa_exception_fp_ieee_inexact 0
		.amdhsa_exception_int_div_zero 0
	.end_amdhsa_kernel
	.section	.text._ZN5aiter24add_rmsnorm_quant_kernelIttLi256ELi24ELb1ELb0ELb1ELi1EEEvPT0_PT_PfS4_S4_S4_diiiiiiib,"axG",@progbits,_ZN5aiter24add_rmsnorm_quant_kernelIttLi256ELi24ELb1ELb0ELb1ELi1EEEvPT0_PT_PfS4_S4_S4_diiiiiiib,comdat
.Lfunc_end130:
	.size	_ZN5aiter24add_rmsnorm_quant_kernelIttLi256ELi24ELb1ELb0ELb1ELi1EEEvPT0_PT_PfS4_S4_S4_diiiiiiib, .Lfunc_end130-_ZN5aiter24add_rmsnorm_quant_kernelIttLi256ELi24ELb1ELb0ELb1ELi1EEEvPT0_PT_PfS4_S4_S4_diiiiiiib
                                        ; -- End function
	.section	.AMDGPU.csdata,"",@progbits
; Kernel info:
; codeLenInByte = 2472
; NumSgprs: 24
; NumVgprs: 61
; ScratchSize: 0
; MemoryBound: 0
; FloatMode: 240
; IeeeMode: 1
; LDSByteSize: 32 bytes/workgroup (compile time only)
; SGPRBlocks: 2
; VGPRBlocks: 7
; NumSGPRsForWavesPerEU: 24
; NumVGPRsForWavesPerEU: 61
; Occupancy: 16
; WaveLimiterHint : 0
; COMPUTE_PGM_RSRC2:SCRATCH_EN: 0
; COMPUTE_PGM_RSRC2:USER_SGPR: 15
; COMPUTE_PGM_RSRC2:TRAP_HANDLER: 0
; COMPUTE_PGM_RSRC2:TGID_X_EN: 1
; COMPUTE_PGM_RSRC2:TGID_Y_EN: 0
; COMPUTE_PGM_RSRC2:TGID_Z_EN: 0
; COMPUTE_PGM_RSRC2:TIDIG_COMP_CNT: 0
	.section	.text._ZN5aiter24add_rmsnorm_quant_kernelIDF16_DF16_Li256ELi24ELb1ELb0ELb0ELi1EEEvPT0_PT_PfS4_S4_S4_diiiiiiib,"axG",@progbits,_ZN5aiter24add_rmsnorm_quant_kernelIDF16_DF16_Li256ELi24ELb1ELb0ELb0ELi1EEEvPT0_PT_PfS4_S4_S4_diiiiiiib,comdat
	.protected	_ZN5aiter24add_rmsnorm_quant_kernelIDF16_DF16_Li256ELi24ELb1ELb0ELb0ELi1EEEvPT0_PT_PfS4_S4_S4_diiiiiiib ; -- Begin function _ZN5aiter24add_rmsnorm_quant_kernelIDF16_DF16_Li256ELi24ELb1ELb0ELb0ELi1EEEvPT0_PT_PfS4_S4_S4_diiiiiiib
	.globl	_ZN5aiter24add_rmsnorm_quant_kernelIDF16_DF16_Li256ELi24ELb1ELb0ELb0ELi1EEEvPT0_PT_PfS4_S4_S4_diiiiiiib
	.p2align	8
	.type	_ZN5aiter24add_rmsnorm_quant_kernelIDF16_DF16_Li256ELi24ELb1ELb0ELb0ELi1EEEvPT0_PT_PfS4_S4_S4_diiiiiiib,@function
_ZN5aiter24add_rmsnorm_quant_kernelIDF16_DF16_Li256ELi24ELb1ELb0ELb0ELi1EEEvPT0_PT_PfS4_S4_S4_diiiiiiib: ; @_ZN5aiter24add_rmsnorm_quant_kernelIDF16_DF16_Li256ELi24ELb1ELb0ELb0ELi1EEEvPT0_PT_PfS4_S4_S4_diiiiiiib
; %bb.0:
	s_load_b128 s[16:19], s[0:1], 0x38
	s_mov_b32 s20, s15
	s_mov_b32 s21, 0
	s_waitcnt lgkmcnt(0)
	s_ashr_i32 s3, s16, 31
	s_mov_b32 s2, s16
	s_delay_alu instid0(SALU_CYCLE_1) | instskip(NEXT) | instid1(VALU_DEP_1)
	v_cmp_ge_i64_e64 s2, s[20:21], s[2:3]
	s_and_b32 vcc_lo, exec_lo, s2
	s_cbranch_vccnz .LBB131_4
; %bb.1:
	s_load_b256 s[4:11], s[0:1], 0x18
	s_ashr_i32 s3, s18, 31
	s_mul_hi_u32 s12, s18, s20
	s_mul_i32 s3, s3, s20
	s_mul_i32 s2, s18, s20
	s_add_i32 s3, s12, s3
	s_mul_hi_u32 s14, s19, s20
	s_lshl_b64 s[2:3], s[2:3], 1
	v_mul_u32_u24_e32 v13, 48, v0
	s_mul_i32 s18, s19, s20
	s_mov_b32 s15, -1
	s_waitcnt lgkmcnt(0)
	s_add_u32 s12, s4, s2
	s_addc_u32 s2, s5, s3
	s_add_i32 s3, s17, 1
	s_and_b32 s5, s9, 0xffff
	s_ashr_i32 s4, s19, 31
	s_lshr_b32 s9, s3, 31
	s_mul_i32 s4, s4, s20
	s_add_i32 s3, s3, s9
	s_and_b32 s13, s2, 0xffff
	s_lshl_b32 s2, s3, 1
	s_add_i32 s19, s14, s4
	s_and_b32 s14, s2, -4
	s_lshl_b64 s[2:3], s[18:19], 1
	s_clause 0x2
	buffer_load_b128 v[14:17], v13, s[12:15], 0 offen
	buffer_load_b128 v[23:26], v13, s[12:15], 16 offen
	;; [unrolled: 1-line block ×3, first 2 shown]
	s_add_u32 s12, s6, s2
	s_addc_u32 s2, s7, s3
	s_mov_b32 s7, s15
	s_and_b32 s13, s2, 0xffff
	s_clause 0x2
	buffer_load_b128 v[18:21], v13, s[12:15], 0 offen
	buffer_load_b128 v[27:30], v13, s[12:15], 16 offen
	;; [unrolled: 1-line block ×3, first 2 shown]
	s_mov_b32 s4, s8
	s_mov_b32 s6, s14
	s_clause 0x2
	buffer_load_b128 v[9:12], v13, s[4:7], 0 offen
	buffer_load_b128 v[5:8], v13, s[4:7], 16 offen
	;; [unrolled: 1-line block ×3, first 2 shown]
	s_clause 0x1
	s_load_b64 s[4:5], s[0:1], 0x48
	s_load_b128 s[0:3], s[0:1], 0x0
	s_waitcnt lgkmcnt(0)
	s_ashr_i32 s6, s4, 31
	s_mul_hi_u32 s7, s4, s20
	s_mul_i32 s8, s6, s20
	s_mul_i32 s6, s4, s20
	s_add_i32 s7, s7, s8
	s_delay_alu instid0(SALU_CYCLE_1) | instskip(NEXT) | instid1(SALU_CYCLE_1)
	s_lshl_b64 s[6:7], s[6:7], 1
	s_add_u32 s12, s2, s6
	s_addc_u32 s2, s3, s7
	s_delay_alu instid0(SALU_CYCLE_1)
	s_and_b32 s13, s2, 0xffff
	s_mov_b32 s2, exec_lo
	s_waitcnt vmcnt(8)
	v_lshrrev_b32_e32 v22, 16, v14
	v_cvt_f32_f16_e32 v40, v14
	v_lshrrev_b32_e32 v41, 16, v15
	v_lshrrev_b32_e32 v42, 16, v16
	v_cvt_f32_f16_e32 v43, v16
	v_cvt_f32_f16_e32 v14, v22
	s_waitcnt vmcnt(5)
	v_lshrrev_b32_e32 v39, 16, v18
	v_lshrrev_b32_e32 v16, 16, v19
	v_lshrrev_b32_e32 v44, 16, v21
	v_cvt_f32_f16_e32 v21, v21
	s_delay_alu instid0(VALU_DEP_4) | instskip(SKIP_3) | instid1(VALU_DEP_4)
	v_cvt_f32_f16_e32 v22, v39
	v_cvt_f32_f16_e32 v39, v15
	;; [unrolled: 1-line block ×4, first 2 shown]
	v_dual_add_f32 v14, v14, v22 :: v_dual_and_b32 v51, 31, v0
	v_lshrrev_b32_e32 v22, 16, v17
	v_cvt_f32_f16_e32 v19, v17
	v_cvt_f32_f16_e32 v17, v41
	;; [unrolled: 1-line block ×3, first 2 shown]
	v_add_f32_e32 v16, v39, v18
	v_lshrrev_b32_e32 v18, 16, v20
	v_cvt_f32_f16_e32 v20, v20
	v_lshrrev_b32_e32 v39, 16, v23
	v_add_f32_e32 v17, v17, v41
	v_cvt_f32_f16_e32 v41, v42
	v_cvt_f32_f16_e32 v42, v18
	;; [unrolled: 1-line block ×3, first 2 shown]
	v_add_f32_e32 v18, v43, v20
	v_lshrrev_b32_e32 v43, 16, v24
	v_dual_add_f32 v15, v40, v15 :: v_dual_mul_f32 v40, v14, v14
	v_add_f32_e32 v20, v41, v42
	v_cvt_f32_f16_e32 v41, v24
	v_cvt_f32_f16_e32 v24, v22
	v_add_f32_e32 v22, v19, v21
	s_waitcnt vmcnt(4)
	v_lshrrev_b32_e32 v19, 16, v27
	v_cvt_f32_f16_e32 v21, v27
	v_cvt_f32_f16_e32 v42, v44
	v_lshrrev_b32_e32 v44, 16, v25
	v_cvt_f32_f16_e32 v27, v25
	v_cvt_f32_f16_e32 v25, v39
	;; [unrolled: 1-line block ×3, first 2 shown]
	v_add_f32_e32 v19, v23, v21
	v_lshrrev_b32_e32 v23, 16, v28
	v_cvt_f32_f16_e32 v28, v28
	v_fmac_f32_e32 v40, v15, v15
	v_add_f32_e32 v24, v24, v42
	v_lshrrev_b32_e32 v42, 16, v26
	v_add_f32_e32 v21, v25, v39
	v_cvt_f32_f16_e32 v39, v26
	v_cvt_f32_f16_e32 v25, v43
	;; [unrolled: 1-line block ×3, first 2 shown]
	v_add_f32_e32 v23, v41, v28
	v_lshrrev_b32_e32 v28, 16, v29
	v_cvt_f32_f16_e32 v29, v29
	s_delay_alu instid0(VALU_DEP_4) | instskip(SKIP_1) | instid1(VALU_DEP_4)
	v_dual_fmac_f32 v40, v16, v16 :: v_dual_add_f32 v25, v25, v26
	v_cvt_f32_f16_e32 v43, v44
	v_cvt_f32_f16_e32 v28, v28
	s_delay_alu instid0(VALU_DEP_4)
	v_add_f32_e32 v26, v27, v29
	v_lshrrev_b32_e32 v27, 16, v30
	v_cvt_f32_f16_e32 v29, v30
	v_lshrrev_b32_e32 v41, 16, v31
	v_cvt_f32_f16_e32 v31, v31
	v_lshrrev_b32_e32 v44, 16, v32
	v_add_f32_e32 v28, v43, v28
	v_cvt_f32_f16_e32 v43, v32
	v_cvt_f32_f16_e32 v32, v42
	;; [unrolled: 1-line block ×3, first 2 shown]
	v_add_f32_e32 v30, v39, v29
	s_waitcnt vmcnt(3)
	v_lshrrev_b32_e32 v29, 16, v35
	v_cvt_f32_f16_e32 v35, v35
	v_fmac_f32_e32 v40, v17, v17
	v_lshrrev_b32_e32 v39, 16, v33
	v_add_f32_e32 v32, v32, v27
	v_cvt_f32_f16_e32 v42, v33
	v_add_f32_e32 v27, v31, v35
	v_cvt_f32_f16_e32 v33, v41
	v_cvt_f32_f16_e32 v29, v29
	v_lshrrev_b32_e32 v31, 16, v36
	v_cvt_f32_f16_e32 v36, v36
	v_fmac_f32_e32 v40, v18, v18
	v_lshrrev_b32_e32 v35, 16, v34
	v_add_f32_e32 v29, v33, v29
	v_cvt_f32_f16_e32 v41, v34
	v_cvt_f32_f16_e32 v33, v44
	;; [unrolled: 1-line block ×3, first 2 shown]
	v_add_f32_e32 v31, v43, v36
	v_cvt_f32_f16_e32 v36, v39
	v_lshrrev_b32_e32 v39, 16, v37
	v_cvt_f32_f16_e32 v37, v37
	v_add_f32_e32 v33, v33, v34
	v_cvt_f32_f16_e32 v43, v35
	v_lshrrev_b32_e32 v35, 16, v38
	v_cvt_f32_f16_e32 v39, v39
	v_add_f32_e32 v34, v42, v37
	v_cvt_f32_f16_e32 v37, v38
	v_fmac_f32_e32 v40, v20, v20
	v_cvt_f32_f16_e32 v38, v35
	v_add_f32_e32 v36, v36, v39
	v_cvt_f16_f32_e32 v55, v20
	s_delay_alu instid0(VALU_DEP_4) | instskip(NEXT) | instid1(VALU_DEP_4)
	v_dual_add_f32 v35, v41, v37 :: v_dual_fmac_f32 v40, v22, v22
	v_add_f32_e32 v37, v43, v38
	v_cvt_f16_f32_e32 v41, v18
	v_cvt_f16_f32_e32 v38, v15
	;; [unrolled: 1-line block ×3, first 2 shown]
	v_fmac_f32_e32 v40, v24, v24
	v_cvt_f16_f32_e32 v52, v14
	v_cvt_f16_f32_e32 v53, v17
	v_pack_b32_f16 v41, v41, v55
	v_cvt_f16_f32_e32 v42, v22
	v_fmac_f32_e32 v40, v19, v19
	v_cvt_f16_f32_e32 v56, v24
	v_cvt_f16_f32_e32 v43, v19
	v_cvt_f16_f32_e32 v44, v23
	v_cvt_f16_f32_e32 v46, v30
	v_fmac_f32_e32 v40, v21, v21
	v_cvt_f16_f32_e32 v47, v27
	v_cvt_f16_f32_e32 v48, v31
	v_cvt_f16_f32_e32 v49, v34
	;; [unrolled: 5-line block ×4, first 2 shown]
	v_pack_b32_f16 v42, v42, v56
	v_fmac_f32_e32 v40, v26, v26
	v_pack_b32_f16 v46, v46, v59
	v_pack_b32_f16 v44, v44, v58
	;; [unrolled: 1-line block ×4, first 2 shown]
	v_fmac_f32_e32 v40, v28, v28
	v_pack_b32_f16 v49, v49, v63
	v_pack_b32_f16 v48, v48, v61
	;; [unrolled: 1-line block ×3, first 2 shown]
	s_delay_alu instid0(VALU_DEP_4) | instskip(NEXT) | instid1(VALU_DEP_1)
	v_fmac_f32_e32 v40, v30, v30
	v_fmac_f32_e32 v40, v32, v32
	s_delay_alu instid0(VALU_DEP_1) | instskip(NEXT) | instid1(VALU_DEP_1)
	v_fmac_f32_e32 v40, v27, v27
	v_fmac_f32_e32 v40, v29, v29
	s_delay_alu instid0(VALU_DEP_1) | instskip(NEXT) | instid1(VALU_DEP_1)
	v_fmac_f32_e32 v40, v31, v31
	v_fmac_f32_e32 v40, v33, v33
	s_delay_alu instid0(VALU_DEP_1) | instskip(NEXT) | instid1(VALU_DEP_1)
	v_fmac_f32_e32 v40, v34, v34
	v_fmac_f32_e32 v40, v36, v36
	s_delay_alu instid0(VALU_DEP_1) | instskip(NEXT) | instid1(VALU_DEP_1)
	v_fmac_f32_e32 v40, v35, v35
	v_fmac_f32_e32 v40, v37, v37
	s_delay_alu instid0(VALU_DEP_1) | instskip(NEXT) | instid1(VALU_DEP_1)
	v_mov_b32_dpp v54, v40 quad_perm:[1,0,3,2] row_mask:0xf bank_mask:0xf
	v_add_f32_e32 v40, v40, v54
	v_cvt_f16_f32_e32 v54, v28
	s_delay_alu instid0(VALU_DEP_2) | instskip(NEXT) | instid1(VALU_DEP_1)
	v_mov_b32_dpp v62, v40 quad_perm:[2,3,0,1] row_mask:0xf bank_mask:0xf
	v_add_f32_e32 v55, v40, v62
	v_pack_b32_f16 v40, v39, v53
	v_pack_b32_f16 v39, v38, v52
	v_cvt_f16_f32_e32 v45, v26
	s_delay_alu instid0(VALU_DEP_4)
	v_mov_b32_dpp v38, v55 row_xmask:7 row_mask:0xf bank_mask:0xf
	buffer_store_b128 v[39:42], v13, s[12:15], 0 offen
	v_pack_b32_f16 v45, v45, v54
	;;#ASMSTART
	s_nop 0
	;;#ASMEND
	v_add_f32_e32 v38, v55, v38
	buffer_store_b128 v[43:46], v13, s[12:15], 16 offen
	;;#ASMSTART
	s_nop 0
	;;#ASMEND
	v_mov_b32_dpp v39, v38 row_xmask:15 row_mask:0xf bank_mask:0xf
	buffer_store_b128 v[47:50], v13, s[12:15], 32 offen
	;;#ASMSTART
	s_nop 0
	;;#ASMEND
	v_cmpx_eq_u32_e32 31, v51
	s_cbranch_execz .LBB131_3
; %bb.2:
	v_add_f32_e32 v38, v38, v39
	s_mov_b32 s3, 0x76543210
	v_lshrrev_b32_e32 v39, 3, v0
	s_delay_alu instid0(VALU_DEP_2) | instskip(NEXT) | instid1(VALU_DEP_1)
	v_permlanex16_b32 v40, v38, s3, 0xfedcba98 op_sel:[1,1]
	v_dual_add_f32 v38, v38, v40 :: v_dual_and_b32 v39, 0x7c, v39
	ds_store_b32 v39, v38
.LBB131_3:
	s_or_b32 exec_lo, exec_lo, s2
	v_and_b32_e32 v0, 7, v0
	s_waitcnt vmcnt(0) lgkmcnt(0)
	s_waitcnt_vscnt null, 0x0
	s_barrier
	buffer_gl0_inv
	v_cvt_f32_i32_e32 v39, s17
	v_lshlrev_b32_e32 v0, 2, v0
	s_ashr_i32 s2, s5, 31
	s_mul_hi_u32 s3, s5, s20
	s_mul_i32 s4, s2, s20
	s_mul_i32 s2, s5, s20
	ds_load_b32 v0, v0
	s_add_i32 s3, s3, s4
	s_delay_alu instid0(SALU_CYCLE_1) | instskip(NEXT) | instid1(SALU_CYCLE_1)
	s_lshl_b64 s[2:3], s[2:3], 1
	s_add_u32 s12, s0, s2
	s_addc_u32 s0, s1, s3
	s_delay_alu instid0(SALU_CYCLE_1) | instskip(SKIP_2) | instid1(VALU_DEP_1)
	s_and_b32 s13, s0, 0xffff
	s_waitcnt lgkmcnt(0)
	v_mov_b32_dpp v38, v0 quad_perm:[1,0,3,2] row_mask:0xf bank_mask:0xf
	v_add_f32_e32 v0, v0, v38
	s_delay_alu instid0(VALU_DEP_1) | instskip(NEXT) | instid1(VALU_DEP_1)
	v_mov_b32_dpp v38, v0 quad_perm:[2,3,0,1] row_mask:0xf bank_mask:0xf
	v_add_f32_e32 v0, v0, v38
	s_delay_alu instid0(VALU_DEP_1) | instskip(NEXT) | instid1(VALU_DEP_1)
	v_mov_b32_dpp v38, v0 row_xmask:7 row_mask:0xf bank_mask:0xf
	v_add_f32_e32 v0, v0, v38
	s_delay_alu instid0(VALU_DEP_1) | instskip(SKIP_1) | instid1(VALU_DEP_2)
	v_div_scale_f32 v38, null, v39, v39, v0
	v_div_scale_f32 v42, vcc_lo, v0, v39, v0
	v_rcp_f32_e32 v40, v38
	s_waitcnt_depctr 0xfff
	v_fma_f32 v41, -v38, v40, 1.0
	s_delay_alu instid0(VALU_DEP_1) | instskip(NEXT) | instid1(VALU_DEP_1)
	v_fmac_f32_e32 v40, v41, v40
	v_mul_f32_e32 v41, v42, v40
	s_delay_alu instid0(VALU_DEP_1) | instskip(NEXT) | instid1(VALU_DEP_1)
	v_fma_f32 v43, -v38, v41, v42
	v_fmac_f32_e32 v41, v43, v40
	s_delay_alu instid0(VALU_DEP_1) | instskip(NEXT) | instid1(VALU_DEP_1)
	v_fma_f32 v38, -v38, v41, v42
	v_div_fmas_f32 v38, v38, v40, v41
	s_delay_alu instid0(VALU_DEP_1) | instskip(NEXT) | instid1(VALU_DEP_1)
	v_div_fixup_f32 v0, v38, v39, v0
	v_cvt_f64_f32_e32 v[38:39], v0
	s_delay_alu instid0(VALU_DEP_1) | instskip(NEXT) | instid1(VALU_DEP_1)
	v_add_f64 v[38:39], v[38:39], s[10:11]
	v_cvt_f32_f64_e32 v0, v[38:39]
	s_delay_alu instid0(VALU_DEP_1) | instskip(SKIP_1) | instid1(VALU_DEP_2)
	v_mul_f32_e32 v38, 0x4b800000, v0
	v_cmp_gt_f32_e32 vcc_lo, 0x800000, v0
	v_cndmask_b32_e32 v0, v0, v38, vcc_lo
	s_delay_alu instid0(VALU_DEP_1) | instskip(SKIP_2) | instid1(VALU_DEP_1)
	v_rsq_f32_e32 v0, v0
	s_waitcnt_depctr 0xfff
	v_mul_f32_e32 v38, 0x45800000, v0
	v_cndmask_b32_e32 v0, v0, v38, vcc_lo
	s_delay_alu instid0(VALU_DEP_1)
	v_mul_f32_e32 v38, v14, v0
	v_mul_f32_e32 v14, v15, v0
	;; [unrolled: 1-line block ×24, first 2 shown]
	v_fma_mixlo_f16 v14, v14, v9, 0 op_sel_hi:[0,1,0]
	v_fma_mixlo_f16 v15, v15, v10, 0 op_sel_hi:[0,1,0]
	;; [unrolled: 1-line block ×12, first 2 shown]
	v_fma_mixhi_f16 v17, v41, v12, 0 op_sel:[0,1,0] op_sel_hi:[0,1,0]
	v_fma_mixhi_f16 v16, v40, v11, 0 op_sel:[0,1,0] op_sel_hi:[0,1,0]
	;; [unrolled: 1-line block ×12, first 2 shown]
	buffer_store_b128 v[14:17], v13, s[12:15], 0 offen
	;;#ASMSTART
	s_nop 0
	;;#ASMEND
	buffer_store_b128 v[18:21], v13, s[12:15], 16 offen
	;;#ASMSTART
	s_nop 0
	;;#ASMEND
	;; [unrolled: 4-line block ×3, first 2 shown]
.LBB131_4:
	s_nop 0
	s_sendmsg sendmsg(MSG_DEALLOC_VGPRS)
	s_endpgm
	.section	.rodata,"a",@progbits
	.p2align	6, 0x0
	.amdhsa_kernel _ZN5aiter24add_rmsnorm_quant_kernelIDF16_DF16_Li256ELi24ELb1ELb0ELb0ELi1EEEvPT0_PT_PfS4_S4_S4_diiiiiiib
		.amdhsa_group_segment_fixed_size 32
		.amdhsa_private_segment_fixed_size 0
		.amdhsa_kernarg_size 88
		.amdhsa_user_sgpr_count 15
		.amdhsa_user_sgpr_dispatch_ptr 0
		.amdhsa_user_sgpr_queue_ptr 0
		.amdhsa_user_sgpr_kernarg_segment_ptr 1
		.amdhsa_user_sgpr_dispatch_id 0
		.amdhsa_user_sgpr_private_segment_size 0
		.amdhsa_wavefront_size32 1
		.amdhsa_uses_dynamic_stack 0
		.amdhsa_enable_private_segment 0
		.amdhsa_system_sgpr_workgroup_id_x 1
		.amdhsa_system_sgpr_workgroup_id_y 0
		.amdhsa_system_sgpr_workgroup_id_z 0
		.amdhsa_system_sgpr_workgroup_info 0
		.amdhsa_system_vgpr_workitem_id 0
		.amdhsa_next_free_vgpr 65
		.amdhsa_next_free_sgpr 22
		.amdhsa_reserve_vcc 1
		.amdhsa_float_round_mode_32 0
		.amdhsa_float_round_mode_16_64 0
		.amdhsa_float_denorm_mode_32 3
		.amdhsa_float_denorm_mode_16_64 3
		.amdhsa_dx10_clamp 1
		.amdhsa_ieee_mode 1
		.amdhsa_fp16_overflow 0
		.amdhsa_workgroup_processor_mode 1
		.amdhsa_memory_ordered 1
		.amdhsa_forward_progress 0
		.amdhsa_shared_vgpr_count 0
		.amdhsa_exception_fp_ieee_invalid_op 0
		.amdhsa_exception_fp_denorm_src 0
		.amdhsa_exception_fp_ieee_div_zero 0
		.amdhsa_exception_fp_ieee_overflow 0
		.amdhsa_exception_fp_ieee_underflow 0
		.amdhsa_exception_fp_ieee_inexact 0
		.amdhsa_exception_int_div_zero 0
	.end_amdhsa_kernel
	.section	.text._ZN5aiter24add_rmsnorm_quant_kernelIDF16_DF16_Li256ELi24ELb1ELb0ELb0ELi1EEEvPT0_PT_PfS4_S4_S4_diiiiiiib,"axG",@progbits,_ZN5aiter24add_rmsnorm_quant_kernelIDF16_DF16_Li256ELi24ELb1ELb0ELb0ELi1EEEvPT0_PT_PfS4_S4_S4_diiiiiiib,comdat
.Lfunc_end131:
	.size	_ZN5aiter24add_rmsnorm_quant_kernelIDF16_DF16_Li256ELi24ELb1ELb0ELb0ELi1EEEvPT0_PT_PfS4_S4_S4_diiiiiiib, .Lfunc_end131-_ZN5aiter24add_rmsnorm_quant_kernelIDF16_DF16_Li256ELi24ELb1ELb0ELb0ELi1EEEvPT0_PT_PfS4_S4_S4_diiiiiiib
                                        ; -- End function
	.section	.AMDGPU.csdata,"",@progbits
; Kernel info:
; codeLenInByte = 1968
; NumSgprs: 24
; NumVgprs: 65
; ScratchSize: 0
; MemoryBound: 0
; FloatMode: 240
; IeeeMode: 1
; LDSByteSize: 32 bytes/workgroup (compile time only)
; SGPRBlocks: 2
; VGPRBlocks: 8
; NumSGPRsForWavesPerEU: 24
; NumVGPRsForWavesPerEU: 65
; Occupancy: 16
; WaveLimiterHint : 0
; COMPUTE_PGM_RSRC2:SCRATCH_EN: 0
; COMPUTE_PGM_RSRC2:USER_SGPR: 15
; COMPUTE_PGM_RSRC2:TRAP_HANDLER: 0
; COMPUTE_PGM_RSRC2:TGID_X_EN: 1
; COMPUTE_PGM_RSRC2:TGID_Y_EN: 0
; COMPUTE_PGM_RSRC2:TGID_Z_EN: 0
; COMPUTE_PGM_RSRC2:TIDIG_COMP_CNT: 0
	.section	.text._ZN5aiter24add_rmsnorm_quant_kernelIttLi256ELi24ELb1ELb0ELb0ELi1EEEvPT0_PT_PfS4_S4_S4_diiiiiiib,"axG",@progbits,_ZN5aiter24add_rmsnorm_quant_kernelIttLi256ELi24ELb1ELb0ELb0ELi1EEEvPT0_PT_PfS4_S4_S4_diiiiiiib,comdat
	.protected	_ZN5aiter24add_rmsnorm_quant_kernelIttLi256ELi24ELb1ELb0ELb0ELi1EEEvPT0_PT_PfS4_S4_S4_diiiiiiib ; -- Begin function _ZN5aiter24add_rmsnorm_quant_kernelIttLi256ELi24ELb1ELb0ELb0ELi1EEEvPT0_PT_PfS4_S4_S4_diiiiiiib
	.globl	_ZN5aiter24add_rmsnorm_quant_kernelIttLi256ELi24ELb1ELb0ELb0ELi1EEEvPT0_PT_PfS4_S4_S4_diiiiiiib
	.p2align	8
	.type	_ZN5aiter24add_rmsnorm_quant_kernelIttLi256ELi24ELb1ELb0ELb0ELi1EEEvPT0_PT_PfS4_S4_S4_diiiiiiib,@function
_ZN5aiter24add_rmsnorm_quant_kernelIttLi256ELi24ELb1ELb0ELb0ELi1EEEvPT0_PT_PfS4_S4_S4_diiiiiiib: ; @_ZN5aiter24add_rmsnorm_quant_kernelIttLi256ELi24ELb1ELb0ELb0ELi1EEEvPT0_PT_PfS4_S4_S4_diiiiiiib
; %bb.0:
	s_load_b128 s[16:19], s[0:1], 0x38
	s_mov_b32 s20, s15
	s_mov_b32 s21, 0
	s_waitcnt lgkmcnt(0)
	s_ashr_i32 s3, s16, 31
	s_mov_b32 s2, s16
	s_delay_alu instid0(SALU_CYCLE_1) | instskip(NEXT) | instid1(VALU_DEP_1)
	v_cmp_ge_i64_e64 s2, s[20:21], s[2:3]
	s_and_b32 vcc_lo, exec_lo, s2
	s_cbranch_vccnz .LBB132_4
; %bb.1:
	s_load_b256 s[4:11], s[0:1], 0x18
	s_ashr_i32 s2, s18, 31
	s_mul_hi_u32 s3, s18, s20
	s_mul_i32 s12, s2, s20
	s_mul_i32 s2, s18, s20
	s_add_i32 s3, s3, s12
	v_mul_u32_u24_e32 v13, 48, v0
	s_lshl_b64 s[2:3], s[2:3], 1
	s_mov_b32 s15, -1
	s_waitcnt lgkmcnt(0)
	s_add_u32 s12, s4, s2
	s_addc_u32 s2, s5, s3
	s_add_i32 s3, s17, 1
	s_and_b32 s13, s2, 0xffff
	s_lshr_b32 s4, s3, 31
	s_ashr_i32 s2, s19, 31
	s_add_i32 s3, s3, s4
	s_mul_i32 s4, s2, s20
	s_lshl_b32 s3, s3, 1
	s_mul_i32 s2, s19, s20
	s_and_b32 s14, s3, -4
	s_mul_hi_u32 s3, s19, s20
	s_and_b32 s5, s9, 0xffff
	s_add_i32 s3, s3, s4
	s_clause 0x1
	buffer_load_b128 v[14:17], v13, s[12:15], 0 offen
	buffer_load_b128 v[18:21], v13, s[12:15], 16 offen
	s_lshl_b64 s[2:3], s[2:3], 1
	buffer_load_b128 v[22:25], v13, s[12:15], 32 offen
	s_add_u32 s12, s6, s2
	s_addc_u32 s2, s7, s3
	s_mov_b32 s7, s15
	s_and_b32 s13, s2, 0xffff
	s_clause 0x2
	buffer_load_b128 v[26:29], v13, s[12:15], 0 offen
	buffer_load_b128 v[30:33], v13, s[12:15], 16 offen
	;; [unrolled: 1-line block ×3, first 2 shown]
	s_mov_b32 s4, s8
	s_mov_b32 s6, s14
	s_clause 0x2
	buffer_load_b128 v[9:12], v13, s[4:7], 0 offen
	buffer_load_b128 v[5:8], v13, s[4:7], 16 offen
	;; [unrolled: 1-line block ×3, first 2 shown]
	s_clause 0x1
	s_load_b64 s[4:5], s[0:1], 0x48
	s_load_b128 s[0:3], s[0:1], 0x0
	s_waitcnt lgkmcnt(0)
	s_ashr_i32 s6, s4, 31
	s_mul_hi_u32 s7, s4, s20
	s_mul_i32 s8, s6, s20
	s_mul_i32 s6, s4, s20
	s_add_i32 s7, s7, s8
	s_delay_alu instid0(SALU_CYCLE_1) | instskip(NEXT) | instid1(SALU_CYCLE_1)
	s_lshl_b64 s[6:7], s[6:7], 1
	s_add_u32 s12, s2, s6
	s_addc_u32 s2, s3, s7
	s_delay_alu instid0(SALU_CYCLE_1)
	s_and_b32 s13, s2, 0xffff
	s_mov_b32 s2, exec_lo
	s_waitcnt vmcnt(8)
	v_and_b32_e32 v39, 0xffff, v15
	v_lshrrev_b32_e32 v40, 16, v15
	v_lshrrev_b32_e32 v42, 16, v16
	s_waitcnt vmcnt(7)
	v_and_b32_e32 v45, 0xffff, v18
	v_lshrrev_b32_e32 v46, 16, v18
	v_lshrrev_b32_e32 v44, 16, v17
	;; [unrolled: 1-line block ×3, first 2 shown]
	s_waitcnt vmcnt(5)
	v_lshrrev_b32_e32 v15, 16, v26
	v_and_b32_e32 v18, 0xffff, v27
	v_and_b32_e32 v51, 0xffff, v21
	v_lshrrev_b32_e32 v52, 16, v21
	v_and_b32_e32 v21, 0xffff, v28
	v_cvt_f32_u32_e32 v15, v15
	v_and_b32_e32 v41, 0xffff, v16
	v_and_b32_e32 v16, 0xffff, v26
	v_cvt_f32_u32_e32 v18, v18
	v_and_b32_e32 v43, 0xffff, v17
	v_lshrrev_b32_e32 v50, 16, v20
	v_cvt_f32_u32_e32 v21, v21
	v_cvt_f32_u32_e32 v16, v16
	v_and_b32_e32 v38, 0xffff, v14
	v_lshrrev_b32_e32 v14, 16, v14
	v_lshrrev_b32_e32 v54, 16, v22
	;; [unrolled: 1-line block ×4, first 2 shown]
	v_cvt_f32_u32_e32 v17, v38
	v_cvt_f32_u32_e32 v14, v14
	v_lshrrev_b32_e32 v60, 16, v25
	v_cvt_f32_u32_e32 v26, v46
	s_delay_alu instid0(VALU_DEP_3)
	v_dual_add_f32 v14, v14, v15 :: v_dual_add_f32 v15, v17, v16
	v_cvt_f32_u32_e32 v17, v40
	s_waitcnt vmcnt(3)
	v_and_b32_e32 v40, 0xffff, v36
	v_lshrrev_b32_e32 v36, 16, v36
	v_mul_f32_e32 v38, v14, v14
	s_delay_alu instid0(VALU_DEP_3) | instskip(NEXT) | instid1(VALU_DEP_3)
	v_cvt_f32_u32_e32 v40, v40
	v_cvt_f32_u32_e32 v36, v36
	s_delay_alu instid0(VALU_DEP_3) | instskip(SKIP_4) | instid1(VALU_DEP_3)
	v_fmac_f32_e32 v38, v15, v15
	v_and_b32_e32 v47, 0xffff, v19
	v_cvt_f32_u32_e32 v19, v39
	v_and_b32_e32 v39, 0xffff, v35
	v_lshrrev_b32_e32 v35, 16, v35
	v_add_f32_e32 v16, v19, v18
	v_cvt_f32_u32_e32 v18, v41
	v_and_b32_e32 v49, 0xffff, v20
	v_lshrrev_b32_e32 v20, 16, v27
	v_lshrrev_b32_e32 v19, 16, v28
	v_fmac_f32_e32 v38, v16, v16
	v_add_f32_e32 v18, v18, v21
	v_cvt_f32_u32_e32 v21, v43
	v_cvt_f32_u32_e32 v20, v20
	;; [unrolled: 1-line block ×3, first 2 shown]
	v_lshrrev_b32_e32 v28, 16, v31
	v_and_b32_e32 v41, 0xffff, v37
	v_lshrrev_b32_e32 v37, 16, v37
	v_add_f32_e32 v17, v17, v20
	v_and_b32_e32 v53, 0xffff, v22
	v_cvt_f32_u32_e32 v20, v42
	v_and_b32_e32 v22, 0xffff, v29
	v_cvt_f32_u32_e32 v28, v28
	v_fmac_f32_e32 v38, v17, v17
	v_cvt_f32_u32_e32 v37, v37
	v_add_f32_e32 v19, v20, v19
	v_cvt_f32_u32_e32 v22, v22
	v_cvt_f32_u32_e32 v20, v44
	v_dual_fmac_f32 v38, v18, v18 :: v_dual_and_b32 v57, 0xffff, v24
	v_cvt_f32_u32_e32 v39, v39
	s_delay_alu instid0(VALU_DEP_4) | instskip(SKIP_1) | instid1(VALU_DEP_4)
	v_add_f32_e32 v21, v21, v22
	v_cvt_f32_u32_e32 v22, v45
	v_fmac_f32_e32 v38, v19, v19
	v_and_b32_e32 v55, 0xffff, v23
	v_lshrrev_b32_e32 v23, 16, v29
	v_lshrrev_b32_e32 v29, 16, v32
	v_cvt_f32_u32_e32 v35, v35
	v_fmac_f32_e32 v38, v21, v21
	s_delay_alu instid0(VALU_DEP_4) | instskip(SKIP_2) | instid1(VALU_DEP_3)
	v_cvt_f32_u32_e32 v23, v23
	v_and_b32_e32 v24, 0xffff, v30
	v_cvt_f32_u32_e32 v29, v29
	v_add_f32_e32 v23, v20, v23
	s_delay_alu instid0(VALU_DEP_3)
	v_cvt_f32_u32_e32 v24, v24
	v_and_b32_e32 v59, 0xffff, v25
	v_lshrrev_b32_e32 v25, 16, v30
	v_and_b32_e32 v30, 0xffff, v33
	v_fmac_f32_e32 v38, v23, v23
	v_add_f32_e32 v20, v22, v24
	v_cvt_f32_u32_e32 v24, v47
	v_cvt_f32_u32_e32 v25, v25
	v_and_b32_e32 v27, 0xffff, v31
	v_cvt_f32_u32_e32 v31, v51
	v_fmac_f32_e32 v38, v20, v20
	v_cvt_f32_u32_e32 v30, v30
	v_add_f32_e32 v22, v26, v25
	v_cvt_f32_u32_e32 v27, v27
	v_cvt_f32_u32_e32 v25, v48
	v_perm_b32 v42, v23, v21, 0x7060302
	v_and_b32_e32 v51, 31, v0
	v_perm_b32 v43, v22, v20, 0x7060302
	s_delay_alu instid0(VALU_DEP_4)
	v_dual_add_f32 v24, v24, v27 :: v_dual_add_f32 v25, v25, v28
	v_cvt_f32_u32_e32 v28, v50
	v_and_b32_e32 v26, 0xffff, v32
	v_cvt_f32_u32_e32 v27, v49
	v_lshrrev_b32_e32 v32, 16, v33
	v_and_b32_e32 v33, 0xffff, v34
	v_lshrrev_b32_e32 v34, 16, v34
	v_cvt_f32_u32_e32 v26, v26
	v_perm_b32 v44, v25, v24, 0x7060302
	v_cvt_f32_u32_e32 v32, v32
	v_cvt_f32_u32_e32 v33, v33
	;; [unrolled: 1-line block ×3, first 2 shown]
	v_dual_add_f32 v26, v27, v26 :: v_dual_add_f32 v27, v28, v29
	v_cvt_f32_u32_e32 v28, v52
	v_fmac_f32_e32 v38, v22, v22
	v_add_f32_e32 v29, v31, v30
	v_cvt_f32_u32_e32 v30, v53
	v_perm_b32 v45, v27, v26, 0x7060302
	v_add_f32_e32 v31, v28, v32
	v_fmac_f32_e32 v38, v24, v24
	v_cvt_f32_u32_e32 v32, v54
	v_add_f32_e32 v28, v30, v33
	v_cvt_f32_u32_e32 v33, v55
	v_perm_b32 v46, v31, v29, 0x7060302
	s_delay_alu instid0(VALU_DEP_4) | instskip(SKIP_1) | instid1(VALU_DEP_4)
	v_add_f32_e32 v30, v32, v34
	v_cvt_f32_u32_e32 v34, v56
	v_add_f32_e32 v32, v33, v39
	v_cvt_f32_u32_e32 v39, v57
	s_delay_alu instid0(VALU_DEP_3) | instskip(SKIP_2) | instid1(VALU_DEP_4)
	v_add_f32_e32 v33, v34, v35
	v_cvt_f32_u32_e32 v35, v58
	v_fmac_f32_e32 v38, v25, v25
	v_add_f32_e32 v34, v39, v40
	v_cvt_f32_u32_e32 v40, v41
	v_cvt_f32_u32_e32 v41, v60
	s_delay_alu instid0(VALU_DEP_4) | instskip(SKIP_2) | instid1(VALU_DEP_4)
	v_dual_add_f32 v35, v35, v36 :: v_dual_fmac_f32 v38, v26, v26
	v_cvt_f32_u32_e32 v39, v59
	v_perm_b32 v48, v33, v32, 0x7060302
	v_add_f32_e32 v37, v41, v37
	v_perm_b32 v41, v19, v18, 0x7060302
	v_fmac_f32_e32 v38, v27, v27
	v_add_f32_e32 v36, v39, v40
	v_perm_b32 v40, v17, v16, 0x7060302
	v_perm_b32 v49, v35, v34, 0x7060302
	s_delay_alu instid0(VALU_DEP_4) | instskip(NEXT) | instid1(VALU_DEP_4)
	v_fmac_f32_e32 v38, v29, v29
	v_perm_b32 v50, v37, v36, 0x7060302
	s_delay_alu instid0(VALU_DEP_2) | instskip(NEXT) | instid1(VALU_DEP_1)
	v_fmac_f32_e32 v38, v31, v31
	v_fmac_f32_e32 v38, v28, v28
	s_delay_alu instid0(VALU_DEP_1) | instskip(NEXT) | instid1(VALU_DEP_1)
	v_fmac_f32_e32 v38, v30, v30
	v_fmac_f32_e32 v38, v32, v32
	s_delay_alu instid0(VALU_DEP_1) | instskip(NEXT) | instid1(VALU_DEP_1)
	;; [unrolled: 3-line block ×4, first 2 shown]
	v_fmac_f32_e32 v38, v37, v37
	v_mov_b32_dpp v39, v38 quad_perm:[1,0,3,2] row_mask:0xf bank_mask:0xf
	s_delay_alu instid0(VALU_DEP_1) | instskip(NEXT) | instid1(VALU_DEP_1)
	v_add_f32_e32 v38, v38, v39
	v_mov_b32_dpp v39, v38 quad_perm:[2,3,0,1] row_mask:0xf bank_mask:0xf
	s_delay_alu instid0(VALU_DEP_1) | instskip(SKIP_1) | instid1(VALU_DEP_2)
	v_add_f32_e32 v38, v38, v39
	v_perm_b32 v39, v14, v15, 0x7060302
	v_mov_b32_dpp v47, v38 row_xmask:7 row_mask:0xf bank_mask:0xf
	buffer_store_b128 v[39:42], v13, s[12:15], 0 offen
	;;#ASMSTART
	s_nop 0
	;;#ASMEND
	buffer_store_b128 v[43:46], v13, s[12:15], 16 offen
	;;#ASMSTART
	s_nop 0
	;;#ASMEND
	v_add_f32_e32 v38, v38, v47
	v_perm_b32 v47, v30, v28, 0x7060302
	s_delay_alu instid0(VALU_DEP_2)
	v_mov_b32_dpp v39, v38 row_xmask:15 row_mask:0xf bank_mask:0xf
	buffer_store_b128 v[47:50], v13, s[12:15], 32 offen
	;;#ASMSTART
	s_nop 0
	;;#ASMEND
	v_cmpx_eq_u32_e32 31, v51
	s_cbranch_execz .LBB132_3
; %bb.2:
	v_add_f32_e32 v38, v38, v39
	s_mov_b32 s3, 0x76543210
	v_lshrrev_b32_e32 v39, 3, v0
	s_delay_alu instid0(VALU_DEP_2) | instskip(NEXT) | instid1(VALU_DEP_1)
	v_permlanex16_b32 v40, v38, s3, 0xfedcba98 op_sel:[1,1]
	v_dual_add_f32 v38, v38, v40 :: v_dual_and_b32 v39, 0x7c, v39
	ds_store_b32 v39, v38
.LBB132_3:
	s_or_b32 exec_lo, exec_lo, s2
	v_and_b32_e32 v0, 7, v0
	s_waitcnt vmcnt(0) lgkmcnt(0)
	s_waitcnt_vscnt null, 0x0
	s_barrier
	buffer_gl0_inv
	v_cvt_f32_i32_e32 v39, s17
	v_lshlrev_b32_e32 v0, 2, v0
	v_lshrrev_b32_e32 v46, 16, v1
	v_lshrrev_b32_e32 v44, 16, v7
	;; [unrolled: 1-line block ×4, first 2 shown]
	ds_load_b32 v0, v0
	v_cvt_f32_u32_e32 v46, v46
	v_lshrrev_b32_e32 v48, 16, v3
	v_lshrrev_b32_e32 v49, 16, v4
	v_cvt_f32_u32_e32 v45, v45
	v_cvt_f32_u32_e32 v47, v47
	;; [unrolled: 1-line block ×5, first 2 shown]
	s_ashr_i32 s3, s5, 31
	s_mul_hi_u32 s4, s5, s20
	s_mul_i32 s3, s3, s20
	s_mul_i32 s2, s5, s20
	s_add_i32 s3, s4, s3
	s_delay_alu instid0(SALU_CYCLE_1) | instskip(NEXT) | instid1(SALU_CYCLE_1)
	s_lshl_b64 s[2:3], s[2:3], 1
	s_add_u32 s12, s0, s2
	s_addc_u32 s0, s1, s3
	s_delay_alu instid0(SALU_CYCLE_1) | instskip(SKIP_2) | instid1(VALU_DEP_1)
	s_and_b32 s13, s0, 0xffff
	s_waitcnt lgkmcnt(0)
	v_mov_b32_dpp v38, v0 quad_perm:[1,0,3,2] row_mask:0xf bank_mask:0xf
	v_add_f32_e32 v0, v0, v38
	s_delay_alu instid0(VALU_DEP_1) | instskip(NEXT) | instid1(VALU_DEP_1)
	v_mov_b32_dpp v38, v0 quad_perm:[2,3,0,1] row_mask:0xf bank_mask:0xf
	v_add_f32_e32 v0, v0, v38
	s_delay_alu instid0(VALU_DEP_1) | instskip(NEXT) | instid1(VALU_DEP_1)
	v_mov_b32_dpp v38, v0 row_xmask:7 row_mask:0xf bank_mask:0xf
	v_add_f32_e32 v0, v0, v38
	s_delay_alu instid0(VALU_DEP_1) | instskip(SKIP_1) | instid1(VALU_DEP_2)
	v_div_scale_f32 v38, null, v39, v39, v0
	v_div_scale_f32 v42, vcc_lo, v0, v39, v0
	v_rcp_f32_e32 v40, v38
	s_waitcnt_depctr 0xfff
	v_fma_f32 v41, -v38, v40, 1.0
	s_delay_alu instid0(VALU_DEP_1) | instskip(NEXT) | instid1(VALU_DEP_1)
	v_fmac_f32_e32 v40, v41, v40
	v_mul_f32_e32 v41, v42, v40
	s_delay_alu instid0(VALU_DEP_1) | instskip(NEXT) | instid1(VALU_DEP_1)
	v_fma_f32 v43, -v38, v41, v42
	v_fmac_f32_e32 v41, v43, v40
	v_lshrrev_b32_e32 v43, 16, v6
	s_delay_alu instid0(VALU_DEP_2) | instskip(SKIP_1) | instid1(VALU_DEP_3)
	v_fma_f32 v38, -v38, v41, v42
	v_lshrrev_b32_e32 v42, 16, v5
	v_cvt_f32_u32_e32 v43, v43
	s_delay_alu instid0(VALU_DEP_3)
	v_div_fmas_f32 v38, v38, v40, v41
	v_lshrrev_b32_e32 v40, 16, v11
	v_and_b32_e32 v11, 0xffff, v11
	v_lshrrev_b32_e32 v41, 16, v12
	v_cvt_f32_u32_e32 v42, v42
	v_div_fixup_f32 v0, v38, v39, v0
	v_cvt_f32_u32_e32 v40, v40
	v_cvt_f32_u32_e32 v11, v11
	;; [unrolled: 1-line block ×3, first 2 shown]
	s_delay_alu instid0(VALU_DEP_4) | instskip(NEXT) | instid1(VALU_DEP_1)
	v_cvt_f64_f32_e32 v[38:39], v0
	v_add_f64 v[38:39], v[38:39], s[10:11]
	s_delay_alu instid0(VALU_DEP_1) | instskip(SKIP_3) | instid1(VALU_DEP_3)
	v_cvt_f32_f64_e32 v0, v[38:39]
	v_lshrrev_b32_e32 v38, 16, v9
	v_and_b32_e32 v9, 0xffff, v9
	v_lshrrev_b32_e32 v39, 16, v10
	v_cvt_f32_u32_e32 v38, v38
	s_delay_alu instid0(VALU_DEP_3) | instskip(NEXT) | instid1(VALU_DEP_3)
	v_cvt_f32_u32_e32 v9, v9
	v_cvt_f32_u32_e32 v39, v39
	v_mul_f32_e32 v50, 0x4b800000, v0
	v_cmp_gt_f32_e32 vcc_lo, 0x800000, v0
	s_delay_alu instid0(VALU_DEP_2) | instskip(NEXT) | instid1(VALU_DEP_1)
	v_dual_cndmask_b32 v0, v0, v50 :: v_dual_and_b32 v5, 0xffff, v5
	v_cvt_f32_u32_e32 v5, v5
	s_delay_alu instid0(VALU_DEP_2) | instskip(SKIP_2) | instid1(VALU_DEP_1)
	v_rsq_f32_e32 v0, v0
	s_waitcnt_depctr 0xfff
	v_mul_f32_e32 v50, 0x45800000, v0
	v_dual_cndmask_b32 v0, v0, v50 :: v_dual_and_b32 v7, 0xffff, v7
	v_and_b32_e32 v6, 0xffff, v6
	v_and_b32_e32 v1, 0xffff, v1
	v_and_b32_e32 v3, 0xffff, v3
	s_delay_alu instid0(VALU_DEP_4)
	v_dual_mul_f32 v23, v23, v0 :: v_dual_and_b32 v10, 0xffff, v10
	v_mul_f32_e32 v18, v18, v0
	v_mul_f32_e32 v20, v20, v0
	v_and_b32_e32 v12, 0xffff, v12
	v_cvt_f32_u32_e32 v7, v7
	v_cvt_f32_u32_e32 v1, v1
	v_mul_f32_e32 v11, v18, v11
	v_mul_f32_e32 v21, v21, v0
	v_cvt_f32_u32_e32 v6, v6
	v_mul_f32_e32 v16, v16, v0
	v_cvt_f32_u32_e32 v3, v3
	v_dual_mul_f32 v31, v31, v0 :: v_dual_mul_f32 v18, v20, v5
	v_mul_f32_e32 v25, v25, v0
	v_mul_f32_e32 v24, v24, v0
	;; [unrolled: 1-line block ×6, first 2 shown]
	v_and_b32_e32 v8, 0xffff, v8
	v_dual_mul_f32 v19, v19, v0 :: v_dual_and_b32 v2, 0xffff, v2
	v_cvt_f32_u32_e32 v10, v10
	v_mul_f32_e32 v15, v15, v0
	v_mul_f32_e32 v29, v29, v0
	v_dual_mul_f32 v27, v27, v0 :: v_dual_mul_f32 v20, v25, v43
	v_mul_f32_e32 v22, v22, v0
	v_dual_mul_f32 v5, v24, v6 :: v_dual_and_b32 v4, 0xffff, v4
	v_mul_f32_e32 v6, v26, v7
	v_mul_f32_e32 v26, v34, v3
	v_dual_mul_f32 v14, v14, v0 :: v_dual_mul_f32 v25, v33, v47
	v_mul_f32_e32 v17, v17, v0
	v_cvt_f32_u32_e32 v12, v12
	v_cvt_f32_u32_e32 v2, v2
	s_delay_alu instid0(VALU_DEP_4)
	v_mul_f32_e32 v14, v14, v38
	v_mul_f32_e32 v36, v36, v0
	;; [unrolled: 1-line block ×7, first 2 shown]
	v_dual_mul_f32 v24, v32, v2 :: v_dual_mul_f32 v9, v15, v9
	v_dual_mul_f32 v15, v17, v39 :: v_dual_mul_f32 v16, v19, v40
	v_mul_f32_e32 v17, v23, v41
	v_cvt_f32_u32_e32 v8, v8
	v_mul_f32_e32 v19, v22, v42
	v_cvt_f32_u32_e32 v4, v4
	v_mul_f32_e32 v12, v21, v12
	v_mul_f32_e32 v21, v27, v44
	v_dual_mul_f32 v7, v29, v8 :: v_dual_mul_f32 v8, v31, v45
	v_dual_mul_f32 v22, v0, v1 :: v_dual_mul_f32 v23, v30, v46
	v_mul_f32_e32 v27, v35, v48
	v_dual_mul_f32 v28, v36, v4 :: v_dual_mul_f32 v29, v37, v49
	v_perm_b32 v3, v17, v12, 0x7060302
	v_perm_b32 v2, v16, v11, 0x7060302
	;; [unrolled: 1-line block ×12, first 2 shown]
	buffer_store_b128 v[0:3], v13, s[12:15], 0 offen
	;;#ASMSTART
	s_nop 0
	;;#ASMEND
	buffer_store_b128 v[4:7], v13, s[12:15], 16 offen
	;;#ASMSTART
	s_nop 0
	;;#ASMEND
	;; [unrolled: 4-line block ×3, first 2 shown]
.LBB132_4:
	s_nop 0
	s_sendmsg sendmsg(MSG_DEALLOC_VGPRS)
	s_endpgm
	.section	.rodata,"a",@progbits
	.p2align	6, 0x0
	.amdhsa_kernel _ZN5aiter24add_rmsnorm_quant_kernelIttLi256ELi24ELb1ELb0ELb0ELi1EEEvPT0_PT_PfS4_S4_S4_diiiiiiib
		.amdhsa_group_segment_fixed_size 32
		.amdhsa_private_segment_fixed_size 0
		.amdhsa_kernarg_size 88
		.amdhsa_user_sgpr_count 15
		.amdhsa_user_sgpr_dispatch_ptr 0
		.amdhsa_user_sgpr_queue_ptr 0
		.amdhsa_user_sgpr_kernarg_segment_ptr 1
		.amdhsa_user_sgpr_dispatch_id 0
		.amdhsa_user_sgpr_private_segment_size 0
		.amdhsa_wavefront_size32 1
		.amdhsa_uses_dynamic_stack 0
		.amdhsa_enable_private_segment 0
		.amdhsa_system_sgpr_workgroup_id_x 1
		.amdhsa_system_sgpr_workgroup_id_y 0
		.amdhsa_system_sgpr_workgroup_id_z 0
		.amdhsa_system_sgpr_workgroup_info 0
		.amdhsa_system_vgpr_workitem_id 0
		.amdhsa_next_free_vgpr 61
		.amdhsa_next_free_sgpr 22
		.amdhsa_reserve_vcc 1
		.amdhsa_float_round_mode_32 0
		.amdhsa_float_round_mode_16_64 0
		.amdhsa_float_denorm_mode_32 3
		.amdhsa_float_denorm_mode_16_64 3
		.amdhsa_dx10_clamp 1
		.amdhsa_ieee_mode 1
		.amdhsa_fp16_overflow 0
		.amdhsa_workgroup_processor_mode 1
		.amdhsa_memory_ordered 1
		.amdhsa_forward_progress 0
		.amdhsa_shared_vgpr_count 0
		.amdhsa_exception_fp_ieee_invalid_op 0
		.amdhsa_exception_fp_denorm_src 0
		.amdhsa_exception_fp_ieee_div_zero 0
		.amdhsa_exception_fp_ieee_overflow 0
		.amdhsa_exception_fp_ieee_underflow 0
		.amdhsa_exception_fp_ieee_inexact 0
		.amdhsa_exception_int_div_zero 0
	.end_amdhsa_kernel
	.section	.text._ZN5aiter24add_rmsnorm_quant_kernelIttLi256ELi24ELb1ELb0ELb0ELi1EEEvPT0_PT_PfS4_S4_S4_diiiiiiib,"axG",@progbits,_ZN5aiter24add_rmsnorm_quant_kernelIttLi256ELi24ELb1ELb0ELb0ELi1EEEvPT0_PT_PfS4_S4_S4_diiiiiiib,comdat
.Lfunc_end132:
	.size	_ZN5aiter24add_rmsnorm_quant_kernelIttLi256ELi24ELb1ELb0ELb0ELi1EEEvPT0_PT_PfS4_S4_S4_diiiiiiib, .Lfunc_end132-_ZN5aiter24add_rmsnorm_quant_kernelIttLi256ELi24ELb1ELb0ELb0ELi1EEEvPT0_PT_PfS4_S4_S4_diiiiiiib
                                        ; -- End function
	.section	.AMDGPU.csdata,"",@progbits
; Kernel info:
; codeLenInByte = 2440
; NumSgprs: 24
; NumVgprs: 61
; ScratchSize: 0
; MemoryBound: 0
; FloatMode: 240
; IeeeMode: 1
; LDSByteSize: 32 bytes/workgroup (compile time only)
; SGPRBlocks: 2
; VGPRBlocks: 7
; NumSGPRsForWavesPerEU: 24
; NumVGPRsForWavesPerEU: 61
; Occupancy: 16
; WaveLimiterHint : 0
; COMPUTE_PGM_RSRC2:SCRATCH_EN: 0
; COMPUTE_PGM_RSRC2:USER_SGPR: 15
; COMPUTE_PGM_RSRC2:TRAP_HANDLER: 0
; COMPUTE_PGM_RSRC2:TGID_X_EN: 1
; COMPUTE_PGM_RSRC2:TGID_Y_EN: 0
; COMPUTE_PGM_RSRC2:TGID_Z_EN: 0
; COMPUTE_PGM_RSRC2:TIDIG_COMP_CNT: 0
	.section	.text._ZN5aiter24add_rmsnorm_quant_kernelIDF16_DF16_Li256ELi32ELb1ELb0ELb1ELi1EEEvPT0_PT_PfS4_S4_S4_diiiiiiib,"axG",@progbits,_ZN5aiter24add_rmsnorm_quant_kernelIDF16_DF16_Li256ELi32ELb1ELb0ELb1ELi1EEEvPT0_PT_PfS4_S4_S4_diiiiiiib,comdat
	.protected	_ZN5aiter24add_rmsnorm_quant_kernelIDF16_DF16_Li256ELi32ELb1ELb0ELb1ELi1EEEvPT0_PT_PfS4_S4_S4_diiiiiiib ; -- Begin function _ZN5aiter24add_rmsnorm_quant_kernelIDF16_DF16_Li256ELi32ELb1ELb0ELb1ELi1EEEvPT0_PT_PfS4_S4_S4_diiiiiiib
	.globl	_ZN5aiter24add_rmsnorm_quant_kernelIDF16_DF16_Li256ELi32ELb1ELb0ELb1ELi1EEEvPT0_PT_PfS4_S4_S4_diiiiiiib
	.p2align	8
	.type	_ZN5aiter24add_rmsnorm_quant_kernelIDF16_DF16_Li256ELi32ELb1ELb0ELb1ELi1EEEvPT0_PT_PfS4_S4_S4_diiiiiiib,@function
_ZN5aiter24add_rmsnorm_quant_kernelIDF16_DF16_Li256ELi32ELb1ELb0ELb1ELi1EEEvPT0_PT_PfS4_S4_S4_diiiiiiib: ; @_ZN5aiter24add_rmsnorm_quant_kernelIDF16_DF16_Li256ELi32ELb1ELb0ELb1ELi1EEEvPT0_PT_PfS4_S4_S4_diiiiiiib
; %bb.0:
	s_load_b128 s[16:19], s[0:1], 0x38
	s_mov_b32 s20, s15
	s_mov_b32 s21, 0
	s_waitcnt lgkmcnt(0)
	s_ashr_i32 s3, s16, 31
	s_mov_b32 s2, s16
	s_delay_alu instid0(SALU_CYCLE_1) | instskip(NEXT) | instid1(VALU_DEP_1)
	v_cmp_ge_i64_e64 s2, s[20:21], s[2:3]
	s_and_b32 vcc_lo, exec_lo, s2
	s_cbranch_vccnz .LBB133_4
; %bb.1:
	s_load_b256 s[4:11], s[0:1], 0x18
	s_ashr_i32 s3, s18, 31
	s_mul_hi_u32 s12, s18, s20
	s_mul_i32 s3, s3, s20
	s_mul_i32 s2, s18, s20
	s_add_i32 s3, s12, s3
	v_lshlrev_b32_e32 v2, 6, v0
	s_lshl_b64 s[2:3], s[2:3], 1
	v_lshlrev_b32_e32 v1, 4, v0
	s_mov_b32 s15, -1
	s_movk_i32 s18, 0x200
	v_and_b32_e32 v2, 0xf800, v2
	s_movk_i32 s21, 0x400
	s_movk_i32 s16, 0x600
	s_delay_alu instid0(VALU_DEP_1)
	v_and_or_b32 v33, 0x1f0, v1, v2
	s_waitcnt lgkmcnt(0)
	s_add_u32 s12, s4, s2
	s_addc_u32 s2, s5, s3
	s_add_i32 s3, s17, 1
	s_mul_hi_u32 s4, s19, s20
	s_lshr_b32 s5, s3, 31
	s_and_b32 s13, s2, 0xffff
	s_add_i32 s3, s3, s5
	s_ashr_i32 s5, s19, 31
	s_lshl_b32 s3, s3, 1
	s_mul_i32 s5, s5, s20
	s_and_b32 s14, s3, -4
	s_mul_i32 s2, s19, s20
	s_add_i32 s3, s4, s5
	s_and_b32 s5, s9, 0xffff
	s_lshl_b64 s[2:3], s[2:3], 1
	s_clause 0x3
	buffer_load_b128 v[34:37], v33, s[12:15], 0 offen glc slc
	buffer_load_b128 v[38:41], v33, s[12:15], s18 offen glc slc
	;; [unrolled: 1-line block ×4, first 2 shown]
	s_add_u32 s12, s6, s2
	s_addc_u32 s2, s7, s3
	s_mov_b32 s7, s15
	s_and_b32 s13, s2, 0xffff
	s_clause 0x3
	buffer_load_b128 v[46:49], v33, s[12:15], 0 offen glc slc
	buffer_load_b128 v[29:32], v33, s[12:15], s18 offen glc slc
	;; [unrolled: 1-line block ×4, first 2 shown]
	s_mov_b32 s4, s8
	s_mov_b32 s6, s14
	s_clause 0x3
	buffer_load_b128 v[13:16], v33, s[4:7], 0 offen
	buffer_load_b128 v[9:12], v33, s[4:7], s18 offen
	buffer_load_b128 v[5:8], v33, s[4:7], s21 offen
	buffer_load_b128 v[1:4], v33, s[4:7], s16 offen
	s_clause 0x1
	s_load_b64 s[4:5], s[0:1], 0x48
	s_load_b128 s[0:3], s[0:1], 0x0
	s_waitcnt lgkmcnt(0)
	s_ashr_i32 s6, s4, 31
	s_mul_hi_u32 s7, s4, s20
	s_mul_i32 s8, s6, s20
	s_mul_i32 s6, s4, s20
	s_add_i32 s7, s7, s8
	s_delay_alu instid0(SALU_CYCLE_1) | instskip(NEXT) | instid1(SALU_CYCLE_1)
	s_lshl_b64 s[6:7], s[6:7], 1
	s_add_u32 s12, s2, s6
	s_addc_u32 s2, s3, s7
	s_delay_alu instid0(SALU_CYCLE_1)
	s_and_b32 s13, s2, 0xffff
	s_mov_b32 s2, exec_lo
	s_waitcnt vmcnt(10)
	v_lshrrev_b32_e32 v58, 16, v38
	v_lshrrev_b32_e32 v50, 16, v34
	v_cvt_f32_f16_e32 v51, v34
	v_lshrrev_b32_e32 v52, 16, v35
	v_cvt_f32_f16_e32 v53, v35
	s_waitcnt vmcnt(7)
	v_lshrrev_b32_e32 v34, 16, v46
	v_lshrrev_b32_e32 v54, 16, v36
	v_cvt_f32_f16_e32 v55, v36
	v_lshrrev_b32_e32 v56, 16, v37
	v_cvt_f32_f16_e32 v57, v37
	v_cvt_f32_f16_e32 v59, v38
	;; [unrolled: 1-line block ×5, first 2 shown]
	v_lshrrev_b32_e32 v37, 16, v47
	v_cvt_f32_f16_e32 v38, v47
	v_and_b32_e32 v67, 31, v0
	v_lshrrev_b32_e32 v60, 16, v39
	v_cvt_f32_f16_e32 v61, v39
	v_lshrrev_b32_e32 v62, 16, v40
	v_cvt_f32_f16_e32 v63, v40
	v_add_f32_e32 v34, v35, v34
	v_dual_add_f32 v35, v51, v36 :: v_dual_add_f32 v36, v53, v38
	v_cvt_f32_f16_e32 v39, v52
	v_cvt_f32_f16_e32 v37, v37
	v_lshrrev_b32_e32 v38, 16, v48
	v_cvt_f32_f16_e32 v40, v48
	v_lshrrev_b32_e32 v64, 16, v41
	v_cvt_f32_f16_e32 v65, v41
	v_add_f32_e32 v37, v39, v37
	v_cvt_f32_f16_e32 v39, v54
	v_cvt_f32_f16_e32 v41, v38
	v_add_f32_e32 v38, v55, v40
	v_lshrrev_b32_e32 v40, 16, v49
	v_lshrrev_b32_e32 v47, 16, v45
	v_cvt_f32_f16_e32 v48, v45
	v_cvt_f32_f16_e32 v45, v49
	v_add_f32_e32 v39, v39, v41
	v_lshrrev_b32_e32 v49, 16, v25
	v_cvt_f32_f16_e32 v41, v56
	v_cvt_f32_f16_e32 v52, v40
	;; [unrolled: 1-line block ×3, first 2 shown]
	s_waitcnt vmcnt(6)
	v_lshrrev_b32_e32 v25, 16, v29
	v_lshrrev_b32_e32 v50, 16, v42
	v_mul_f32_e32 v51, v34, v34
	v_cvt_f32_f16_e32 v29, v29
	v_add_f32_e32 v41, v41, v52
	v_cvt_f32_f16_e32 v52, v58
	v_cvt_f32_f16_e32 v54, v25
	v_dual_fmac_f32 v51, v35, v35 :: v_dual_add_f32 v40, v57, v45
	v_lshrrev_b32_e32 v45, 16, v26
	v_cvt_f32_f16_e32 v55, v26
	s_delay_alu instid0(VALU_DEP_4)
	v_add_f32_e32 v26, v52, v54
	v_lshrrev_b32_e32 v52, 16, v27
	v_cvt_f32_f16_e32 v50, v50
	v_add_f32_e32 v25, v59, v29
	v_lshrrev_b32_e32 v29, 16, v30
	v_cvt_f32_f16_e32 v30, v30
	v_cvt_f32_f16_e32 v54, v60
	;; [unrolled: 1-line block ×5, first 2 shown]
	v_add_f32_e32 v29, v61, v30
	v_lshrrev_b32_e32 v30, 16, v31
	v_cvt_f32_f16_e32 v31, v31
	v_fmac_f32_e32 v51, v36, v36
	v_add_f32_e32 v27, v54, v56
	v_cvt_f32_f16_e32 v56, v62
	v_cvt_f32_f16_e32 v58, v30
	v_add_f32_e32 v30, v63, v31
	v_lshrrev_b32_e32 v31, 16, v32
	v_lshrrev_b32_e32 v54, 16, v28
	v_cvt_f32_f16_e32 v59, v28
	v_cvt_f32_f16_e32 v32, v32
	v_add_f32_e32 v28, v56, v58
	v_cvt_f32_f16_e32 v56, v64
	v_cvt_f32_f16_e32 v58, v31
	;; [unrolled: 1-line block ×3, first 2 shown]
	v_lshrrev_b32_e32 v66, 16, v43
	v_add_f32_e32 v31, v65, v32
	s_waitcnt vmcnt(5)
	v_lshrrev_b32_e32 v60, 16, v21
	v_cvt_f32_f16_e32 v21, v21
	v_add_f32_e32 v32, v56, v58
	v_lshrrev_b32_e32 v56, 16, v22
	v_cvt_f32_f16_e32 v43, v43
	v_lshrrev_b32_e32 v46, 16, v44
	v_fmac_f32_e32 v51, v37, v37
	v_cvt_f32_f16_e32 v61, v66
	v_cvt_f32_f16_e32 v58, v22
	;; [unrolled: 1-line block ×3, first 2 shown]
	v_add_f32_e32 v21, v42, v21
	v_lshrrev_b32_e32 v42, 16, v23
	v_cvt_f32_f16_e32 v56, v56
	v_cvt_f32_f16_e32 v44, v44
	v_fmac_f32_e32 v51, v38, v38
	v_cvt_f32_f16_e32 v46, v46
	v_cvt_f32_f16_e32 v60, v23
	v_add_f32_e32 v22, v50, v22
	v_lshrrev_b32_e32 v50, 16, v24
	v_add_f32_e32 v23, v43, v58
	v_cvt_f32_f16_e32 v43, v24
	v_add_f32_e32 v24, v61, v56
	v_cvt_f32_f16_e32 v56, v45
	v_cvt_f32_f16_e32 v45, v42
	v_dual_fmac_f32 v51, v39, v39 :: v_dual_add_f32 v42, v44, v60
	v_cvt_f32_f16_e32 v47, v47
	s_waitcnt vmcnt(4)
	v_lshrrev_b32_e32 v62, 16, v17
	v_add_f32_e32 v45, v46, v45
	v_lshrrev_b32_e32 v46, 16, v19
	v_cvt_f32_f16_e32 v60, v19
	v_cvt_f32_f16_e32 v19, v50
	;; [unrolled: 1-line block ×4, first 2 shown]
	v_lshrrev_b32_e32 v44, 16, v18
	v_add_f32_e32 v48, v48, v43
	v_add_f32_e32 v49, v47, v19
	v_cvt_f32_f16_e32 v47, v62
	v_fmac_f32_e32 v51, v40, v40
	v_add_f32_e32 v19, v53, v17
	v_cvt_f32_f16_e32 v53, v46
	v_lshrrev_b32_e32 v50, 16, v20
	s_delay_alu instid0(VALU_DEP_4) | instskip(SKIP_4) | instid1(VALU_DEP_4)
	v_dual_add_f32 v46, v58, v47 :: v_dual_fmac_f32 v51, v41, v41
	v_cvt_f32_f16_e32 v20, v20
	v_cvt_f32_f16_e32 v18, v18
	;; [unrolled: 1-line block ×4, first 2 shown]
	v_dual_fmac_f32 v51, v25, v25 :: v_dual_add_f32 v20, v59, v20
	s_delay_alu instid0(VALU_DEP_4) | instskip(NEXT) | instid1(VALU_DEP_4)
	v_dual_add_f32 v17, v55, v18 :: v_dual_add_f32 v18, v57, v60
	v_add_f32_e32 v47, v56, v44
	s_delay_alu instid0(VALU_DEP_3) | instskip(SKIP_3) | instid1(VALU_DEP_4)
	v_dual_fmac_f32 v51, v26, v26 :: v_dual_add_f32 v44, v52, v53
	v_cvt_f32_f16_e32 v50, v50
	v_cvt_f16_f32_e32 v68, v34
	v_cvt_f16_f32_e32 v52, v36
	v_fmac_f32_e32 v51, v29, v29
	v_cvt_f16_f32_e32 v53, v38
	v_add_f32_e32 v43, v43, v50
	v_cvt_f16_f32_e32 v50, v35
	v_cvt_f16_f32_e32 v54, v40
	v_fmac_f32_e32 v51, v27, v27
	v_cvt_f16_f32_e32 v69, v37
	v_cvt_f16_f32_e32 v70, v39
	v_cvt_f16_f32_e32 v71, v41
	v_cvt_f16_f32_e32 v55, v25
	v_fmac_f32_e32 v51, v30, v30
	v_cvt_f16_f32_e32 v56, v29
	v_cvt_f16_f32_e32 v57, v30
	;; [unrolled: 5-line block ×6, first 2 shown]
	v_cvt_f16_f32_e32 v82, v47
	v_cvt_f16_f32_e32 v83, v44
	v_fmac_f32_e32 v51, v22, v22
	v_cvt_f16_f32_e32 v84, v43
	v_pack_b32_f16 v54, v54, v71
	v_pack_b32_f16 v53, v53, v70
	v_pack_b32_f16 v52, v52, v69
	v_fmac_f32_e32 v51, v23, v23
	v_pack_b32_f16 v58, v58, v75
	v_pack_b32_f16 v57, v57, v74
	v_pack_b32_f16 v55, v55, v72
	v_pack_b32_f16 v62, v62, v79
	v_fmac_f32_e32 v51, v24, v24
	v_pack_b32_f16 v61, v61, v78
	;; [unrolled: 5-line block ×3, first 2 shown]
	v_pack_b32_f16 v63, v63, v81
	s_delay_alu instid0(VALU_DEP_3) | instskip(NEXT) | instid1(VALU_DEP_1)
	v_fmac_f32_e32 v51, v45, v45
	v_fmac_f32_e32 v51, v48, v48
	s_delay_alu instid0(VALU_DEP_1) | instskip(NEXT) | instid1(VALU_DEP_1)
	v_fmac_f32_e32 v51, v49, v49
	v_fmac_f32_e32 v51, v19, v19
	s_delay_alu instid0(VALU_DEP_1) | instskip(NEXT) | instid1(VALU_DEP_1)
	;; [unrolled: 3-line block ×5, first 2 shown]
	v_fmac_f32_e32 v51, v43, v43
	v_mov_b32_dpp v80, v51 quad_perm:[1,0,3,2] row_mask:0xf bank_mask:0xf
	s_delay_alu instid0(VALU_DEP_1) | instskip(SKIP_2) | instid1(VALU_DEP_3)
	v_add_f32_e32 v80, v51, v80
	v_pack_b32_f16 v51, v50, v68
	v_cvt_f16_f32_e32 v59, v21
	v_mov_b32_dpp v50, v80 quad_perm:[2,3,0,1] row_mask:0xf bank_mask:0xf
	buffer_store_b128 v[51:54], v33, s[12:15], 0 offen glc slc
	v_pack_b32_f16 v59, v59, v76
	;;#ASMSTART
	s_nop 0
	;;#ASMEND
	v_add_f32_e32 v50, v80, v50
	v_cvt_f16_f32_e32 v73, v27
	s_delay_alu instid0(VALU_DEP_2) | instskip(NEXT) | instid1(VALU_DEP_2)
	v_mov_b32_dpp v68, v50 row_xmask:7 row_mask:0xf bank_mask:0xf
	v_pack_b32_f16 v56, v56, v73
	s_delay_alu instid0(VALU_DEP_2)
	v_add_f32_e32 v50, v50, v68
	buffer_store_b128 v[55:58], v33, s[12:15], s18 offen glc slc
	;;#ASMSTART
	s_nop 0
	;;#ASMEND
	buffer_store_b128 v[59:62], v33, s[12:15], s21 offen glc slc
	;;#ASMSTART
	s_nop 0
	;;#ASMEND
	v_mov_b32_dpp v51, v50 row_xmask:15 row_mask:0xf bank_mask:0xf
	buffer_store_b128 v[63:66], v33, s[12:15], s16 offen glc slc
	;;#ASMSTART
	s_nop 0
	;;#ASMEND
	v_cmpx_eq_u32_e32 31, v67
	s_cbranch_execz .LBB133_3
; %bb.2:
	v_add_f32_e32 v50, v50, v51
	s_mov_b32 s3, 0x76543210
	v_lshrrev_b32_e32 v51, 3, v0
	s_delay_alu instid0(VALU_DEP_2) | instskip(NEXT) | instid1(VALU_DEP_1)
	v_permlanex16_b32 v52, v50, s3, 0xfedcba98 op_sel:[1,1]
	v_dual_add_f32 v50, v50, v52 :: v_dual_and_b32 v51, 0x7c, v51
	ds_store_b32 v51, v50
.LBB133_3:
	s_or_b32 exec_lo, exec_lo, s2
	v_and_b32_e32 v0, 7, v0
	s_waitcnt vmcnt(0) lgkmcnt(0)
	s_waitcnt_vscnt null, 0x0
	s_barrier
	buffer_gl0_inv
	v_cvt_f32_i32_e32 v51, s17
	v_lshlrev_b32_e32 v0, 2, v0
	s_ashr_i32 s2, s5, 31
	s_mul_hi_u32 s3, s5, s20
	s_mul_i32 s4, s2, s20
	s_mul_i32 s2, s5, s20
	ds_load_b32 v0, v0
	s_add_i32 s3, s3, s4
	s_delay_alu instid0(SALU_CYCLE_1) | instskip(NEXT) | instid1(SALU_CYCLE_1)
	s_lshl_b64 s[2:3], s[2:3], 1
	s_add_u32 s12, s0, s2
	s_addc_u32 s0, s1, s3
	s_delay_alu instid0(SALU_CYCLE_1) | instskip(SKIP_2) | instid1(VALU_DEP_1)
	s_and_b32 s13, s0, 0xffff
	s_waitcnt lgkmcnt(0)
	v_mov_b32_dpp v50, v0 quad_perm:[1,0,3,2] row_mask:0xf bank_mask:0xf
	v_add_f32_e32 v0, v0, v50
	s_delay_alu instid0(VALU_DEP_1) | instskip(NEXT) | instid1(VALU_DEP_1)
	v_mov_b32_dpp v50, v0 quad_perm:[2,3,0,1] row_mask:0xf bank_mask:0xf
	v_add_f32_e32 v0, v0, v50
	s_delay_alu instid0(VALU_DEP_1) | instskip(NEXT) | instid1(VALU_DEP_1)
	v_mov_b32_dpp v50, v0 row_xmask:7 row_mask:0xf bank_mask:0xf
	v_add_f32_e32 v0, v0, v50
	s_delay_alu instid0(VALU_DEP_1) | instskip(SKIP_1) | instid1(VALU_DEP_2)
	v_div_scale_f32 v50, null, v51, v51, v0
	v_div_scale_f32 v54, vcc_lo, v0, v51, v0
	v_rcp_f32_e32 v52, v50
	s_waitcnt_depctr 0xfff
	v_fma_f32 v53, -v50, v52, 1.0
	s_delay_alu instid0(VALU_DEP_1) | instskip(NEXT) | instid1(VALU_DEP_1)
	v_fmac_f32_e32 v52, v53, v52
	v_mul_f32_e32 v53, v54, v52
	s_delay_alu instid0(VALU_DEP_1) | instskip(NEXT) | instid1(VALU_DEP_1)
	v_fma_f32 v55, -v50, v53, v54
	v_fmac_f32_e32 v53, v55, v52
	s_delay_alu instid0(VALU_DEP_1) | instskip(NEXT) | instid1(VALU_DEP_1)
	v_fma_f32 v50, -v50, v53, v54
	v_div_fmas_f32 v50, v50, v52, v53
	s_delay_alu instid0(VALU_DEP_1) | instskip(NEXT) | instid1(VALU_DEP_1)
	v_div_fixup_f32 v0, v50, v51, v0
	v_cvt_f64_f32_e32 v[50:51], v0
	s_delay_alu instid0(VALU_DEP_1) | instskip(NEXT) | instid1(VALU_DEP_1)
	v_add_f64 v[50:51], v[50:51], s[10:11]
	v_cvt_f32_f64_e32 v0, v[50:51]
	s_delay_alu instid0(VALU_DEP_1) | instskip(SKIP_1) | instid1(VALU_DEP_2)
	v_mul_f32_e32 v50, 0x4b800000, v0
	v_cmp_gt_f32_e32 vcc_lo, 0x800000, v0
	v_cndmask_b32_e32 v0, v0, v50, vcc_lo
	s_delay_alu instid0(VALU_DEP_1) | instskip(SKIP_2) | instid1(VALU_DEP_1)
	v_rsq_f32_e32 v0, v0
	s_waitcnt_depctr 0xfff
	v_mul_f32_e32 v50, 0x45800000, v0
	v_cndmask_b32_e32 v0, v0, v50, vcc_lo
	s_delay_alu instid0(VALU_DEP_1)
	v_dual_mul_f32 v51, v0, v27 :: v_dual_mul_f32 v34, v34, v0
	v_mul_f32_e32 v27, v0, v30
	v_dual_mul_f32 v35, v35, v0 :: v_dual_mul_f32 v50, v0, v26
	v_dual_mul_f32 v37, v37, v0 :: v_dual_mul_f32 v26, v0, v29
	v_mul_f32_e32 v36, v36, v0
	v_mul_f32_e32 v39, v39, v0
	v_dual_mul_f32 v38, v38, v0 :: v_dual_mul_f32 v29, v0, v21
	v_mul_f32_e32 v41, v0, v41
	v_mul_f32_e32 v40, v0, v40
	;; [unrolled: 1-line block ×21, first 2 shown]
	v_fma_mixlo_f16 v17, v35, v13, 0 op_sel_hi:[0,1,0]
	v_fma_mixlo_f16 v18, v36, v14, 0 op_sel_hi:[0,1,0]
	;; [unrolled: 1-line block ×16, first 2 shown]
	v_fma_mixhi_f16 v20, v41, v16, 0 op_sel:[0,1,0] op_sel_hi:[0,1,0]
	v_fma_mixhi_f16 v19, v39, v15, 0 op_sel:[0,1,0] op_sel_hi:[0,1,0]
	;; [unrolled: 1-line block ×16, first 2 shown]
	buffer_store_b128 v[17:20], v33, s[12:15], 0 offen
	;;#ASMSTART
	s_nop 0
	;;#ASMEND
	buffer_store_b128 v[21:24], v33, s[12:15], s18 offen
	;;#ASMSTART
	s_nop 0
	;;#ASMEND
	;; [unrolled: 4-line block ×4, first 2 shown]
.LBB133_4:
	s_nop 0
	s_sendmsg sendmsg(MSG_DEALLOC_VGPRS)
	s_endpgm
	.section	.rodata,"a",@progbits
	.p2align	6, 0x0
	.amdhsa_kernel _ZN5aiter24add_rmsnorm_quant_kernelIDF16_DF16_Li256ELi32ELb1ELb0ELb1ELi1EEEvPT0_PT_PfS4_S4_S4_diiiiiiib
		.amdhsa_group_segment_fixed_size 32
		.amdhsa_private_segment_fixed_size 0
		.amdhsa_kernarg_size 88
		.amdhsa_user_sgpr_count 15
		.amdhsa_user_sgpr_dispatch_ptr 0
		.amdhsa_user_sgpr_queue_ptr 0
		.amdhsa_user_sgpr_kernarg_segment_ptr 1
		.amdhsa_user_sgpr_dispatch_id 0
		.amdhsa_user_sgpr_private_segment_size 0
		.amdhsa_wavefront_size32 1
		.amdhsa_uses_dynamic_stack 0
		.amdhsa_enable_private_segment 0
		.amdhsa_system_sgpr_workgroup_id_x 1
		.amdhsa_system_sgpr_workgroup_id_y 0
		.amdhsa_system_sgpr_workgroup_id_z 0
		.amdhsa_system_sgpr_workgroup_info 0
		.amdhsa_system_vgpr_workitem_id 0
		.amdhsa_next_free_vgpr 85
		.amdhsa_next_free_sgpr 22
		.amdhsa_reserve_vcc 1
		.amdhsa_float_round_mode_32 0
		.amdhsa_float_round_mode_16_64 0
		.amdhsa_float_denorm_mode_32 3
		.amdhsa_float_denorm_mode_16_64 3
		.amdhsa_dx10_clamp 1
		.amdhsa_ieee_mode 1
		.amdhsa_fp16_overflow 0
		.amdhsa_workgroup_processor_mode 1
		.amdhsa_memory_ordered 1
		.amdhsa_forward_progress 0
		.amdhsa_shared_vgpr_count 0
		.amdhsa_exception_fp_ieee_invalid_op 0
		.amdhsa_exception_fp_denorm_src 0
		.amdhsa_exception_fp_ieee_div_zero 0
		.amdhsa_exception_fp_ieee_overflow 0
		.amdhsa_exception_fp_ieee_underflow 0
		.amdhsa_exception_fp_ieee_inexact 0
		.amdhsa_exception_int_div_zero 0
	.end_amdhsa_kernel
	.section	.text._ZN5aiter24add_rmsnorm_quant_kernelIDF16_DF16_Li256ELi32ELb1ELb0ELb1ELi1EEEvPT0_PT_PfS4_S4_S4_diiiiiiib,"axG",@progbits,_ZN5aiter24add_rmsnorm_quant_kernelIDF16_DF16_Li256ELi32ELb1ELb0ELb1ELi1EEEvPT0_PT_PfS4_S4_S4_diiiiiiib,comdat
.Lfunc_end133:
	.size	_ZN5aiter24add_rmsnorm_quant_kernelIDF16_DF16_Li256ELi32ELb1ELb0ELb1ELi1EEEvPT0_PT_PfS4_S4_S4_diiiiiiib, .Lfunc_end133-_ZN5aiter24add_rmsnorm_quant_kernelIDF16_DF16_Li256ELi32ELb1ELb0ELb1ELi1EEEvPT0_PT_PfS4_S4_S4_diiiiiiib
                                        ; -- End function
	.section	.AMDGPU.csdata,"",@progbits
; Kernel info:
; codeLenInByte = 2416
; NumSgprs: 24
; NumVgprs: 85
; ScratchSize: 0
; MemoryBound: 0
; FloatMode: 240
; IeeeMode: 1
; LDSByteSize: 32 bytes/workgroup (compile time only)
; SGPRBlocks: 2
; VGPRBlocks: 10
; NumSGPRsForWavesPerEU: 24
; NumVGPRsForWavesPerEU: 85
; Occupancy: 16
; WaveLimiterHint : 0
; COMPUTE_PGM_RSRC2:SCRATCH_EN: 0
; COMPUTE_PGM_RSRC2:USER_SGPR: 15
; COMPUTE_PGM_RSRC2:TRAP_HANDLER: 0
; COMPUTE_PGM_RSRC2:TGID_X_EN: 1
; COMPUTE_PGM_RSRC2:TGID_Y_EN: 0
; COMPUTE_PGM_RSRC2:TGID_Z_EN: 0
; COMPUTE_PGM_RSRC2:TIDIG_COMP_CNT: 0
	.section	.text._ZN5aiter24add_rmsnorm_quant_kernelIttLi256ELi32ELb1ELb0ELb1ELi1EEEvPT0_PT_PfS4_S4_S4_diiiiiiib,"axG",@progbits,_ZN5aiter24add_rmsnorm_quant_kernelIttLi256ELi32ELb1ELb0ELb1ELi1EEEvPT0_PT_PfS4_S4_S4_diiiiiiib,comdat
	.protected	_ZN5aiter24add_rmsnorm_quant_kernelIttLi256ELi32ELb1ELb0ELb1ELi1EEEvPT0_PT_PfS4_S4_S4_diiiiiiib ; -- Begin function _ZN5aiter24add_rmsnorm_quant_kernelIttLi256ELi32ELb1ELb0ELb1ELi1EEEvPT0_PT_PfS4_S4_S4_diiiiiiib
	.globl	_ZN5aiter24add_rmsnorm_quant_kernelIttLi256ELi32ELb1ELb0ELb1ELi1EEEvPT0_PT_PfS4_S4_S4_diiiiiiib
	.p2align	8
	.type	_ZN5aiter24add_rmsnorm_quant_kernelIttLi256ELi32ELb1ELb0ELb1ELi1EEEvPT0_PT_PfS4_S4_S4_diiiiiiib,@function
_ZN5aiter24add_rmsnorm_quant_kernelIttLi256ELi32ELb1ELb0ELb1ELi1EEEvPT0_PT_PfS4_S4_S4_diiiiiiib: ; @_ZN5aiter24add_rmsnorm_quant_kernelIttLi256ELi32ELb1ELb0ELb1ELi1EEEvPT0_PT_PfS4_S4_S4_diiiiiiib
; %bb.0:
	s_load_b128 s[16:19], s[0:1], 0x38
	s_mov_b32 s20, s15
	s_mov_b32 s21, 0
	s_waitcnt lgkmcnt(0)
	s_ashr_i32 s3, s16, 31
	s_mov_b32 s2, s16
	s_delay_alu instid0(SALU_CYCLE_1) | instskip(NEXT) | instid1(VALU_DEP_1)
	v_cmp_ge_i64_e64 s2, s[20:21], s[2:3]
	s_and_b32 vcc_lo, exec_lo, s2
	s_cbranch_vccnz .LBB134_4
; %bb.1:
	s_load_b256 s[4:11], s[0:1], 0x18
	s_ashr_i32 s2, s18, 31
	s_mul_hi_u32 s3, s18, s20
	s_mul_i32 s12, s2, s20
	s_mul_i32 s2, s18, s20
	s_add_i32 s3, s3, s12
	v_lshlrev_b32_e32 v1, 6, v0
	s_lshl_b64 s[2:3], s[2:3], 1
	v_lshlrev_b32_e32 v2, 4, v0
	s_mov_b32 s15, -1
	s_movk_i32 s18, 0x200
	v_and_b32_e32 v1, 0xf800, v1
	s_movk_i32 s21, 0x400
	s_movk_i32 s16, 0x600
	s_delay_alu instid0(VALU_DEP_1)
	v_and_or_b32 v21, 0x1f0, v2, v1
	s_waitcnt lgkmcnt(0)
	s_add_u32 s12, s4, s2
	s_addc_u32 s2, s5, s3
	s_add_i32 s3, s17, 1
	s_and_b32 s13, s2, 0xffff
	s_lshr_b32 s4, s3, 31
	s_ashr_i32 s2, s19, 31
	s_add_i32 s3, s3, s4
	s_mul_i32 s4, s2, s20
	s_lshl_b32 s3, s3, 1
	s_mul_i32 s2, s19, s20
	s_and_b32 s14, s3, -4
	s_mul_hi_u32 s3, s19, s20
	s_and_b32 s5, s9, 0xffff
	s_add_i32 s3, s3, s4
	s_clause 0x1
	buffer_load_b128 v[22:25], v21, s[12:15], 0 offen glc slc
	buffer_load_b128 v[34:37], v21, s[12:15], s16 offen glc slc
	s_lshl_b64 s[2:3], s[2:3], 1
	s_clause 0x1
	buffer_load_b128 v[26:29], v21, s[12:15], s18 offen glc slc
	buffer_load_b128 v[30:33], v21, s[12:15], s21 offen glc slc
	s_add_u32 s12, s6, s2
	s_addc_u32 s2, s7, s3
	s_mov_b32 s7, s15
	s_and_b32 s13, s2, 0xffff
	s_clause 0x3
	buffer_load_b128 v[38:41], v21, s[12:15], 0 offen glc slc
	buffer_load_b128 v[42:45], v21, s[12:15], s18 offen glc slc
	;; [unrolled: 1-line block ×4, first 2 shown]
	s_mov_b32 s4, s8
	s_mov_b32 s6, s14
	s_clause 0x3
	buffer_load_b128 v[13:16], v21, s[4:7], 0 offen
	buffer_load_b128 v[9:12], v21, s[4:7], s18 offen
	;; [unrolled: 1-line block ×4, first 2 shown]
	s_clause 0x1
	s_load_b64 s[4:5], s[0:1], 0x48
	s_load_b128 s[0:3], s[0:1], 0x0
	s_waitcnt lgkmcnt(0)
	s_ashr_i32 s6, s4, 31
	s_mul_hi_u32 s7, s4, s20
	s_mul_i32 s8, s6, s20
	s_mul_i32 s6, s4, s20
	s_add_i32 s7, s7, s8
	s_delay_alu instid0(SALU_CYCLE_1) | instskip(NEXT) | instid1(SALU_CYCLE_1)
	s_lshl_b64 s[6:7], s[6:7], 1
	s_add_u32 s12, s2, s6
	s_addc_u32 s2, s3, s7
	s_delay_alu instid0(SALU_CYCLE_1)
	s_and_b32 s13, s2, 0xffff
	s_mov_b32 s2, exec_lo
	s_waitcnt vmcnt(11)
	v_and_b32_e32 v53, 0xffff, v24
	v_lshrrev_b32_e32 v54, 16, v24
	v_lshrrev_b32_e32 v52, 16, v23
	s_waitcnt vmcnt(9)
	v_and_b32_e32 v61, 0xffff, v28
	s_waitcnt vmcnt(8)
	v_and_b32_e32 v65, 0xffff, v30
	v_lshrrev_b32_e32 v66, 16, v30
	v_lshrrev_b32_e32 v62, 16, v28
	s_waitcnt vmcnt(7)
	v_and_b32_e32 v30, 0xffff, v41
	v_lshrrev_b32_e32 v64, 16, v29
	v_lshrrev_b32_e32 v28, 16, v39
	;; [unrolled: 1-line block ×3, first 2 shown]
	v_and_b32_e32 v55, 0xffff, v25
	v_cvt_f32_u32_e32 v30, v30
	v_and_b32_e32 v63, 0xffff, v29
	v_and_b32_e32 v29, 0xffff, v40
	v_cvt_f32_u32_e32 v28, v28
	v_and_b32_e32 v24, 0xffff, v38
	v_lshrrev_b32_e32 v56, 16, v25
	v_lshrrev_b32_e32 v60, 16, v27
	v_cvt_f32_u32_e32 v29, v29
	v_and_b32_e32 v57, 0xffff, v26
	v_and_b32_e32 v26, 0xffff, v39
	v_cvt_f32_u32_e32 v24, v24
	v_and_b32_e32 v50, 0xffff, v22
	v_lshrrev_b32_e32 v22, 16, v22
	v_lshrrev_b32_e32 v68, 16, v31
	v_cvt_f32_u32_e32 v26, v26
	v_and_b32_e32 v51, 0xffff, v23
	v_lshrrev_b32_e32 v23, 16, v38
	v_cvt_f32_u32_e32 v22, v22
	v_cvt_f32_u32_e32 v25, v50
	v_lshrrev_b32_e32 v70, 16, v32
	v_lshrrev_b32_e32 v72, 16, v33
	v_cvt_f32_u32_e32 v23, v23
	v_lshrrev_b32_e32 v74, 16, v34
	s_waitcnt vmcnt(6)
	v_lshrrev_b32_e32 v38, 16, v44
	v_lshrrev_b32_e32 v76, 16, v35
	;; [unrolled: 1-line block ×3, first 2 shown]
	v_dual_add_f32 v22, v22, v23 :: v_dual_add_f32 v23, v25, v24
	v_cvt_f32_u32_e32 v25, v52
	v_cvt_f32_u32_e32 v38, v38
	v_lshrrev_b32_e32 v80, 16, v37
	s_delay_alu instid0(VALU_DEP_4)
	v_mul_f32_e32 v50, v22, v22
	s_waitcnt vmcnt(4)
	v_dual_add_f32 v25, v25, v28 :: v_dual_and_b32 v52, 0xffff, v19
	v_and_b32_e32 v59, 0xffff, v27
	v_cvt_f32_u32_e32 v27, v51
	v_fmac_f32_e32 v50, v23, v23
	v_cvt_f32_u32_e32 v28, v54
	v_cvt_f32_u32_e32 v52, v52
	s_delay_alu instid0(VALU_DEP_4) | instskip(SKIP_3) | instid1(VALU_DEP_4)
	v_add_f32_e32 v24, v27, v26
	v_cvt_f32_u32_e32 v26, v53
	v_lshrrev_b32_e32 v27, 16, v40
	v_lshrrev_b32_e32 v53, 16, v20
	v_fmac_f32_e32 v50, v24, v24
	s_delay_alu instid0(VALU_DEP_4) | instskip(NEXT) | instid1(VALU_DEP_4)
	v_add_f32_e32 v26, v26, v29
	v_cvt_f32_u32_e32 v27, v27
	v_cvt_f32_u32_e32 v29, v55
	;; [unrolled: 1-line block ×3, first 2 shown]
	s_delay_alu instid0(VALU_DEP_3) | instskip(NEXT) | instid1(VALU_DEP_3)
	v_dual_fmac_f32 v50, v25, v25 :: v_dual_add_f32 v27, v28, v27
	v_add_f32_e32 v28, v29, v30
	v_cvt_f32_u32_e32 v29, v57
	s_delay_alu instid0(VALU_DEP_3) | instskip(NEXT) | instid1(VALU_DEP_1)
	v_fmac_f32_e32 v50, v26, v26
	v_fmac_f32_e32 v50, v27, v27
	v_and_b32_e32 v67, 0xffff, v31
	v_lshrrev_b32_e32 v31, 16, v41
	s_delay_alu instid0(VALU_DEP_3) | instskip(NEXT) | instid1(VALU_DEP_2)
	v_fmac_f32_e32 v50, v28, v28
	v_cvt_f32_u32_e32 v31, v31
	v_and_b32_e32 v69, 0xffff, v32
	v_cvt_f32_u32_e32 v32, v56
	s_delay_alu instid0(VALU_DEP_1) | instskip(SKIP_3) | instid1(VALU_DEP_4)
	v_dual_add_f32 v30, v32, v31 :: v_dual_and_b32 v71, 0xffff, v33
	v_and_b32_e32 v33, 0xffff, v42
	v_cvt_f32_u32_e32 v31, v58
	v_and_b32_e32 v32, 0xffff, v43
	v_fmac_f32_e32 v50, v30, v30
	v_perm_b32 v54, v30, v28, 0x7060302
	v_cvt_f32_u32_e32 v33, v33
	s_delay_alu instid0(VALU_DEP_4) | instskip(NEXT) | instid1(VALU_DEP_2)
	v_cvt_f32_u32_e32 v32, v32
	v_add_f32_e32 v29, v29, v33
	v_and_b32_e32 v73, 0xffff, v34
	v_lshrrev_b32_e32 v34, 16, v42
	v_cvt_f32_u32_e32 v33, v59
	v_and_b32_e32 v75, 0xffff, v35
	v_lshrrev_b32_e32 v35, 16, v43
	v_fmac_f32_e32 v50, v29, v29
	v_cvt_f32_u32_e32 v34, v34
	v_add_f32_e32 v32, v33, v32
	v_lshrrev_b32_e32 v42, 16, v46
	v_cvt_f32_u32_e32 v35, v35
	v_lshrrev_b32_e32 v43, 16, v47
	v_add_f32_e32 v31, v31, v34
	v_and_b32_e32 v77, 0xffff, v36
	v_cvt_f32_u32_e32 v34, v60
	v_and_b32_e32 v36, 0xffff, v44
	v_cvt_f32_u32_e32 v42, v42
	v_dual_fmac_f32 v50, v31, v31 :: v_dual_and_b32 v79, 0xffff, v37
	v_cvt_f32_u32_e32 v37, v61
	v_add_f32_e32 v33, v34, v35
	v_cvt_f32_u32_e32 v36, v36
	s_delay_alu instid0(VALU_DEP_4)
	v_fmac_f32_e32 v50, v32, v32
	v_cvt_f32_u32_e32 v35, v62
	v_and_b32_e32 v44, 0xffff, v48
	v_cvt_f32_u32_e32 v43, v43
	v_add_f32_e32 v34, v37, v36
	v_fmac_f32_e32 v50, v33, v33
	v_and_b32_e32 v39, 0xffff, v45
	v_cvt_f32_u32_e32 v36, v63
	v_lshrrev_b32_e32 v37, 16, v45
	v_add_f32_e32 v35, v35, v38
	v_fmac_f32_e32 v50, v34, v34
	v_cvt_f32_u32_e32 v39, v39
	v_cvt_f32_u32_e32 v38, v64
	v_and_b32_e32 v40, 0xffff, v46
	v_cvt_f32_u32_e32 v41, v37
	v_fmac_f32_e32 v50, v35, v35
	v_add_f32_e32 v37, v36, v39
	v_cvt_f32_u32_e32 v36, v65
	v_cvt_f32_u32_e32 v40, v40
	v_add_f32_e32 v39, v38, v41
	v_cvt_f32_u32_e32 v38, v66
	v_dual_fmac_f32 v50, v37, v37 :: v_dual_and_b32 v41, 0xffff, v47
	v_lshrrev_b32_e32 v46, 16, v48
	v_and_b32_e32 v48, 0xffff, v17
	v_cvt_f32_u32_e32 v45, v69
	s_delay_alu instid0(VALU_DEP_4)
	v_dual_fmac_f32 v50, v39, v39 :: v_dual_and_b32 v47, 0xffff, v49
	v_cvt_f32_u32_e32 v41, v41
	v_cvt_f32_u32_e32 v44, v44
	;; [unrolled: 1-line block ×3, first 2 shown]
	v_add_f32_e32 v38, v38, v42
	v_cvt_f32_u32_e32 v42, v68
	v_add_f32_e32 v36, v36, v40
	v_cvt_f32_u32_e32 v40, v67
	v_cvt_f32_u32_e32 v46, v46
	;; [unrolled: 1-line block ×3, first 2 shown]
	v_lshrrev_b32_e32 v17, 16, v17
	v_perm_b32 v58, v39, v37, 0x7060302
	v_dual_add_f32 v40, v40, v41 :: v_dual_add_f32 v41, v42, v43
	v_cvt_f32_u32_e32 v43, v70
	v_add_f32_e32 v42, v45, v44
	v_cvt_f32_u32_e32 v44, v71
	v_lshrrev_b32_e32 v45, 16, v49
	v_dual_fmac_f32 v50, v36, v36 :: v_dual_and_b32 v49, 0xffff, v18
	v_add_f32_e32 v43, v43, v46
	v_cvt_f32_u32_e32 v46, v72
	s_delay_alu instid0(VALU_DEP_4)
	v_cvt_f32_u32_e32 v45, v45
	v_add_f32_e32 v44, v44, v47
	v_cvt_f32_u32_e32 v47, v73
	v_cvt_f32_u32_e32 v51, v17
	;; [unrolled: 1-line block ×3, first 2 shown]
	v_add_f32_e32 v45, v46, v45
	v_cvt_f32_u32_e32 v46, v74
	v_add_f32_e32 v17, v47, v48
	v_cvt_f32_u32_e32 v47, v75
	v_lshrrev_b32_e32 v48, 16, v18
	s_delay_alu instid0(VALU_DEP_4) | instskip(SKIP_1) | instid1(VALU_DEP_4)
	v_dual_add_f32 v18, v46, v51 :: v_dual_and_b32 v67, 31, v0
	v_cvt_f32_u32_e32 v51, v76
	v_add_f32_e32 v46, v47, v49
	s_delay_alu instid0(VALU_DEP_4)
	v_cvt_f32_u32_e32 v48, v48
	v_lshrrev_b32_e32 v49, 16, v19
	v_fmac_f32_e32 v50, v38, v38
	v_cvt_f32_u32_e32 v47, v77
	v_perm_b32 v57, v35, v34, 0x7060302
	v_add_f32_e32 v19, v51, v48
	v_cvt_f32_u32_e32 v48, v78
	v_cvt_f32_u32_e32 v49, v49
	v_and_b32_e32 v51, 0xffff, v20
	v_add_f32_e32 v47, v47, v52
	v_cvt_f32_u32_e32 v52, v79
	v_perm_b32 v56, v33, v32, 0x7060302
	v_add_f32_e32 v20, v48, v49
	v_cvt_f32_u32_e32 v49, v80
	v_fmac_f32_e32 v50, v40, v40
	v_cvt_f32_u32_e32 v51, v51
	v_perm_b32 v55, v31, v29, 0x7060302
	v_perm_b32 v62, v45, v44, 0x7060302
	v_add_f32_e32 v49, v49, v53
	v_fmac_f32_e32 v50, v41, v41
	v_add_f32_e32 v48, v52, v51
	v_perm_b32 v53, v27, v26, 0x7060302
	v_perm_b32 v52, v25, v24, 0x7060302
	;; [unrolled: 1-line block ×3, first 2 shown]
	v_fmac_f32_e32 v50, v42, v42
	v_perm_b32 v60, v41, v40, 0x7060302
	v_perm_b32 v66, v49, v48, 0x7060302
	;; [unrolled: 1-line block ×4, first 2 shown]
	v_fmac_f32_e32 v50, v43, v43
	v_perm_b32 v63, v18, v17, 0x7060302
	s_delay_alu instid0(VALU_DEP_2) | instskip(NEXT) | instid1(VALU_DEP_1)
	v_fmac_f32_e32 v50, v44, v44
	v_fmac_f32_e32 v50, v45, v45
	s_delay_alu instid0(VALU_DEP_1) | instskip(NEXT) | instid1(VALU_DEP_1)
	v_fmac_f32_e32 v50, v17, v17
	v_fmac_f32_e32 v50, v18, v18
	s_delay_alu instid0(VALU_DEP_1) | instskip(NEXT) | instid1(VALU_DEP_1)
	;; [unrolled: 3-line block ×5, first 2 shown]
	v_mov_b32_dpp v51, v50 quad_perm:[1,0,3,2] row_mask:0xf bank_mask:0xf
	v_add_f32_e32 v50, v50, v51
	v_perm_b32 v51, v22, v23, 0x7060302
	s_delay_alu instid0(VALU_DEP_2)
	v_mov_b32_dpp v59, v50 quad_perm:[2,3,0,1] row_mask:0xf bank_mask:0xf
	buffer_store_b128 v[51:54], v21, s[12:15], 0 offen glc slc
	;;#ASMSTART
	s_nop 0
	;;#ASMEND
	buffer_store_b128 v[55:58], v21, s[12:15], s18 offen glc slc
	;;#ASMSTART
	s_nop 0
	;;#ASMEND
	v_add_f32_e32 v50, v50, v59
	v_perm_b32 v59, v38, v36, 0x7060302
	s_delay_alu instid0(VALU_DEP_2)
	v_mov_b32_dpp v68, v50 row_xmask:7 row_mask:0xf bank_mask:0xf
	buffer_store_b128 v[59:62], v21, s[12:15], s21 offen glc slc
	;;#ASMSTART
	s_nop 0
	;;#ASMEND
	buffer_store_b128 v[63:66], v21, s[12:15], s16 offen glc slc
	;;#ASMSTART
	s_nop 0
	;;#ASMEND
	v_add_f32_e32 v50, v50, v68
	s_delay_alu instid0(VALU_DEP_1)
	v_mov_b32_dpp v51, v50 row_xmask:15 row_mask:0xf bank_mask:0xf
	v_cmpx_eq_u32_e32 31, v67
	s_cbranch_execz .LBB134_3
; %bb.2:
	s_delay_alu instid0(VALU_DEP_2) | instskip(SKIP_2) | instid1(VALU_DEP_2)
	v_add_f32_e32 v50, v50, v51
	s_mov_b32 s3, 0x76543210
	v_lshrrev_b32_e32 v51, 3, v0
	v_permlanex16_b32 v52, v50, s3, 0xfedcba98 op_sel:[1,1]
	s_delay_alu instid0(VALU_DEP_1)
	v_dual_add_f32 v50, v50, v52 :: v_dual_and_b32 v51, 0x7c, v51
	ds_store_b32 v51, v50
.LBB134_3:
	s_or_b32 exec_lo, exec_lo, s2
	v_and_b32_e32 v0, 7, v0
	s_waitcnt vmcnt(0) lgkmcnt(0)
	s_waitcnt_vscnt null, 0x0
	s_barrier
	buffer_gl0_inv
	v_cvt_f32_i32_e32 v51, s17
	v_lshlrev_b32_e32 v0, 2, v0
	v_lshrrev_b32_e32 v56, 16, v11
	v_lshrrev_b32_e32 v57, 16, v12
	;; [unrolled: 1-line block ×4, first 2 shown]
	ds_load_b32 v0, v0
	v_lshrrev_b32_e32 v60, 16, v7
	v_lshrrev_b32_e32 v61, 16, v8
	;; [unrolled: 1-line block ×6, first 2 shown]
	v_cvt_f32_u32_e32 v56, v56
	v_cvt_f32_u32_e32 v57, v57
	;; [unrolled: 1-line block ×10, first 2 shown]
	s_ashr_i32 s3, s5, 31
	s_mul_hi_u32 s4, s5, s20
	s_mul_i32 s3, s3, s20
	s_waitcnt lgkmcnt(0)
	v_mov_b32_dpp v50, v0 quad_perm:[1,0,3,2] row_mask:0xf bank_mask:0xf
	s_mul_i32 s2, s5, s20
	s_add_i32 s3, s4, s3
	s_delay_alu instid0(SALU_CYCLE_1) | instskip(NEXT) | instid1(VALU_DEP_1)
	s_lshl_b64 s[2:3], s[2:3], 1
	v_add_f32_e32 v0, v0, v50
	s_add_u32 s12, s0, s2
	s_addc_u32 s0, s1, s3
	s_delay_alu instid0(SALU_CYCLE_1) | instskip(NEXT) | instid1(VALU_DEP_1)
	s_and_b32 s13, s0, 0xffff
	v_mov_b32_dpp v50, v0 quad_perm:[2,3,0,1] row_mask:0xf bank_mask:0xf
	s_delay_alu instid0(VALU_DEP_1) | instskip(NEXT) | instid1(VALU_DEP_1)
	v_add_f32_e32 v0, v0, v50
	v_mov_b32_dpp v50, v0 row_xmask:7 row_mask:0xf bank_mask:0xf
	s_delay_alu instid0(VALU_DEP_1) | instskip(NEXT) | instid1(VALU_DEP_1)
	v_add_f32_e32 v0, v0, v50
	v_div_scale_f32 v50, null, v51, v51, v0
	v_div_scale_f32 v54, vcc_lo, v0, v51, v0
	s_delay_alu instid0(VALU_DEP_2) | instskip(SKIP_2) | instid1(VALU_DEP_1)
	v_rcp_f32_e32 v52, v50
	s_waitcnt_depctr 0xfff
	v_fma_f32 v53, -v50, v52, 1.0
	v_fmac_f32_e32 v52, v53, v52
	s_delay_alu instid0(VALU_DEP_1) | instskip(NEXT) | instid1(VALU_DEP_1)
	v_mul_f32_e32 v53, v54, v52
	v_fma_f32 v55, -v50, v53, v54
	s_delay_alu instid0(VALU_DEP_1) | instskip(SKIP_1) | instid1(VALU_DEP_2)
	v_fmac_f32_e32 v53, v55, v52
	v_lshrrev_b32_e32 v55, 16, v9
	v_fma_f32 v50, -v50, v53, v54
	v_lshrrev_b32_e32 v54, 16, v16
	s_delay_alu instid0(VALU_DEP_3) | instskip(NEXT) | instid1(VALU_DEP_3)
	v_cvt_f32_u32_e32 v55, v55
	v_div_fmas_f32 v50, v50, v52, v53
	v_lshrrev_b32_e32 v52, 16, v14
	v_lshrrev_b32_e32 v53, 16, v15
	v_and_b32_e32 v15, 0xffff, v15
	v_cvt_f32_u32_e32 v54, v54
	v_div_fixup_f32 v0, v50, v51, v0
	v_cvt_f32_u32_e32 v52, v52
	v_cvt_f32_u32_e32 v53, v53
	;; [unrolled: 1-line block ×3, first 2 shown]
	s_delay_alu instid0(VALU_DEP_4) | instskip(SKIP_2) | instid1(VALU_DEP_2)
	v_cvt_f64_f32_e32 v[50:51], v0
	v_lshrrev_b32_e32 v0, 16, v13
	v_and_b32_e32 v13, 0xffff, v13
	v_cvt_f32_u32_e32 v0, v0
	s_delay_alu instid0(VALU_DEP_2) | instskip(SKIP_1) | instid1(VALU_DEP_1)
	v_cvt_f32_u32_e32 v13, v13
	v_add_f64 v[50:51], v[50:51], s[10:11]
	v_cvt_f32_f64_e32 v50, v[50:51]
	v_lshrrev_b32_e32 v51, 16, v10
	s_delay_alu instid0(VALU_DEP_1) | instskip(NEXT) | instid1(VALU_DEP_3)
	v_cvt_f32_u32_e32 v51, v51
	v_mul_f32_e32 v66, 0x4b800000, v50
	v_cmp_gt_f32_e32 vcc_lo, 0x800000, v50
	s_delay_alu instid0(VALU_DEP_2) | instskip(NEXT) | instid1(VALU_DEP_1)
	v_dual_cndmask_b32 v50, v50, v66 :: v_dual_and_b32 v9, 0xffff, v9
	v_cvt_f32_u32_e32 v9, v9
	s_delay_alu instid0(VALU_DEP_2) | instskip(SKIP_2) | instid1(VALU_DEP_1)
	v_rsq_f32_e32 v50, v50
	s_waitcnt_depctr 0xfff
	v_mul_f32_e32 v66, 0x45800000, v50
	v_dual_cndmask_b32 v50, v50, v66 :: v_dual_and_b32 v11, 0xffff, v11
	v_and_b32_e32 v14, 0xffff, v14
	v_and_b32_e32 v16, 0xffff, v16
	;; [unrolled: 1-line block ×3, first 2 shown]
	s_delay_alu instid0(VALU_DEP_4)
	v_dual_mul_f32 v35, v50, v35 :: v_dual_and_b32 v12, 0xffff, v12
	v_dual_mul_f32 v22, v22, v50 :: v_dual_and_b32 v5, 0xffff, v5
	;; [unrolled: 1-line block ×9, first 2 shown]
	v_mul_f32_e32 v23, v23, v50
	v_mul_f32_e32 v25, v25, v50
	;; [unrolled: 1-line block ×3, first 2 shown]
	v_cvt_f32_u32_e32 v16, v16
	s_delay_alu instid0(VALU_DEP_4)
	v_dual_mul_f32 v28, v50, v28 :: v_dual_mul_f32 v13, v23, v13
	v_mul_f32_e32 v39, v50, v39
	v_cvt_f32_u32_e32 v14, v14
	v_mul_f32_e32 v37, v50, v37
	v_cvt_f32_u32_e32 v10, v10
	v_dual_mul_f32 v32, v50, v32 :: v_dual_mul_f32 v9, v29, v9
	v_cvt_f32_u32_e32 v11, v11
	v_cvt_f32_u32_e32 v12, v12
	;; [unrolled: 1-line block ×10, first 2 shown]
	v_dual_mul_f32 v34, v50, v34 :: v_dual_mul_f32 v23, v27, v53
	v_mul_f32_e32 v44, v50, v44
	v_mul_f32_e32 v43, v50, v43
	v_dual_mul_f32 v42, v50, v42 :: v_dual_mul_f32 v27, v35, v56
	v_mul_f32_e32 v41, v50, v41
	v_dual_mul_f32 v38, v50, v38 :: v_dual_mul_f32 v35, v45, v61
	v_mul_f32_e32 v36, v50, v36
	v_mul_f32_e32 v40, v50, v40
	v_dual_mul_f32 v49, v50, v49 :: v_dual_mul_f32 v14, v24, v14
	v_mul_f32_e32 v47, v50, v47
	;; [unrolled: 5-line block ×3, first 2 shown]
	v_mul_f32_e32 v0, v22, v0
	v_mul_f32_e32 v22, v25, v52
	s_delay_alu instid0(VALU_DEP_4)
	v_dual_mul_f32 v17, v17, v1 :: v_dual_mul_f32 v46, v50, v46
	v_dual_mul_f32 v15, v26, v15 :: v_dual_mul_f32 v12, v37, v12
	;; [unrolled: 1-line block ×3, first 2 shown]
	v_mul_f32_e32 v26, v33, v51
	v_dual_mul_f32 v11, v34, v11 :: v_dual_mul_f32 v28, v39, v57
	v_dual_mul_f32 v29, v36, v5 :: v_dual_mul_f32 v30, v38, v58
	;; [unrolled: 1-line block ×6, first 2 shown]
	v_mul_f32_e32 v20, v20, v64
	v_dual_mul_f32 v38, v48, v4 :: v_dual_mul_f32 v39, v49, v65
	v_mul_f32_e32 v18, v18, v62
	v_perm_b32 v3, v24, v16, 0x7060302
	v_perm_b32 v2, v23, v15, 0x7060302
	;; [unrolled: 1-line block ×16, first 2 shown]
	buffer_store_b128 v[0:3], v21, s[12:15], 0 offen
	;;#ASMSTART
	s_nop 0
	;;#ASMEND
	buffer_store_b128 v[4:7], v21, s[12:15], s18 offen
	;;#ASMSTART
	s_nop 0
	;;#ASMEND
	buffer_store_b128 v[8:11], v21, s[12:15], s21 offen
	;;#ASMSTART
	s_nop 0
	;;#ASMEND
	buffer_store_b128 v[12:15], v21, s[12:15], s16 offen
	;;#ASMSTART
	s_nop 0
	;;#ASMEND
.LBB134_4:
	s_nop 0
	s_sendmsg sendmsg(MSG_DEALLOC_VGPRS)
	s_endpgm
	.section	.rodata,"a",@progbits
	.p2align	6, 0x0
	.amdhsa_kernel _ZN5aiter24add_rmsnorm_quant_kernelIttLi256ELi32ELb1ELb0ELb1ELi1EEEvPT0_PT_PfS4_S4_S4_diiiiiiib
		.amdhsa_group_segment_fixed_size 32
		.amdhsa_private_segment_fixed_size 0
		.amdhsa_kernarg_size 88
		.amdhsa_user_sgpr_count 15
		.amdhsa_user_sgpr_dispatch_ptr 0
		.amdhsa_user_sgpr_queue_ptr 0
		.amdhsa_user_sgpr_kernarg_segment_ptr 1
		.amdhsa_user_sgpr_dispatch_id 0
		.amdhsa_user_sgpr_private_segment_size 0
		.amdhsa_wavefront_size32 1
		.amdhsa_uses_dynamic_stack 0
		.amdhsa_enable_private_segment 0
		.amdhsa_system_sgpr_workgroup_id_x 1
		.amdhsa_system_sgpr_workgroup_id_y 0
		.amdhsa_system_sgpr_workgroup_id_z 0
		.amdhsa_system_sgpr_workgroup_info 0
		.amdhsa_system_vgpr_workitem_id 0
		.amdhsa_next_free_vgpr 81
		.amdhsa_next_free_sgpr 22
		.amdhsa_reserve_vcc 1
		.amdhsa_float_round_mode_32 0
		.amdhsa_float_round_mode_16_64 0
		.amdhsa_float_denorm_mode_32 3
		.amdhsa_float_denorm_mode_16_64 3
		.amdhsa_dx10_clamp 1
		.amdhsa_ieee_mode 1
		.amdhsa_fp16_overflow 0
		.amdhsa_workgroup_processor_mode 1
		.amdhsa_memory_ordered 1
		.amdhsa_forward_progress 0
		.amdhsa_shared_vgpr_count 0
		.amdhsa_exception_fp_ieee_invalid_op 0
		.amdhsa_exception_fp_denorm_src 0
		.amdhsa_exception_fp_ieee_div_zero 0
		.amdhsa_exception_fp_ieee_overflow 0
		.amdhsa_exception_fp_ieee_underflow 0
		.amdhsa_exception_fp_ieee_inexact 0
		.amdhsa_exception_int_div_zero 0
	.end_amdhsa_kernel
	.section	.text._ZN5aiter24add_rmsnorm_quant_kernelIttLi256ELi32ELb1ELb0ELb1ELi1EEEvPT0_PT_PfS4_S4_S4_diiiiiiib,"axG",@progbits,_ZN5aiter24add_rmsnorm_quant_kernelIttLi256ELi32ELb1ELb0ELb1ELi1EEEvPT0_PT_PfS4_S4_S4_diiiiiiib,comdat
.Lfunc_end134:
	.size	_ZN5aiter24add_rmsnorm_quant_kernelIttLi256ELi32ELb1ELb0ELb1ELi1EEEvPT0_PT_PfS4_S4_S4_diiiiiiib, .Lfunc_end134-_ZN5aiter24add_rmsnorm_quant_kernelIttLi256ELi32ELb1ELb0ELb1ELi1EEEvPT0_PT_PfS4_S4_S4_diiiiiiib
                                        ; -- End function
	.section	.AMDGPU.csdata,"",@progbits
; Kernel info:
; codeLenInByte = 3052
; NumSgprs: 24
; NumVgprs: 81
; ScratchSize: 0
; MemoryBound: 0
; FloatMode: 240
; IeeeMode: 1
; LDSByteSize: 32 bytes/workgroup (compile time only)
; SGPRBlocks: 2
; VGPRBlocks: 10
; NumSGPRsForWavesPerEU: 24
; NumVGPRsForWavesPerEU: 81
; Occupancy: 16
; WaveLimiterHint : 0
; COMPUTE_PGM_RSRC2:SCRATCH_EN: 0
; COMPUTE_PGM_RSRC2:USER_SGPR: 15
; COMPUTE_PGM_RSRC2:TRAP_HANDLER: 0
; COMPUTE_PGM_RSRC2:TGID_X_EN: 1
; COMPUTE_PGM_RSRC2:TGID_Y_EN: 0
; COMPUTE_PGM_RSRC2:TGID_Z_EN: 0
; COMPUTE_PGM_RSRC2:TIDIG_COMP_CNT: 0
	.section	.text._ZN5aiter24add_rmsnorm_quant_kernelIDF16_DF16_Li256ELi32ELb1ELb0ELb0ELi1EEEvPT0_PT_PfS4_S4_S4_diiiiiiib,"axG",@progbits,_ZN5aiter24add_rmsnorm_quant_kernelIDF16_DF16_Li256ELi32ELb1ELb0ELb0ELi1EEEvPT0_PT_PfS4_S4_S4_diiiiiiib,comdat
	.protected	_ZN5aiter24add_rmsnorm_quant_kernelIDF16_DF16_Li256ELi32ELb1ELb0ELb0ELi1EEEvPT0_PT_PfS4_S4_S4_diiiiiiib ; -- Begin function _ZN5aiter24add_rmsnorm_quant_kernelIDF16_DF16_Li256ELi32ELb1ELb0ELb0ELi1EEEvPT0_PT_PfS4_S4_S4_diiiiiiib
	.globl	_ZN5aiter24add_rmsnorm_quant_kernelIDF16_DF16_Li256ELi32ELb1ELb0ELb0ELi1EEEvPT0_PT_PfS4_S4_S4_diiiiiiib
	.p2align	8
	.type	_ZN5aiter24add_rmsnorm_quant_kernelIDF16_DF16_Li256ELi32ELb1ELb0ELb0ELi1EEEvPT0_PT_PfS4_S4_S4_diiiiiiib,@function
_ZN5aiter24add_rmsnorm_quant_kernelIDF16_DF16_Li256ELi32ELb1ELb0ELb0ELi1EEEvPT0_PT_PfS4_S4_S4_diiiiiiib: ; @_ZN5aiter24add_rmsnorm_quant_kernelIDF16_DF16_Li256ELi32ELb1ELb0ELb0ELi1EEEvPT0_PT_PfS4_S4_S4_diiiiiiib
; %bb.0:
	s_load_b128 s[16:19], s[0:1], 0x38
	s_mov_b32 s20, s15
	s_mov_b32 s21, 0
	s_waitcnt lgkmcnt(0)
	s_ashr_i32 s3, s16, 31
	s_mov_b32 s2, s16
	s_delay_alu instid0(SALU_CYCLE_1) | instskip(NEXT) | instid1(VALU_DEP_1)
	v_cmp_ge_i64_e64 s2, s[20:21], s[2:3]
	s_and_b32 vcc_lo, exec_lo, s2
	s_cbranch_vccnz .LBB135_4
; %bb.1:
	s_load_b256 s[4:11], s[0:1], 0x18
	s_ashr_i32 s2, s18, 31
	s_mul_hi_u32 s3, s18, s20
	s_mul_i32 s12, s2, s20
	s_mul_i32 s2, s18, s20
	s_add_i32 s3, s3, s12
	v_lshlrev_b32_e32 v33, 6, v0
	s_lshl_b64 s[2:3], s[2:3], 1
	s_mov_b32 s15, -1
	s_waitcnt lgkmcnt(0)
	s_add_u32 s12, s4, s2
	s_addc_u32 s2, s5, s3
	s_add_i32 s3, s17, 1
	s_mul_hi_u32 s5, s19, s20
	s_lshr_b32 s4, s3, 31
	s_and_b32 s13, s2, 0xffff
	s_add_i32 s3, s3, s4
	s_ashr_i32 s4, s19, 31
	s_lshl_b32 s3, s3, 1
	s_mul_i32 s4, s4, s20
	s_and_b32 s14, s3, -4
	s_mul_i32 s2, s19, s20
	s_add_i32 s3, s5, s4
	s_and_b32 s5, s9, 0xffff
	s_lshl_b64 s[2:3], s[2:3], 1
	s_clause 0x3
	buffer_load_b128 v[34:37], v33, s[12:15], 0 offen
	buffer_load_b128 v[38:41], v33, s[12:15], 16 offen
	;; [unrolled: 1-line block ×4, first 2 shown]
	s_add_u32 s12, s6, s2
	s_addc_u32 s2, s7, s3
	s_mov_b32 s7, s15
	s_and_b32 s13, s2, 0xffff
	s_clause 0x3
	buffer_load_b128 v[46:49], v33, s[12:15], 0 offen
	buffer_load_b128 v[29:32], v33, s[12:15], 16 offen
	;; [unrolled: 1-line block ×4, first 2 shown]
	s_mov_b32 s4, s8
	s_mov_b32 s6, s14
	s_waitcnt vmcnt(6)
	v_lshrrev_b32_e32 v58, 16, v38
	v_lshrrev_b32_e32 v50, 16, v34
	v_cvt_f32_f16_e32 v51, v34
	v_lshrrev_b32_e32 v52, 16, v35
	v_cvt_f32_f16_e32 v53, v35
	s_waitcnt vmcnt(3)
	v_lshrrev_b32_e32 v34, 16, v46
	v_cvt_f32_f16_e32 v35, v50
	v_lshrrev_b32_e32 v54, 16, v36
	v_cvt_f32_f16_e32 v55, v36
	;; [unrolled: 2-line block ×3, first 2 shown]
	v_cvt_f32_f16_e32 v57, v37
	v_cvt_f32_f16_e32 v59, v38
	;; [unrolled: 1-line block ×3, first 2 shown]
	v_lshrrev_b32_e32 v37, 16, v47
	v_add_f32_e32 v34, v35, v34
	s_clause 0x3
	buffer_load_b128 v[13:16], v33, s[4:7], 0 offen
	buffer_load_b128 v[9:12], v33, s[4:7], 16 offen
	buffer_load_b128 v[5:8], v33, s[4:7], 32 offen
	buffer_load_b128 v[1:4], v33, s[4:7], 48 offen
	v_cvt_f32_f16_e32 v38, v47
	v_and_b32_e32 v67, 31, v0
	v_lshrrev_b32_e32 v60, 16, v39
	v_cvt_f32_f16_e32 v61, v39
	v_lshrrev_b32_e32 v62, 16, v40
	v_cvt_f32_f16_e32 v63, v40
	v_add_f32_e32 v35, v51, v36
	v_cvt_f32_f16_e32 v39, v52
	v_cvt_f32_f16_e32 v37, v37
	v_add_f32_e32 v36, v53, v38
	v_lshrrev_b32_e32 v38, 16, v48
	v_cvt_f32_f16_e32 v40, v48
	v_lshrrev_b32_e32 v64, 16, v41
	v_cvt_f32_f16_e32 v65, v41
	v_lshrrev_b32_e32 v50, 16, v42
	v_mul_f32_e32 v51, v34, v34
	v_add_f32_e32 v37, v39, v37
	v_cvt_f32_f16_e32 v39, v54
	v_cvt_f32_f16_e32 v41, v38
	v_add_f32_e32 v38, v55, v40
	v_lshrrev_b32_e32 v40, 16, v49
	v_lshrrev_b32_e32 v47, 16, v45
	v_cvt_f32_f16_e32 v48, v45
	v_cvt_f32_f16_e32 v45, v49
	v_lshrrev_b32_e32 v49, 16, v25
	v_cvt_f32_f16_e32 v52, v40
	v_cvt_f32_f16_e32 v53, v25
	s_waitcnt vmcnt(6)
	v_lshrrev_b32_e32 v25, 16, v29
	v_cvt_f32_f16_e32 v50, v50
	v_add_f32_e32 v39, v39, v41
	v_cvt_f32_f16_e32 v41, v56
	v_cvt_f32_f16_e32 v29, v29
	;; [unrolled: 1-line block ×3, first 2 shown]
	v_add_f32_e32 v40, v57, v45
	v_lshrrev_b32_e32 v45, 16, v26
	v_add_f32_e32 v41, v41, v52
	v_cvt_f32_f16_e32 v52, v58
	v_fmac_f32_e32 v51, v35, v35
	v_cvt_f32_f16_e32 v55, v26
	v_cvt_f32_f16_e32 v57, v27
	v_add_f32_e32 v25, v59, v29
	v_lshrrev_b32_e32 v29, 16, v30
	v_cvt_f32_f16_e32 v30, v30
	v_add_f32_e32 v26, v52, v54
	v_lshrrev_b32_e32 v52, 16, v27
	v_cvt_f32_f16_e32 v54, v60
	v_cvt_f32_f16_e32 v56, v29
	;; [unrolled: 1-line block ×5, first 2 shown]
	v_add_f32_e32 v29, v61, v30
	v_lshrrev_b32_e32 v30, 16, v31
	v_cvt_f32_f16_e32 v31, v31
	v_fmac_f32_e32 v51, v36, v36
	v_add_f32_e32 v27, v54, v56
	v_cvt_f32_f16_e32 v56, v62
	v_cvt_f32_f16_e32 v58, v30
	v_add_f32_e32 v30, v63, v31
	v_lshrrev_b32_e32 v31, 16, v32
	v_lshrrev_b32_e32 v54, 16, v28
	v_cvt_f32_f16_e32 v32, v32
	v_add_f32_e32 v28, v56, v58
	v_cvt_f32_f16_e32 v56, v64
	v_cvt_f32_f16_e32 v58, v31
	v_lshrrev_b32_e32 v66, 16, v43
	v_fmac_f32_e32 v51, v37, v37
	v_add_f32_e32 v31, v65, v32
	s_waitcnt vmcnt(5)
	v_lshrrev_b32_e32 v60, 16, v21
	v_add_f32_e32 v32, v56, v58
	v_cvt_f32_f16_e32 v21, v21
	v_lshrrev_b32_e32 v56, 16, v22
	v_cvt_f32_f16_e32 v43, v43
	v_lshrrev_b32_e32 v46, 16, v44
	v_cvt_f32_f16_e32 v61, v66
	v_cvt_f32_f16_e32 v58, v22
	v_cvt_f32_f16_e32 v22, v60
	v_add_f32_e32 v21, v42, v21
	v_lshrrev_b32_e32 v42, 16, v23
	v_cvt_f32_f16_e32 v56, v56
	v_cvt_f32_f16_e32 v44, v44
	v_fmac_f32_e32 v51, v38, v38
	v_cvt_f32_f16_e32 v46, v46
	v_cvt_f32_f16_e32 v60, v23
	v_add_f32_e32 v22, v50, v22
	v_lshrrev_b32_e32 v50, 16, v24
	v_add_f32_e32 v23, v43, v58
	v_cvt_f32_f16_e32 v43, v24
	v_add_f32_e32 v24, v61, v56
	v_cvt_f32_f16_e32 v56, v45
	v_cvt_f32_f16_e32 v45, v42
	v_dual_fmac_f32 v51, v39, v39 :: v_dual_add_f32 v42, v44, v60
	v_cvt_f32_f16_e32 v47, v47
	s_waitcnt vmcnt(4)
	v_lshrrev_b32_e32 v62, 16, v17
	v_add_f32_e32 v45, v46, v45
	v_lshrrev_b32_e32 v46, 16, v19
	v_cvt_f32_f16_e32 v60, v19
	v_cvt_f32_f16_e32 v19, v50
	;; [unrolled: 1-line block ×4, first 2 shown]
	v_lshrrev_b32_e32 v44, 16, v18
	v_cvt_f32_f16_e32 v18, v18
	v_add_f32_e32 v49, v47, v19
	v_cvt_f32_f16_e32 v47, v62
	v_fmac_f32_e32 v51, v40, v40
	v_add_f32_e32 v48, v48, v43
	v_lshrrev_b32_e32 v50, 16, v20
	v_cvt_f32_f16_e32 v20, v20
	v_add_f32_e32 v19, v53, v17
	v_cvt_f32_f16_e32 v53, v46
	v_dual_add_f32 v46, v58, v47 :: v_dual_fmac_f32 v51, v41, v41
	s_delay_alu instid0(VALU_DEP_4) | instskip(SKIP_2) | instid1(VALU_DEP_4)
	v_add_f32_e32 v20, v59, v20
	v_dual_add_f32 v17, v55, v18 :: v_dual_add_f32 v18, v57, v60
	v_cvt_f32_f16_e32 v44, v44
	v_fmac_f32_e32 v51, v25, v25
	v_cvt_f32_f16_e32 v43, v54
	v_cvt_f32_f16_e32 v50, v50
	s_clause 0x1
	s_load_b64 s[4:5], s[0:1], 0x48
	s_load_b128 s[0:3], s[0:1], 0x0
	v_add_f32_e32 v47, v56, v44
	v_dual_fmac_f32 v51, v26, v26 :: v_dual_add_f32 v44, v52, v53
	v_add_f32_e32 v43, v43, v50
	v_cvt_f16_f32_e32 v50, v35
	v_cvt_f16_f32_e32 v68, v34
	s_delay_alu instid0(VALU_DEP_4)
	v_fmac_f32_e32 v51, v29, v29
	v_cvt_f16_f32_e32 v52, v36
	v_cvt_f16_f32_e32 v53, v38
	;; [unrolled: 1-line block ×4, first 2 shown]
	v_fmac_f32_e32 v51, v27, v27
	v_cvt_f16_f32_e32 v70, v39
	v_cvt_f16_f32_e32 v71, v41
	;; [unrolled: 1-line block ×4, first 2 shown]
	v_fmac_f32_e32 v51, v30, v30
	v_cvt_f16_f32_e32 v57, v30
	s_waitcnt lgkmcnt(0)
	s_ashr_i32 s6, s4, 31
	s_mul_hi_u32 s7, s4, s20
	s_mul_i32 s8, s6, s20
	v_fmac_f32_e32 v51, v28, v28
	s_mul_i32 s6, s4, s20
	s_add_i32 s7, s7, s8
	v_cvt_f16_f32_e32 v58, v31
	s_lshl_b64 s[6:7], s[6:7], 1
	v_fmac_f32_e32 v51, v31, v31
	s_add_u32 s12, s2, s6
	v_cvt_f16_f32_e32 v60, v23
	v_cvt_f16_f32_e32 v61, v42
	v_cvt_f16_f32_e32 v62, v48
	v_fmac_f32_e32 v51, v32, v32
	v_cvt_f16_f32_e32 v63, v19
	v_cvt_f16_f32_e32 v64, v17
	v_cvt_f16_f32_e32 v65, v18
	v_cvt_f16_f32_e32 v66, v20
	v_fmac_f32_e32 v51, v21, v21
	v_cvt_f16_f32_e32 v72, v26
	;; [unrolled: 5-line block ×4, first 2 shown]
	v_cvt_f16_f32_e32 v82, v47
	v_cvt_f16_f32_e32 v83, v44
	;; [unrolled: 1-line block ×3, first 2 shown]
	v_fmac_f32_e32 v51, v24, v24
	v_pack_b32_f16 v54, v54, v71
	v_pack_b32_f16 v53, v53, v70
	;; [unrolled: 1-line block ×3, first 2 shown]
	s_addc_u32 s2, s3, s7
	v_fmac_f32_e32 v51, v42, v42
	s_and_b32 s13, s2, 0xffff
	v_pack_b32_f16 v58, v58, v75
	v_pack_b32_f16 v57, v57, v74
	v_pack_b32_f16 v56, v56, v73
	v_fmac_f32_e32 v51, v45, v45
	v_pack_b32_f16 v55, v55, v72
	v_pack_b32_f16 v62, v62, v79
	;; [unrolled: 1-line block ×4, first 2 shown]
	v_fmac_f32_e32 v51, v48, v48
	v_pack_b32_f16 v66, v66, v84
	v_pack_b32_f16 v65, v65, v83
	;; [unrolled: 1-line block ×4, first 2 shown]
	v_fmac_f32_e32 v51, v49, v49
	s_mov_b32 s2, exec_lo
	s_delay_alu instid0(VALU_DEP_1) | instskip(NEXT) | instid1(VALU_DEP_1)
	v_fmac_f32_e32 v51, v19, v19
	v_fmac_f32_e32 v51, v46, v46
	s_delay_alu instid0(VALU_DEP_1) | instskip(NEXT) | instid1(VALU_DEP_1)
	v_fmac_f32_e32 v51, v17, v17
	v_fmac_f32_e32 v51, v47, v47
	;; [unrolled: 3-line block ×4, first 2 shown]
	s_delay_alu instid0(VALU_DEP_1) | instskip(NEXT) | instid1(VALU_DEP_1)
	v_mov_b32_dpp v80, v51 quad_perm:[1,0,3,2] row_mask:0xf bank_mask:0xf
	v_add_f32_e32 v80, v51, v80
	v_pack_b32_f16 v51, v50, v68
	v_cvt_f16_f32_e32 v59, v21
	s_delay_alu instid0(VALU_DEP_3)
	v_mov_b32_dpp v50, v80 quad_perm:[2,3,0,1] row_mask:0xf bank_mask:0xf
	buffer_store_b128 v[51:54], v33, s[12:15], 0 offen
	v_pack_b32_f16 v59, v59, v76
	;;#ASMSTART
	s_nop 0
	;;#ASMEND
	buffer_store_b128 v[55:58], v33, s[12:15], 16 offen
	v_add_f32_e32 v50, v80, v50
	;;#ASMSTART
	s_nop 0
	;;#ASMEND
	buffer_store_b128 v[59:62], v33, s[12:15], 32 offen
	;;#ASMSTART
	s_nop 0
	;;#ASMEND
	buffer_store_b128 v[63:66], v33, s[12:15], 48 offen
	v_mov_b32_dpp v68, v50 row_xmask:7 row_mask:0xf bank_mask:0xf
	;;#ASMSTART
	s_nop 0
	;;#ASMEND
	s_delay_alu instid0(VALU_DEP_1) | instskip(NEXT) | instid1(VALU_DEP_1)
	v_add_f32_e32 v50, v50, v68
	v_mov_b32_dpp v51, v50 row_xmask:15 row_mask:0xf bank_mask:0xf
	v_cmpx_eq_u32_e32 31, v67
	s_cbranch_execz .LBB135_3
; %bb.2:
	s_delay_alu instid0(VALU_DEP_2) | instskip(SKIP_2) | instid1(VALU_DEP_2)
	v_add_f32_e32 v50, v50, v51
	s_mov_b32 s3, 0x76543210
	v_lshrrev_b32_e32 v51, 3, v0
	v_permlanex16_b32 v52, v50, s3, 0xfedcba98 op_sel:[1,1]
	s_delay_alu instid0(VALU_DEP_1)
	v_dual_add_f32 v50, v50, v52 :: v_dual_and_b32 v51, 0x7c, v51
	ds_store_b32 v51, v50
.LBB135_3:
	s_or_b32 exec_lo, exec_lo, s2
	v_and_b32_e32 v0, 7, v0
	s_waitcnt vmcnt(0) lgkmcnt(0)
	s_waitcnt_vscnt null, 0x0
	s_barrier
	buffer_gl0_inv
	v_cvt_f32_i32_e32 v51, s17
	v_lshlrev_b32_e32 v0, 2, v0
	s_ashr_i32 s2, s5, 31
	s_mul_hi_u32 s3, s5, s20
	s_mul_i32 s4, s2, s20
	s_mul_i32 s2, s5, s20
	ds_load_b32 v0, v0
	s_add_i32 s3, s3, s4
	s_delay_alu instid0(SALU_CYCLE_1) | instskip(NEXT) | instid1(SALU_CYCLE_1)
	s_lshl_b64 s[2:3], s[2:3], 1
	s_add_u32 s12, s0, s2
	s_addc_u32 s0, s1, s3
	s_delay_alu instid0(SALU_CYCLE_1) | instskip(SKIP_2) | instid1(VALU_DEP_1)
	s_and_b32 s13, s0, 0xffff
	s_waitcnt lgkmcnt(0)
	v_mov_b32_dpp v50, v0 quad_perm:[1,0,3,2] row_mask:0xf bank_mask:0xf
	v_add_f32_e32 v0, v0, v50
	s_delay_alu instid0(VALU_DEP_1) | instskip(NEXT) | instid1(VALU_DEP_1)
	v_mov_b32_dpp v50, v0 quad_perm:[2,3,0,1] row_mask:0xf bank_mask:0xf
	v_add_f32_e32 v0, v0, v50
	s_delay_alu instid0(VALU_DEP_1) | instskip(NEXT) | instid1(VALU_DEP_1)
	v_mov_b32_dpp v50, v0 row_xmask:7 row_mask:0xf bank_mask:0xf
	v_add_f32_e32 v0, v0, v50
	s_delay_alu instid0(VALU_DEP_1) | instskip(SKIP_1) | instid1(VALU_DEP_2)
	v_div_scale_f32 v50, null, v51, v51, v0
	v_div_scale_f32 v54, vcc_lo, v0, v51, v0
	v_rcp_f32_e32 v52, v50
	s_waitcnt_depctr 0xfff
	v_fma_f32 v53, -v50, v52, 1.0
	s_delay_alu instid0(VALU_DEP_1) | instskip(NEXT) | instid1(VALU_DEP_1)
	v_fmac_f32_e32 v52, v53, v52
	v_mul_f32_e32 v53, v54, v52
	s_delay_alu instid0(VALU_DEP_1) | instskip(NEXT) | instid1(VALU_DEP_1)
	v_fma_f32 v55, -v50, v53, v54
	v_fmac_f32_e32 v53, v55, v52
	s_delay_alu instid0(VALU_DEP_1) | instskip(NEXT) | instid1(VALU_DEP_1)
	v_fma_f32 v50, -v50, v53, v54
	v_div_fmas_f32 v50, v50, v52, v53
	s_delay_alu instid0(VALU_DEP_1) | instskip(NEXT) | instid1(VALU_DEP_1)
	v_div_fixup_f32 v0, v50, v51, v0
	v_cvt_f64_f32_e32 v[50:51], v0
	s_delay_alu instid0(VALU_DEP_1) | instskip(NEXT) | instid1(VALU_DEP_1)
	v_add_f64 v[50:51], v[50:51], s[10:11]
	v_cvt_f32_f64_e32 v0, v[50:51]
	s_delay_alu instid0(VALU_DEP_1) | instskip(SKIP_1) | instid1(VALU_DEP_2)
	v_mul_f32_e32 v50, 0x4b800000, v0
	v_cmp_gt_f32_e32 vcc_lo, 0x800000, v0
	v_cndmask_b32_e32 v0, v0, v50, vcc_lo
	s_delay_alu instid0(VALU_DEP_1) | instskip(SKIP_2) | instid1(VALU_DEP_1)
	v_rsq_f32_e32 v0, v0
	s_waitcnt_depctr 0xfff
	v_mul_f32_e32 v50, 0x45800000, v0
	v_cndmask_b32_e32 v0, v0, v50, vcc_lo
	s_delay_alu instid0(VALU_DEP_1)
	v_dual_mul_f32 v51, v0, v27 :: v_dual_mul_f32 v34, v34, v0
	v_mul_f32_e32 v27, v0, v30
	v_dual_mul_f32 v35, v35, v0 :: v_dual_mul_f32 v50, v0, v26
	v_dual_mul_f32 v37, v37, v0 :: v_dual_mul_f32 v26, v0, v29
	v_mul_f32_e32 v36, v36, v0
	v_mul_f32_e32 v39, v39, v0
	v_dual_mul_f32 v38, v38, v0 :: v_dual_mul_f32 v29, v0, v21
	v_mul_f32_e32 v41, v0, v41
	v_mul_f32_e32 v40, v0, v40
	;; [unrolled: 1-line block ×21, first 2 shown]
	v_fma_mixlo_f16 v17, v35, v13, 0 op_sel_hi:[0,1,0]
	v_fma_mixlo_f16 v18, v36, v14, 0 op_sel_hi:[0,1,0]
	;; [unrolled: 1-line block ×16, first 2 shown]
	v_fma_mixhi_f16 v20, v41, v16, 0 op_sel:[0,1,0] op_sel_hi:[0,1,0]
	v_fma_mixhi_f16 v19, v39, v15, 0 op_sel:[0,1,0] op_sel_hi:[0,1,0]
	;; [unrolled: 1-line block ×16, first 2 shown]
	buffer_store_b128 v[17:20], v33, s[12:15], 0 offen
	;;#ASMSTART
	s_nop 0
	;;#ASMEND
	buffer_store_b128 v[21:24], v33, s[12:15], 16 offen
	;;#ASMSTART
	s_nop 0
	;;#ASMEND
	;; [unrolled: 4-line block ×4, first 2 shown]
.LBB135_4:
	s_nop 0
	s_sendmsg sendmsg(MSG_DEALLOC_VGPRS)
	s_endpgm
	.section	.rodata,"a",@progbits
	.p2align	6, 0x0
	.amdhsa_kernel _ZN5aiter24add_rmsnorm_quant_kernelIDF16_DF16_Li256ELi32ELb1ELb0ELb0ELi1EEEvPT0_PT_PfS4_S4_S4_diiiiiiib
		.amdhsa_group_segment_fixed_size 32
		.amdhsa_private_segment_fixed_size 0
		.amdhsa_kernarg_size 88
		.amdhsa_user_sgpr_count 15
		.amdhsa_user_sgpr_dispatch_ptr 0
		.amdhsa_user_sgpr_queue_ptr 0
		.amdhsa_user_sgpr_kernarg_segment_ptr 1
		.amdhsa_user_sgpr_dispatch_id 0
		.amdhsa_user_sgpr_private_segment_size 0
		.amdhsa_wavefront_size32 1
		.amdhsa_uses_dynamic_stack 0
		.amdhsa_enable_private_segment 0
		.amdhsa_system_sgpr_workgroup_id_x 1
		.amdhsa_system_sgpr_workgroup_id_y 0
		.amdhsa_system_sgpr_workgroup_id_z 0
		.amdhsa_system_sgpr_workgroup_info 0
		.amdhsa_system_vgpr_workitem_id 0
		.amdhsa_next_free_vgpr 85
		.amdhsa_next_free_sgpr 22
		.amdhsa_reserve_vcc 1
		.amdhsa_float_round_mode_32 0
		.amdhsa_float_round_mode_16_64 0
		.amdhsa_float_denorm_mode_32 3
		.amdhsa_float_denorm_mode_16_64 3
		.amdhsa_dx10_clamp 1
		.amdhsa_ieee_mode 1
		.amdhsa_fp16_overflow 0
		.amdhsa_workgroup_processor_mode 1
		.amdhsa_memory_ordered 1
		.amdhsa_forward_progress 0
		.amdhsa_shared_vgpr_count 0
		.amdhsa_exception_fp_ieee_invalid_op 0
		.amdhsa_exception_fp_denorm_src 0
		.amdhsa_exception_fp_ieee_div_zero 0
		.amdhsa_exception_fp_ieee_overflow 0
		.amdhsa_exception_fp_ieee_underflow 0
		.amdhsa_exception_fp_ieee_inexact 0
		.amdhsa_exception_int_div_zero 0
	.end_amdhsa_kernel
	.section	.text._ZN5aiter24add_rmsnorm_quant_kernelIDF16_DF16_Li256ELi32ELb1ELb0ELb0ELi1EEEvPT0_PT_PfS4_S4_S4_diiiiiiib,"axG",@progbits,_ZN5aiter24add_rmsnorm_quant_kernelIDF16_DF16_Li256ELi32ELb1ELb0ELb0ELi1EEEvPT0_PT_PfS4_S4_S4_diiiiiiib,comdat
.Lfunc_end135:
	.size	_ZN5aiter24add_rmsnorm_quant_kernelIDF16_DF16_Li256ELi32ELb1ELb0ELb0ELi1EEEvPT0_PT_PfS4_S4_S4_diiiiiiib, .Lfunc_end135-_ZN5aiter24add_rmsnorm_quant_kernelIDF16_DF16_Li256ELi32ELb1ELb0ELb0ELi1EEEvPT0_PT_PfS4_S4_S4_diiiiiiib
                                        ; -- End function
	.section	.AMDGPU.csdata,"",@progbits
; Kernel info:
; codeLenInByte = 2356
; NumSgprs: 24
; NumVgprs: 85
; ScratchSize: 0
; MemoryBound: 0
; FloatMode: 240
; IeeeMode: 1
; LDSByteSize: 32 bytes/workgroup (compile time only)
; SGPRBlocks: 2
; VGPRBlocks: 10
; NumSGPRsForWavesPerEU: 24
; NumVGPRsForWavesPerEU: 85
; Occupancy: 16
; WaveLimiterHint : 0
; COMPUTE_PGM_RSRC2:SCRATCH_EN: 0
; COMPUTE_PGM_RSRC2:USER_SGPR: 15
; COMPUTE_PGM_RSRC2:TRAP_HANDLER: 0
; COMPUTE_PGM_RSRC2:TGID_X_EN: 1
; COMPUTE_PGM_RSRC2:TGID_Y_EN: 0
; COMPUTE_PGM_RSRC2:TGID_Z_EN: 0
; COMPUTE_PGM_RSRC2:TIDIG_COMP_CNT: 0
	.section	.text._ZN5aiter24add_rmsnorm_quant_kernelIttLi256ELi32ELb1ELb0ELb0ELi1EEEvPT0_PT_PfS4_S4_S4_diiiiiiib,"axG",@progbits,_ZN5aiter24add_rmsnorm_quant_kernelIttLi256ELi32ELb1ELb0ELb0ELi1EEEvPT0_PT_PfS4_S4_S4_diiiiiiib,comdat
	.protected	_ZN5aiter24add_rmsnorm_quant_kernelIttLi256ELi32ELb1ELb0ELb0ELi1EEEvPT0_PT_PfS4_S4_S4_diiiiiiib ; -- Begin function _ZN5aiter24add_rmsnorm_quant_kernelIttLi256ELi32ELb1ELb0ELb0ELi1EEEvPT0_PT_PfS4_S4_S4_diiiiiiib
	.globl	_ZN5aiter24add_rmsnorm_quant_kernelIttLi256ELi32ELb1ELb0ELb0ELi1EEEvPT0_PT_PfS4_S4_S4_diiiiiiib
	.p2align	8
	.type	_ZN5aiter24add_rmsnorm_quant_kernelIttLi256ELi32ELb1ELb0ELb0ELi1EEEvPT0_PT_PfS4_S4_S4_diiiiiiib,@function
_ZN5aiter24add_rmsnorm_quant_kernelIttLi256ELi32ELb1ELb0ELb0ELi1EEEvPT0_PT_PfS4_S4_S4_diiiiiiib: ; @_ZN5aiter24add_rmsnorm_quant_kernelIttLi256ELi32ELb1ELb0ELb0ELi1EEEvPT0_PT_PfS4_S4_S4_diiiiiiib
; %bb.0:
	s_load_b128 s[16:19], s[0:1], 0x38
	s_mov_b32 s20, s15
	s_mov_b32 s21, 0
	s_waitcnt lgkmcnt(0)
	s_ashr_i32 s3, s16, 31
	s_mov_b32 s2, s16
	s_delay_alu instid0(SALU_CYCLE_1) | instskip(NEXT) | instid1(VALU_DEP_1)
	v_cmp_ge_i64_e64 s2, s[20:21], s[2:3]
	s_and_b32 vcc_lo, exec_lo, s2
	s_cbranch_vccnz .LBB136_4
; %bb.1:
	s_load_b256 s[4:11], s[0:1], 0x18
	s_ashr_i32 s2, s18, 31
	s_mul_hi_u32 s3, s18, s20
	s_mul_i32 s12, s2, s20
	s_mul_i32 s2, s18, s20
	s_add_i32 s3, s3, s12
	v_lshlrev_b32_e32 v21, 6, v0
	s_lshl_b64 s[2:3], s[2:3], 1
	s_mov_b32 s15, -1
	s_waitcnt lgkmcnt(0)
	s_add_u32 s12, s4, s2
	s_addc_u32 s2, s5, s3
	s_add_i32 s3, s17, 1
	s_and_b32 s13, s2, 0xffff
	s_lshr_b32 s4, s3, 31
	s_ashr_i32 s2, s19, 31
	s_add_i32 s3, s3, s4
	s_mul_i32 s4, s2, s20
	s_lshl_b32 s3, s3, 1
	s_mul_i32 s2, s19, s20
	s_and_b32 s14, s3, -4
	s_mul_hi_u32 s3, s19, s20
	s_and_b32 s5, s9, 0xffff
	s_add_i32 s3, s3, s4
	s_clause 0x1
	buffer_load_b128 v[22:25], v21, s[12:15], 0 offen
	buffer_load_b128 v[26:29], v21, s[12:15], 16 offen
	s_lshl_b64 s[2:3], s[2:3], 1
	s_clause 0x1
	buffer_load_b128 v[30:33], v21, s[12:15], 32 offen
	buffer_load_b128 v[34:37], v21, s[12:15], 48 offen
	s_add_u32 s12, s6, s2
	s_addc_u32 s2, s7, s3
	s_mov_b32 s7, s15
	s_and_b32 s13, s2, 0xffff
	s_clause 0x3
	buffer_load_b128 v[38:41], v21, s[12:15], 0 offen
	buffer_load_b128 v[42:45], v21, s[12:15], 16 offen
	;; [unrolled: 1-line block ×4, first 2 shown]
	s_mov_b32 s4, s8
	s_mov_b32 s6, s14
	s_waitcnt vmcnt(7)
	v_lshrrev_b32_e32 v54, 16, v24
	s_waitcnt vmcnt(6)
	v_and_b32_e32 v57, 0xffff, v26
	v_lshrrev_b32_e32 v58, 16, v26
	v_and_b32_e32 v51, 0xffff, v23
	v_lshrrev_b32_e32 v52, 16, v23
	;; [unrolled: 2-line block ×3, first 2 shown]
	s_waitcnt vmcnt(3)
	v_and_b32_e32 v26, 0xffff, v39
	v_lshrrev_b32_e32 v23, 16, v38
	v_and_b32_e32 v63, 0xffff, v29
	v_lshrrev_b32_e32 v64, 16, v29
	v_and_b32_e32 v29, 0xffff, v40
	v_cvt_f32_u32_e32 v26, v26
	v_and_b32_e32 v53, 0xffff, v24
	v_and_b32_e32 v24, 0xffff, v38
	v_cvt_f32_u32_e32 v23, v23
	v_lshrrev_b32_e32 v60, 16, v27
	v_cvt_f32_u32_e32 v29, v29
	v_and_b32_e32 v59, 0xffff, v27
	v_cvt_f32_u32_e32 v24, v24
	v_and_b32_e32 v50, 0xffff, v22
	v_lshrrev_b32_e32 v22, 16, v22
	v_lshrrev_b32_e32 v62, 16, v28
	;; [unrolled: 1-line block ×4, first 2 shown]
	v_cvt_f32_u32_e32 v25, v50
	v_cvt_f32_u32_e32 v22, v22
	v_lshrrev_b32_e32 v70, 16, v32
	v_lshrrev_b32_e32 v72, 16, v33
	;; [unrolled: 1-line block ×3, first 2 shown]
	s_waitcnt vmcnt(2)
	v_lshrrev_b32_e32 v38, 16, v44
	v_dual_add_f32 v22, v22, v23 :: v_dual_add_f32 v23, v25, v24
	s_clause 0x3
	buffer_load_b128 v[13:16], v21, s[4:7], 0 offen
	buffer_load_b128 v[9:12], v21, s[4:7], 16 offen
	;; [unrolled: 1-line block ×4, first 2 shown]
	v_cvt_f32_u32_e32 v25, v52
	v_cvt_f32_u32_e32 v38, v38
	v_mul_f32_e32 v50, v22, v22
	v_cvt_f32_u32_e32 v27, v51
	v_lshrrev_b32_e32 v76, 16, v35
	v_lshrrev_b32_e32 v78, 16, v36
	;; [unrolled: 1-line block ×3, first 2 shown]
	v_fmac_f32_e32 v50, v23, v23
	v_add_f32_e32 v24, v27, v26
	v_cvt_f32_u32_e32 v26, v53
	v_lshrrev_b32_e32 v27, 16, v40
	s_waitcnt vmcnt(4)
	v_and_b32_e32 v52, 0xffff, v19
	v_lshrrev_b32_e32 v53, 16, v20
	v_fmac_f32_e32 v50, v24, v24
	v_and_b32_e32 v61, 0xffff, v28
	v_lshrrev_b32_e32 v28, 16, v39
	v_cvt_f32_u32_e32 v27, v27
	v_add_f32_e32 v26, v26, v29
	v_cvt_f32_u32_e32 v29, v55
	v_cvt_f32_u32_e32 v53, v53
	;; [unrolled: 1-line block ×4, first 2 shown]
	s_clause 0x1
	s_load_b64 s[4:5], s[0:1], 0x48
	s_load_b128 s[0:3], s[0:1], 0x0
	v_add_f32_e32 v25, v25, v28
	v_cvt_f32_u32_e32 v28, v54
	s_delay_alu instid0(VALU_DEP_1) | instskip(NEXT) | instid1(VALU_DEP_1)
	v_dual_fmac_f32 v50, v25, v25 :: v_dual_add_f32 v27, v28, v27
	v_fmac_f32_e32 v50, v26, v26
	v_and_b32_e32 v65, 0xffff, v30
	v_and_b32_e32 v30, 0xffff, v41
	s_delay_alu instid0(VALU_DEP_3) | instskip(NEXT) | instid1(VALU_DEP_2)
	v_fmac_f32_e32 v50, v27, v27
	v_cvt_f32_u32_e32 v30, v30
	v_and_b32_e32 v67, 0xffff, v31
	v_lshrrev_b32_e32 v31, 16, v41
	s_waitcnt lgkmcnt(0)
	s_ashr_i32 s6, s4, 31
	s_mul_hi_u32 s7, s4, s20
	v_dual_add_f32 v28, v29, v30 :: v_dual_and_b32 v71, 0xffff, v33
	v_and_b32_e32 v33, 0xffff, v42
	v_cvt_f32_u32_e32 v31, v31
	v_and_b32_e32 v69, 0xffff, v32
	v_cvt_f32_u32_e32 v32, v56
	v_cvt_f32_u32_e32 v29, v57
	;; [unrolled: 1-line block ×3, first 2 shown]
	v_fmac_f32_e32 v50, v28, v28
	s_mul_i32 s8, s6, s20
	v_add_f32_e32 v30, v32, v31
	v_and_b32_e32 v75, 0xffff, v35
	v_add_f32_e32 v29, v29, v33
	v_cvt_f32_u32_e32 v31, v58
	v_and_b32_e32 v32, 0xffff, v43
	v_fmac_f32_e32 v50, v30, v30
	v_and_b32_e32 v73, 0xffff, v34
	v_lshrrev_b32_e32 v34, 16, v42
	v_cvt_f32_u32_e32 v33, v59
	v_lshrrev_b32_e32 v35, 16, v43
	v_fmac_f32_e32 v50, v29, v29
	v_cvt_f32_u32_e32 v32, v32
	v_cvt_f32_u32_e32 v34, v34
	v_and_b32_e32 v79, 0xffff, v37
	v_cvt_f32_u32_e32 v35, v35
	v_cvt_f32_u32_e32 v37, v61
	s_delay_alu instid0(VALU_DEP_4)
	v_dual_add_f32 v32, v33, v32 :: v_dual_add_f32 v31, v31, v34
	v_and_b32_e32 v77, 0xffff, v36
	v_cvt_f32_u32_e32 v34, v60
	v_and_b32_e32 v36, 0xffff, v44
	v_lshrrev_b32_e32 v42, 16, v46
	v_fmac_f32_e32 v50, v31, v31
	v_lshrrev_b32_e32 v43, 16, v47
	v_and_b32_e32 v44, 0xffff, v48
	v_cvt_f32_u32_e32 v36, v36
	s_delay_alu instid0(VALU_DEP_4) | instskip(SKIP_2) | instid1(VALU_DEP_4)
	v_dual_add_f32 v33, v34, v35 :: v_dual_fmac_f32 v50, v32, v32
	v_cvt_f32_u32_e32 v35, v62
	v_cvt_f32_u32_e32 v42, v42
	v_add_f32_e32 v34, v37, v36
	v_cvt_f32_u32_e32 v36, v63
	v_fmac_f32_e32 v50, v33, v33
	v_and_b32_e32 v39, 0xffff, v45
	v_lshrrev_b32_e32 v37, 16, v45
	v_add_f32_e32 v35, v35, v38
	v_cvt_f32_u32_e32 v38, v64
	v_fmac_f32_e32 v50, v34, v34
	v_cvt_f32_u32_e32 v39, v39
	v_and_b32_e32 v40, 0xffff, v46
	v_cvt_f32_u32_e32 v41, v37
	v_lshrrev_b32_e32 v46, 16, v48
	v_fmac_f32_e32 v50, v35, v35
	v_add_f32_e32 v37, v36, v39
	v_cvt_f32_u32_e32 v36, v65
	v_add_f32_e32 v39, v38, v41
	v_cvt_f32_u32_e32 v40, v40
	v_cvt_f32_u32_e32 v38, v66
	v_dual_fmac_f32 v50, v37, v37 :: v_dual_and_b32 v41, 0xffff, v47
	v_and_b32_e32 v48, 0xffff, v17
	v_cvt_f32_u32_e32 v43, v43
	v_cvt_f32_u32_e32 v45, v69
	s_delay_alu instid0(VALU_DEP_4)
	v_dual_fmac_f32 v50, v39, v39 :: v_dual_and_b32 v47, 0xffff, v49
	v_cvt_f32_u32_e32 v41, v41
	v_cvt_f32_u32_e32 v44, v44
	;; [unrolled: 1-line block ×3, first 2 shown]
	v_add_f32_e32 v38, v38, v42
	v_cvt_f32_u32_e32 v42, v68
	v_add_f32_e32 v36, v36, v40
	v_cvt_f32_u32_e32 v40, v67
	v_cvt_f32_u32_e32 v46, v46
	v_cvt_f32_u32_e32 v47, v47
	v_lshrrev_b32_e32 v17, 16, v17
	s_mul_i32 s6, s4, s20
	v_dual_add_f32 v40, v40, v41 :: v_dual_add_f32 v41, v42, v43
	v_cvt_f32_u32_e32 v43, v70
	v_add_f32_e32 v42, v45, v44
	v_cvt_f32_u32_e32 v44, v71
	v_lshrrev_b32_e32 v45, 16, v49
	v_dual_fmac_f32 v50, v36, v36 :: v_dual_and_b32 v49, 0xffff, v18
	v_add_f32_e32 v43, v43, v46
	v_cvt_f32_u32_e32 v46, v72
	s_delay_alu instid0(VALU_DEP_4)
	v_cvt_f32_u32_e32 v45, v45
	v_add_f32_e32 v44, v44, v47
	v_cvt_f32_u32_e32 v47, v73
	v_cvt_f32_u32_e32 v51, v17
	;; [unrolled: 1-line block ×3, first 2 shown]
	v_add_f32_e32 v45, v46, v45
	v_cvt_f32_u32_e32 v46, v74
	v_add_f32_e32 v17, v47, v48
	v_cvt_f32_u32_e32 v47, v75
	v_lshrrev_b32_e32 v48, 16, v18
	s_delay_alu instid0(VALU_DEP_4) | instskip(SKIP_1) | instid1(VALU_DEP_4)
	v_dual_add_f32 v18, v46, v51 :: v_dual_and_b32 v67, 31, v0
	v_cvt_f32_u32_e32 v51, v76
	v_add_f32_e32 v46, v47, v49
	s_delay_alu instid0(VALU_DEP_4)
	v_cvt_f32_u32_e32 v48, v48
	v_lshrrev_b32_e32 v49, 16, v19
	v_fmac_f32_e32 v50, v38, v38
	v_cvt_f32_u32_e32 v47, v77
	s_add_i32 s7, s7, s8
	v_add_f32_e32 v19, v51, v48
	v_cvt_f32_u32_e32 v48, v78
	v_cvt_f32_u32_e32 v49, v49
	v_and_b32_e32 v51, 0xffff, v20
	v_add_f32_e32 v47, v47, v52
	v_cvt_f32_u32_e32 v52, v79
	s_lshl_b64 s[6:7], s[6:7], 1
	v_add_f32_e32 v20, v48, v49
	v_cvt_f32_u32_e32 v49, v80
	v_fmac_f32_e32 v50, v40, v40
	v_cvt_f32_u32_e32 v51, v51
	s_add_u32 s12, s2, s6
	v_perm_b32 v54, v30, v28, 0x7060302
	v_add_f32_e32 v49, v49, v53
	v_fmac_f32_e32 v50, v41, v41
	v_add_f32_e32 v48, v52, v51
	v_perm_b32 v53, v27, v26, 0x7060302
	v_perm_b32 v52, v25, v24, 0x7060302
	s_addc_u32 s2, s3, s7
	v_fmac_f32_e32 v50, v42, v42
	s_and_b32 s13, s2, 0xffff
	v_perm_b32 v58, v39, v37, 0x7060302
	v_perm_b32 v57, v35, v34, 0x7060302
	;; [unrolled: 1-line block ×3, first 2 shown]
	v_fmac_f32_e32 v50, v43, v43
	v_perm_b32 v55, v31, v29, 0x7060302
	v_perm_b32 v62, v45, v44, 0x7060302
	;; [unrolled: 1-line block ×4, first 2 shown]
	v_fmac_f32_e32 v50, v44, v44
	v_perm_b32 v66, v49, v48, 0x7060302
	v_perm_b32 v65, v20, v47, 0x7060302
	;; [unrolled: 1-line block ×4, first 2 shown]
	v_fmac_f32_e32 v50, v45, v45
	s_mov_b32 s2, exec_lo
	s_delay_alu instid0(VALU_DEP_1) | instskip(NEXT) | instid1(VALU_DEP_1)
	v_fmac_f32_e32 v50, v17, v17
	v_fmac_f32_e32 v50, v18, v18
	s_delay_alu instid0(VALU_DEP_1) | instskip(NEXT) | instid1(VALU_DEP_1)
	v_fmac_f32_e32 v50, v46, v46
	v_fmac_f32_e32 v50, v19, v19
	;; [unrolled: 3-line block ×4, first 2 shown]
	s_delay_alu instid0(VALU_DEP_1) | instskip(NEXT) | instid1(VALU_DEP_1)
	v_mov_b32_dpp v51, v50 quad_perm:[1,0,3,2] row_mask:0xf bank_mask:0xf
	v_add_f32_e32 v50, v50, v51
	v_perm_b32 v51, v22, v23, 0x7060302
	s_delay_alu instid0(VALU_DEP_2)
	v_mov_b32_dpp v59, v50 quad_perm:[2,3,0,1] row_mask:0xf bank_mask:0xf
	buffer_store_b128 v[51:54], v21, s[12:15], 0 offen
	;;#ASMSTART
	s_nop 0
	;;#ASMEND
	buffer_store_b128 v[55:58], v21, s[12:15], 16 offen
	;;#ASMSTART
	s_nop 0
	;;#ASMEND
	v_add_f32_e32 v50, v50, v59
	v_perm_b32 v59, v38, v36, 0x7060302
	s_delay_alu instid0(VALU_DEP_2)
	v_mov_b32_dpp v68, v50 row_xmask:7 row_mask:0xf bank_mask:0xf
	buffer_store_b128 v[59:62], v21, s[12:15], 32 offen
	;;#ASMSTART
	s_nop 0
	;;#ASMEND
	buffer_store_b128 v[63:66], v21, s[12:15], 48 offen
	;;#ASMSTART
	s_nop 0
	;;#ASMEND
	v_add_f32_e32 v50, v50, v68
	s_delay_alu instid0(VALU_DEP_1)
	v_mov_b32_dpp v51, v50 row_xmask:15 row_mask:0xf bank_mask:0xf
	v_cmpx_eq_u32_e32 31, v67
	s_cbranch_execz .LBB136_3
; %bb.2:
	s_delay_alu instid0(VALU_DEP_2) | instskip(SKIP_2) | instid1(VALU_DEP_2)
	v_add_f32_e32 v50, v50, v51
	s_mov_b32 s3, 0x76543210
	v_lshrrev_b32_e32 v51, 3, v0
	v_permlanex16_b32 v52, v50, s3, 0xfedcba98 op_sel:[1,1]
	s_delay_alu instid0(VALU_DEP_1)
	v_dual_add_f32 v50, v50, v52 :: v_dual_and_b32 v51, 0x7c, v51
	ds_store_b32 v51, v50
.LBB136_3:
	s_or_b32 exec_lo, exec_lo, s2
	v_and_b32_e32 v0, 7, v0
	s_waitcnt vmcnt(0) lgkmcnt(0)
	s_waitcnt_vscnt null, 0x0
	s_barrier
	buffer_gl0_inv
	v_cvt_f32_i32_e32 v51, s17
	v_lshlrev_b32_e32 v0, 2, v0
	v_lshrrev_b32_e32 v56, 16, v11
	v_lshrrev_b32_e32 v57, 16, v12
	;; [unrolled: 1-line block ×4, first 2 shown]
	ds_load_b32 v0, v0
	v_lshrrev_b32_e32 v60, 16, v7
	v_lshrrev_b32_e32 v61, 16, v8
	v_lshrrev_b32_e32 v62, 16, v1
	v_lshrrev_b32_e32 v63, 16, v2
	v_lshrrev_b32_e32 v64, 16, v3
	v_lshrrev_b32_e32 v65, 16, v4
	v_cvt_f32_u32_e32 v56, v56
	v_cvt_f32_u32_e32 v57, v57
	v_cvt_f32_u32_e32 v58, v58
	v_cvt_f32_u32_e32 v59, v59
	v_cvt_f32_u32_e32 v60, v60
	v_cvt_f32_u32_e32 v61, v61
	v_cvt_f32_u32_e32 v62, v62
	v_cvt_f32_u32_e32 v63, v63
	v_cvt_f32_u32_e32 v64, v64
	v_cvt_f32_u32_e32 v65, v65
	s_ashr_i32 s3, s5, 31
	s_mul_hi_u32 s4, s5, s20
	s_mul_i32 s3, s3, s20
	s_waitcnt lgkmcnt(0)
	v_mov_b32_dpp v50, v0 quad_perm:[1,0,3,2] row_mask:0xf bank_mask:0xf
	s_mul_i32 s2, s5, s20
	s_add_i32 s3, s4, s3
	s_delay_alu instid0(SALU_CYCLE_1) | instskip(NEXT) | instid1(VALU_DEP_1)
	s_lshl_b64 s[2:3], s[2:3], 1
	v_add_f32_e32 v0, v0, v50
	s_add_u32 s12, s0, s2
	s_addc_u32 s0, s1, s3
	s_delay_alu instid0(SALU_CYCLE_1) | instskip(NEXT) | instid1(VALU_DEP_1)
	s_and_b32 s13, s0, 0xffff
	v_mov_b32_dpp v50, v0 quad_perm:[2,3,0,1] row_mask:0xf bank_mask:0xf
	s_delay_alu instid0(VALU_DEP_1) | instskip(NEXT) | instid1(VALU_DEP_1)
	v_add_f32_e32 v0, v0, v50
	v_mov_b32_dpp v50, v0 row_xmask:7 row_mask:0xf bank_mask:0xf
	s_delay_alu instid0(VALU_DEP_1) | instskip(NEXT) | instid1(VALU_DEP_1)
	v_add_f32_e32 v0, v0, v50
	v_div_scale_f32 v50, null, v51, v51, v0
	v_div_scale_f32 v54, vcc_lo, v0, v51, v0
	s_delay_alu instid0(VALU_DEP_2) | instskip(SKIP_2) | instid1(VALU_DEP_1)
	v_rcp_f32_e32 v52, v50
	s_waitcnt_depctr 0xfff
	v_fma_f32 v53, -v50, v52, 1.0
	v_fmac_f32_e32 v52, v53, v52
	s_delay_alu instid0(VALU_DEP_1) | instskip(NEXT) | instid1(VALU_DEP_1)
	v_mul_f32_e32 v53, v54, v52
	v_fma_f32 v55, -v50, v53, v54
	s_delay_alu instid0(VALU_DEP_1) | instskip(SKIP_1) | instid1(VALU_DEP_2)
	v_fmac_f32_e32 v53, v55, v52
	v_lshrrev_b32_e32 v55, 16, v9
	v_fma_f32 v50, -v50, v53, v54
	v_lshrrev_b32_e32 v54, 16, v16
	s_delay_alu instid0(VALU_DEP_3) | instskip(NEXT) | instid1(VALU_DEP_3)
	v_cvt_f32_u32_e32 v55, v55
	v_div_fmas_f32 v50, v50, v52, v53
	v_lshrrev_b32_e32 v52, 16, v14
	v_lshrrev_b32_e32 v53, 16, v15
	v_and_b32_e32 v15, 0xffff, v15
	v_cvt_f32_u32_e32 v54, v54
	v_div_fixup_f32 v0, v50, v51, v0
	v_cvt_f32_u32_e32 v52, v52
	v_cvt_f32_u32_e32 v53, v53
	;; [unrolled: 1-line block ×3, first 2 shown]
	s_delay_alu instid0(VALU_DEP_4) | instskip(SKIP_2) | instid1(VALU_DEP_2)
	v_cvt_f64_f32_e32 v[50:51], v0
	v_lshrrev_b32_e32 v0, 16, v13
	v_and_b32_e32 v13, 0xffff, v13
	v_cvt_f32_u32_e32 v0, v0
	s_delay_alu instid0(VALU_DEP_2) | instskip(SKIP_1) | instid1(VALU_DEP_1)
	v_cvt_f32_u32_e32 v13, v13
	v_add_f64 v[50:51], v[50:51], s[10:11]
	v_cvt_f32_f64_e32 v50, v[50:51]
	v_lshrrev_b32_e32 v51, 16, v10
	s_delay_alu instid0(VALU_DEP_1) | instskip(NEXT) | instid1(VALU_DEP_3)
	v_cvt_f32_u32_e32 v51, v51
	v_mul_f32_e32 v66, 0x4b800000, v50
	v_cmp_gt_f32_e32 vcc_lo, 0x800000, v50
	s_delay_alu instid0(VALU_DEP_2) | instskip(NEXT) | instid1(VALU_DEP_1)
	v_dual_cndmask_b32 v50, v50, v66 :: v_dual_and_b32 v9, 0xffff, v9
	v_cvt_f32_u32_e32 v9, v9
	s_delay_alu instid0(VALU_DEP_2) | instskip(SKIP_2) | instid1(VALU_DEP_1)
	v_rsq_f32_e32 v50, v50
	s_waitcnt_depctr 0xfff
	v_mul_f32_e32 v66, 0x45800000, v50
	v_dual_cndmask_b32 v50, v50, v66 :: v_dual_and_b32 v11, 0xffff, v11
	v_and_b32_e32 v14, 0xffff, v14
	v_and_b32_e32 v16, 0xffff, v16
	;; [unrolled: 1-line block ×3, first 2 shown]
	s_delay_alu instid0(VALU_DEP_4)
	v_dual_mul_f32 v35, v50, v35 :: v_dual_and_b32 v12, 0xffff, v12
	v_dual_mul_f32 v22, v22, v50 :: v_dual_and_b32 v5, 0xffff, v5
	;; [unrolled: 1-line block ×9, first 2 shown]
	v_mul_f32_e32 v23, v23, v50
	v_mul_f32_e32 v25, v25, v50
	v_mul_f32_e32 v27, v27, v50
	v_cvt_f32_u32_e32 v16, v16
	s_delay_alu instid0(VALU_DEP_4)
	v_dual_mul_f32 v28, v50, v28 :: v_dual_mul_f32 v13, v23, v13
	v_mul_f32_e32 v39, v50, v39
	v_cvt_f32_u32_e32 v14, v14
	v_mul_f32_e32 v37, v50, v37
	v_cvt_f32_u32_e32 v10, v10
	v_dual_mul_f32 v32, v50, v32 :: v_dual_mul_f32 v9, v29, v9
	v_cvt_f32_u32_e32 v11, v11
	v_cvt_f32_u32_e32 v12, v12
	;; [unrolled: 1-line block ×10, first 2 shown]
	v_dual_mul_f32 v34, v50, v34 :: v_dual_mul_f32 v23, v27, v53
	v_mul_f32_e32 v44, v50, v44
	v_mul_f32_e32 v43, v50, v43
	v_dual_mul_f32 v42, v50, v42 :: v_dual_mul_f32 v27, v35, v56
	v_mul_f32_e32 v41, v50, v41
	v_dual_mul_f32 v38, v50, v38 :: v_dual_mul_f32 v35, v45, v61
	v_mul_f32_e32 v36, v50, v36
	v_mul_f32_e32 v40, v50, v40
	v_dual_mul_f32 v49, v50, v49 :: v_dual_mul_f32 v14, v24, v14
	v_mul_f32_e32 v47, v50, v47
	;; [unrolled: 5-line block ×3, first 2 shown]
	v_mul_f32_e32 v0, v22, v0
	v_mul_f32_e32 v22, v25, v52
	s_delay_alu instid0(VALU_DEP_4)
	v_dual_mul_f32 v17, v17, v1 :: v_dual_mul_f32 v46, v50, v46
	v_dual_mul_f32 v15, v26, v15 :: v_dual_mul_f32 v12, v37, v12
	v_dual_mul_f32 v24, v30, v54 :: v_dual_mul_f32 v25, v31, v55
	v_mul_f32_e32 v26, v33, v51
	v_dual_mul_f32 v11, v34, v11 :: v_dual_mul_f32 v28, v39, v57
	v_dual_mul_f32 v29, v36, v5 :: v_dual_mul_f32 v30, v38, v58
	;; [unrolled: 1-line block ×6, first 2 shown]
	v_mul_f32_e32 v20, v20, v64
	v_dual_mul_f32 v38, v48, v4 :: v_dual_mul_f32 v39, v49, v65
	v_mul_f32_e32 v18, v18, v62
	v_perm_b32 v3, v24, v16, 0x7060302
	v_perm_b32 v2, v23, v15, 0x7060302
	;; [unrolled: 1-line block ×16, first 2 shown]
	buffer_store_b128 v[0:3], v21, s[12:15], 0 offen
	;;#ASMSTART
	s_nop 0
	;;#ASMEND
	buffer_store_b128 v[4:7], v21, s[12:15], 16 offen
	;;#ASMSTART
	s_nop 0
	;;#ASMEND
	;; [unrolled: 4-line block ×4, first 2 shown]
.LBB136_4:
	s_nop 0
	s_sendmsg sendmsg(MSG_DEALLOC_VGPRS)
	s_endpgm
	.section	.rodata,"a",@progbits
	.p2align	6, 0x0
	.amdhsa_kernel _ZN5aiter24add_rmsnorm_quant_kernelIttLi256ELi32ELb1ELb0ELb0ELi1EEEvPT0_PT_PfS4_S4_S4_diiiiiiib
		.amdhsa_group_segment_fixed_size 32
		.amdhsa_private_segment_fixed_size 0
		.amdhsa_kernarg_size 88
		.amdhsa_user_sgpr_count 15
		.amdhsa_user_sgpr_dispatch_ptr 0
		.amdhsa_user_sgpr_queue_ptr 0
		.amdhsa_user_sgpr_kernarg_segment_ptr 1
		.amdhsa_user_sgpr_dispatch_id 0
		.amdhsa_user_sgpr_private_segment_size 0
		.amdhsa_wavefront_size32 1
		.amdhsa_uses_dynamic_stack 0
		.amdhsa_enable_private_segment 0
		.amdhsa_system_sgpr_workgroup_id_x 1
		.amdhsa_system_sgpr_workgroup_id_y 0
		.amdhsa_system_sgpr_workgroup_id_z 0
		.amdhsa_system_sgpr_workgroup_info 0
		.amdhsa_system_vgpr_workitem_id 0
		.amdhsa_next_free_vgpr 81
		.amdhsa_next_free_sgpr 22
		.amdhsa_reserve_vcc 1
		.amdhsa_float_round_mode_32 0
		.amdhsa_float_round_mode_16_64 0
		.amdhsa_float_denorm_mode_32 3
		.amdhsa_float_denorm_mode_16_64 3
		.amdhsa_dx10_clamp 1
		.amdhsa_ieee_mode 1
		.amdhsa_fp16_overflow 0
		.amdhsa_workgroup_processor_mode 1
		.amdhsa_memory_ordered 1
		.amdhsa_forward_progress 0
		.amdhsa_shared_vgpr_count 0
		.amdhsa_exception_fp_ieee_invalid_op 0
		.amdhsa_exception_fp_denorm_src 0
		.amdhsa_exception_fp_ieee_div_zero 0
		.amdhsa_exception_fp_ieee_overflow 0
		.amdhsa_exception_fp_ieee_underflow 0
		.amdhsa_exception_fp_ieee_inexact 0
		.amdhsa_exception_int_div_zero 0
	.end_amdhsa_kernel
	.section	.text._ZN5aiter24add_rmsnorm_quant_kernelIttLi256ELi32ELb1ELb0ELb0ELi1EEEvPT0_PT_PfS4_S4_S4_diiiiiiib,"axG",@progbits,_ZN5aiter24add_rmsnorm_quant_kernelIttLi256ELi32ELb1ELb0ELb0ELi1EEEvPT0_PT_PfS4_S4_S4_diiiiiiib,comdat
.Lfunc_end136:
	.size	_ZN5aiter24add_rmsnorm_quant_kernelIttLi256ELi32ELb1ELb0ELb0ELi1EEEvPT0_PT_PfS4_S4_S4_diiiiiiib, .Lfunc_end136-_ZN5aiter24add_rmsnorm_quant_kernelIttLi256ELi32ELb1ELb0ELb0ELi1EEEvPT0_PT_PfS4_S4_S4_diiiiiiib
                                        ; -- End function
	.section	.AMDGPU.csdata,"",@progbits
; Kernel info:
; codeLenInByte = 2976
; NumSgprs: 24
; NumVgprs: 81
; ScratchSize: 0
; MemoryBound: 0
; FloatMode: 240
; IeeeMode: 1
; LDSByteSize: 32 bytes/workgroup (compile time only)
; SGPRBlocks: 2
; VGPRBlocks: 10
; NumSGPRsForWavesPerEU: 24
; NumVGPRsForWavesPerEU: 81
; Occupancy: 16
; WaveLimiterHint : 0
; COMPUTE_PGM_RSRC2:SCRATCH_EN: 0
; COMPUTE_PGM_RSRC2:USER_SGPR: 15
; COMPUTE_PGM_RSRC2:TRAP_HANDLER: 0
; COMPUTE_PGM_RSRC2:TGID_X_EN: 1
; COMPUTE_PGM_RSRC2:TGID_Y_EN: 0
; COMPUTE_PGM_RSRC2:TGID_Z_EN: 0
; COMPUTE_PGM_RSRC2:TIDIG_COMP_CNT: 0
	.section	.text._ZN5aiter24add_rmsnorm_quant_kernelIDF16_DF16_Li64ELi8ELb0ELb0ELb1ELi1EEEvPT0_PT_PfS4_S4_S4_diiiiiiib,"axG",@progbits,_ZN5aiter24add_rmsnorm_quant_kernelIDF16_DF16_Li64ELi8ELb0ELb0ELb1ELi1EEEvPT0_PT_PfS4_S4_S4_diiiiiiib,comdat
	.protected	_ZN5aiter24add_rmsnorm_quant_kernelIDF16_DF16_Li64ELi8ELb0ELb0ELb1ELi1EEEvPT0_PT_PfS4_S4_S4_diiiiiiib ; -- Begin function _ZN5aiter24add_rmsnorm_quant_kernelIDF16_DF16_Li64ELi8ELb0ELb0ELb1ELi1EEEvPT0_PT_PfS4_S4_S4_diiiiiiib
	.globl	_ZN5aiter24add_rmsnorm_quant_kernelIDF16_DF16_Li64ELi8ELb0ELb0ELb1ELi1EEEvPT0_PT_PfS4_S4_S4_diiiiiiib
	.p2align	8
	.type	_ZN5aiter24add_rmsnorm_quant_kernelIDF16_DF16_Li64ELi8ELb0ELb0ELb1ELi1EEEvPT0_PT_PfS4_S4_S4_diiiiiiib,@function
_ZN5aiter24add_rmsnorm_quant_kernelIDF16_DF16_Li64ELi8ELb0ELb0ELb1ELi1EEEvPT0_PT_PfS4_S4_S4_diiiiiiib: ; @_ZN5aiter24add_rmsnorm_quant_kernelIDF16_DF16_Li64ELi8ELb0ELb0ELb1ELi1EEEvPT0_PT_PfS4_S4_S4_diiiiiiib
; %bb.0:
	s_load_b128 s[8:11], s[0:1], 0x38
	s_mov_b32 s2, s15
	s_mov_b32 s3, 0
	s_waitcnt lgkmcnt(0)
	s_ashr_i32 s5, s8, 31
	s_mov_b32 s4, s8
	s_delay_alu instid0(SALU_CYCLE_1) | instskip(NEXT) | instid1(VALU_DEP_1)
	v_cmp_ge_i64_e64 s3, s[2:3], s[4:5]
	s_and_b32 vcc_lo, exec_lo, s3
	s_cbranch_vccnz .LBB137_4
; %bb.1:
	s_clause 0x1
	s_load_b64 s[4:5], s[0:1], 0x18
	s_load_b128 s[12:15], s[0:1], 0x28
	s_ashr_i32 s3, s10, 31
	s_mul_hi_u32 s7, s10, s2
	s_mul_i32 s3, s3, s2
	s_mul_i32 s6, s10, s2
	s_add_i32 s7, s7, s3
	v_lshlrev_b32_e32 v5, 4, v0
	s_lshl_b64 s[6:7], s[6:7], 1
	v_and_b32_e32 v16, 31, v0
	s_waitcnt lgkmcnt(0)
	s_add_u32 s4, s4, s6
	s_addc_u32 s3, s5, s7
	s_add_i32 s5, s9, 1
	s_mov_b32 s7, -1
	s_lshr_b32 s6, s5, 31
	s_mov_b32 s19, s7
	s_add_i32 s5, s5, s6
	s_mov_b32 s16, s12
	s_lshl_b32 s6, s5, 1
	s_and_b32 s5, s3, 0xffff
	s_and_b32 s6, s6, -4
	s_and_b32 s17, s13, 0xffff
	buffer_load_b128 v[7:10], v5, s[4:7], 0 offen glc slc
	s_mov_b32 s18, s6
	s_mov_b32 s3, exec_lo
	s_waitcnt vmcnt(0)
	v_lshrrev_b32_e32 v6, 16, v7
	v_lshrrev_b32_e32 v15, 16, v8
	;; [unrolled: 1-line block ×3, first 2 shown]
	s_delay_alu instid0(VALU_DEP_3) | instskip(NEXT) | instid1(VALU_DEP_1)
	v_cvt_f32_f16_e32 v6, v6
	v_mul_f32_e32 v11, v6, v6
	s_delay_alu instid0(VALU_DEP_1) | instskip(NEXT) | instid1(VALU_DEP_1)
	v_fma_mix_f32 v11, v7, v7, v11 op_sel_hi:[1,1,0]
	v_fma_mix_f32 v11, v8, v8, v11 op_sel_hi:[1,1,0]
	s_delay_alu instid0(VALU_DEP_1) | instskip(NEXT) | instid1(VALU_DEP_1)
	v_fma_mix_f32 v11, v8, v8, v11 op_sel:[1,1,0] op_sel_hi:[1,1,0]
	v_fma_mix_f32 v11, v9, v9, v11 op_sel_hi:[1,1,0]
	s_delay_alu instid0(VALU_DEP_1) | instskip(NEXT) | instid1(VALU_DEP_1)
	v_fma_mix_f32 v11, v9, v9, v11 op_sel:[1,1,0] op_sel_hi:[1,1,0]
	;; [unrolled: 3-line block ×3, first 2 shown]
	v_mov_b32_dpp v12, v11 quad_perm:[1,0,3,2] row_mask:0xf bank_mask:0xf
	s_delay_alu instid0(VALU_DEP_1) | instskip(NEXT) | instid1(VALU_DEP_1)
	v_add_f32_e32 v11, v11, v12
	v_mov_b32_dpp v12, v11 quad_perm:[2,3,0,1] row_mask:0xf bank_mask:0xf
	s_delay_alu instid0(VALU_DEP_1)
	v_add_f32_e32 v11, v11, v12
	v_cvt_f32_f16_e32 v12, v7
	v_cvt_f32_f16_e32 v7, v8
	;; [unrolled: 1-line block ×3, first 2 shown]
	v_lshrrev_b32_e32 v9, 16, v9
	v_mov_b32_dpp v13, v11 row_xmask:7 row_mask:0xf bank_mask:0xf
	s_delay_alu instid0(VALU_DEP_2) | instskip(NEXT) | instid1(VALU_DEP_2)
	v_cvt_f32_f16_e32 v9, v9
	v_add_f32_e32 v14, v11, v13
	buffer_load_b128 v[1:4], v5, s[16:19], 0 offen
	v_cvt_f32_f16_e32 v11, v10
	v_cvt_f32_f16_e32 v13, v15
	;; [unrolled: 1-line block ×3, first 2 shown]
	v_mov_b32_dpp v15, v14 row_xmask:15 row_mask:0xf bank_mask:0xf
	v_cmpx_eq_u32_e32 31, v16
	s_cbranch_execz .LBB137_3
; %bb.2:
	s_delay_alu instid0(VALU_DEP_2) | instskip(SKIP_2) | instid1(VALU_DEP_2)
	v_add_f32_e32 v14, v14, v15
	s_mov_b32 s4, 0x76543210
	v_lshrrev_b32_e32 v15, 3, v0
	v_permlanex16_b32 v16, v14, s4, 0xfedcba98 op_sel:[1,1]
	s_delay_alu instid0(VALU_DEP_1)
	v_dual_add_f32 v14, v14, v16 :: v_dual_and_b32 v15, 0x7c, v15
	ds_store_b32 v15, v14
.LBB137_3:
	s_or_b32 exec_lo, exec_lo, s3
	v_and_b32_e32 v0, 1, v0
	s_waitcnt vmcnt(0) lgkmcnt(0)
	s_barrier
	buffer_gl0_inv
	v_cvt_f32_i32_e32 v15, s9
	v_lshlrev_b32_e32 v0, 2, v0
	s_clause 0x1
	s_load_b32 s3, s[0:1], 0x4c
	s_load_b64 s[0:1], s[0:1], 0x0
	ds_load_b32 v0, v0
	s_waitcnt lgkmcnt(0)
	s_ashr_i32 s4, s3, 31
	s_mul_hi_u32 s5, s3, s2
	s_mul_i32 s4, s4, s2
	s_mul_i32 s2, s3, s2
	v_mov_b32_dpp v14, v0 quad_perm:[1,0,3,2] row_mask:0xf bank_mask:0xf
	s_add_i32 s3, s5, s4
	s_delay_alu instid0(SALU_CYCLE_1) | instskip(NEXT) | instid1(SALU_CYCLE_1)
	s_lshl_b64 s[2:3], s[2:3], 1
	s_add_u32 s4, s0, s2
	s_delay_alu instid0(VALU_DEP_1) | instskip(SKIP_1) | instid1(SALU_CYCLE_1)
	v_add_f32_e32 v0, v0, v14
	s_addc_u32 s0, s1, s3
	s_and_b32 s5, s0, 0xffff
	s_delay_alu instid0(VALU_DEP_1) | instskip(SKIP_1) | instid1(VALU_DEP_2)
	v_div_scale_f32 v14, null, v15, v15, v0
	v_div_scale_f32 v18, vcc_lo, v0, v15, v0
	v_rcp_f32_e32 v16, v14
	s_waitcnt_depctr 0xfff
	v_fma_f32 v17, -v14, v16, 1.0
	s_delay_alu instid0(VALU_DEP_1) | instskip(NEXT) | instid1(VALU_DEP_1)
	v_fmac_f32_e32 v16, v17, v16
	v_mul_f32_e32 v17, v18, v16
	s_delay_alu instid0(VALU_DEP_1) | instskip(NEXT) | instid1(VALU_DEP_1)
	v_fma_f32 v19, -v14, v17, v18
	v_fmac_f32_e32 v17, v19, v16
	s_delay_alu instid0(VALU_DEP_1) | instskip(NEXT) | instid1(VALU_DEP_1)
	v_fma_f32 v14, -v14, v17, v18
	v_div_fmas_f32 v14, v14, v16, v17
	s_delay_alu instid0(VALU_DEP_1) | instskip(NEXT) | instid1(VALU_DEP_1)
	v_div_fixup_f32 v0, v14, v15, v0
	v_cvt_f64_f32_e32 v[14:15], v0
	s_delay_alu instid0(VALU_DEP_1) | instskip(NEXT) | instid1(VALU_DEP_1)
	v_add_f64 v[14:15], v[14:15], s[14:15]
	v_cvt_f32_f64_e32 v0, v[14:15]
	s_delay_alu instid0(VALU_DEP_1) | instskip(SKIP_1) | instid1(VALU_DEP_2)
	v_mul_f32_e32 v14, 0x4b800000, v0
	v_cmp_gt_f32_e32 vcc_lo, 0x800000, v0
	v_cndmask_b32_e32 v0, v0, v14, vcc_lo
	s_delay_alu instid0(VALU_DEP_1) | instskip(SKIP_2) | instid1(VALU_DEP_1)
	v_rsq_f32_e32 v0, v0
	s_waitcnt_depctr 0xfff
	v_mul_f32_e32 v14, 0x45800000, v0
	v_cndmask_b32_e32 v0, v0, v14, vcc_lo
	s_delay_alu instid0(VALU_DEP_1)
	v_mul_f32_e32 v14, v0, v6
	v_mul_f32_e32 v6, v0, v12
	;; [unrolled: 1-line block ×8, first 2 shown]
	v_fma_mixlo_f16 v9, v11, v4, 0 op_sel_hi:[0,1,0]
	v_fma_mixlo_f16 v8, v8, v3, 0 op_sel_hi:[0,1,0]
	;; [unrolled: 1-line block ×4, first 2 shown]
	s_delay_alu instid0(VALU_DEP_4) | instskip(NEXT) | instid1(VALU_DEP_4)
	v_fma_mixhi_f16 v9, v0, v4, 0 op_sel:[0,1,0] op_sel_hi:[0,1,0]
	v_fma_mixhi_f16 v8, v13, v3, 0 op_sel:[0,1,0] op_sel_hi:[0,1,0]
	s_delay_alu instid0(VALU_DEP_4) | instskip(NEXT) | instid1(VALU_DEP_4)
	v_fma_mixhi_f16 v7, v12, v2, 0 op_sel:[0,1,0] op_sel_hi:[0,1,0]
	v_fma_mixhi_f16 v6, v14, v1, 0 op_sel:[0,1,0] op_sel_hi:[0,1,0]
	buffer_store_b128 v[6:9], v5, s[4:7], 0 offen
	;;#ASMSTART
	s_nop 0
	;;#ASMEND
.LBB137_4:
	s_nop 0
	s_sendmsg sendmsg(MSG_DEALLOC_VGPRS)
	s_endpgm
	.section	.rodata,"a",@progbits
	.p2align	6, 0x0
	.amdhsa_kernel _ZN5aiter24add_rmsnorm_quant_kernelIDF16_DF16_Li64ELi8ELb0ELb0ELb1ELi1EEEvPT0_PT_PfS4_S4_S4_diiiiiiib
		.amdhsa_group_segment_fixed_size 8
		.amdhsa_private_segment_fixed_size 0
		.amdhsa_kernarg_size 88
		.amdhsa_user_sgpr_count 15
		.amdhsa_user_sgpr_dispatch_ptr 0
		.amdhsa_user_sgpr_queue_ptr 0
		.amdhsa_user_sgpr_kernarg_segment_ptr 1
		.amdhsa_user_sgpr_dispatch_id 0
		.amdhsa_user_sgpr_private_segment_size 0
		.amdhsa_wavefront_size32 1
		.amdhsa_uses_dynamic_stack 0
		.amdhsa_enable_private_segment 0
		.amdhsa_system_sgpr_workgroup_id_x 1
		.amdhsa_system_sgpr_workgroup_id_y 0
		.amdhsa_system_sgpr_workgroup_id_z 0
		.amdhsa_system_sgpr_workgroup_info 0
		.amdhsa_system_vgpr_workitem_id 0
		.amdhsa_next_free_vgpr 20
		.amdhsa_next_free_sgpr 20
		.amdhsa_reserve_vcc 1
		.amdhsa_float_round_mode_32 0
		.amdhsa_float_round_mode_16_64 0
		.amdhsa_float_denorm_mode_32 3
		.amdhsa_float_denorm_mode_16_64 3
		.amdhsa_dx10_clamp 1
		.amdhsa_ieee_mode 1
		.amdhsa_fp16_overflow 0
		.amdhsa_workgroup_processor_mode 1
		.amdhsa_memory_ordered 1
		.amdhsa_forward_progress 0
		.amdhsa_shared_vgpr_count 0
		.amdhsa_exception_fp_ieee_invalid_op 0
		.amdhsa_exception_fp_denorm_src 0
		.amdhsa_exception_fp_ieee_div_zero 0
		.amdhsa_exception_fp_ieee_overflow 0
		.amdhsa_exception_fp_ieee_underflow 0
		.amdhsa_exception_fp_ieee_inexact 0
		.amdhsa_exception_int_div_zero 0
	.end_amdhsa_kernel
	.section	.text._ZN5aiter24add_rmsnorm_quant_kernelIDF16_DF16_Li64ELi8ELb0ELb0ELb1ELi1EEEvPT0_PT_PfS4_S4_S4_diiiiiiib,"axG",@progbits,_ZN5aiter24add_rmsnorm_quant_kernelIDF16_DF16_Li64ELi8ELb0ELb0ELb1ELi1EEEvPT0_PT_PfS4_S4_S4_diiiiiiib,comdat
.Lfunc_end137:
	.size	_ZN5aiter24add_rmsnorm_quant_kernelIDF16_DF16_Li64ELi8ELb0ELb0ELb1ELi1EEEvPT0_PT_PfS4_S4_S4_diiiiiiib, .Lfunc_end137-_ZN5aiter24add_rmsnorm_quant_kernelIDF16_DF16_Li64ELi8ELb0ELb0ELb1ELi1EEEvPT0_PT_PfS4_S4_S4_diiiiiiib
                                        ; -- End function
	.section	.AMDGPU.csdata,"",@progbits
; Kernel info:
; codeLenInByte = 872
; NumSgprs: 22
; NumVgprs: 20
; ScratchSize: 0
; MemoryBound: 0
; FloatMode: 240
; IeeeMode: 1
; LDSByteSize: 8 bytes/workgroup (compile time only)
; SGPRBlocks: 2
; VGPRBlocks: 2
; NumSGPRsForWavesPerEU: 22
; NumVGPRsForWavesPerEU: 20
; Occupancy: 16
; WaveLimiterHint : 1
; COMPUTE_PGM_RSRC2:SCRATCH_EN: 0
; COMPUTE_PGM_RSRC2:USER_SGPR: 15
; COMPUTE_PGM_RSRC2:TRAP_HANDLER: 0
; COMPUTE_PGM_RSRC2:TGID_X_EN: 1
; COMPUTE_PGM_RSRC2:TGID_Y_EN: 0
; COMPUTE_PGM_RSRC2:TGID_Z_EN: 0
; COMPUTE_PGM_RSRC2:TIDIG_COMP_CNT: 0
	.section	.text._ZN5aiter24add_rmsnorm_quant_kernelIttLi64ELi8ELb0ELb0ELb1ELi1EEEvPT0_PT_PfS4_S4_S4_diiiiiiib,"axG",@progbits,_ZN5aiter24add_rmsnorm_quant_kernelIttLi64ELi8ELb0ELb0ELb1ELi1EEEvPT0_PT_PfS4_S4_S4_diiiiiiib,comdat
	.protected	_ZN5aiter24add_rmsnorm_quant_kernelIttLi64ELi8ELb0ELb0ELb1ELi1EEEvPT0_PT_PfS4_S4_S4_diiiiiiib ; -- Begin function _ZN5aiter24add_rmsnorm_quant_kernelIttLi64ELi8ELb0ELb0ELb1ELi1EEEvPT0_PT_PfS4_S4_S4_diiiiiiib
	.globl	_ZN5aiter24add_rmsnorm_quant_kernelIttLi64ELi8ELb0ELb0ELb1ELi1EEEvPT0_PT_PfS4_S4_S4_diiiiiiib
	.p2align	8
	.type	_ZN5aiter24add_rmsnorm_quant_kernelIttLi64ELi8ELb0ELb0ELb1ELi1EEEvPT0_PT_PfS4_S4_S4_diiiiiiib,@function
_ZN5aiter24add_rmsnorm_quant_kernelIttLi64ELi8ELb0ELb0ELb1ELi1EEEvPT0_PT_PfS4_S4_S4_diiiiiiib: ; @_ZN5aiter24add_rmsnorm_quant_kernelIttLi64ELi8ELb0ELb0ELb1ELi1EEEvPT0_PT_PfS4_S4_S4_diiiiiiib
; %bb.0:
	s_load_b128 s[8:11], s[0:1], 0x38
	s_mov_b32 s2, s15
	s_mov_b32 s3, 0
	s_waitcnt lgkmcnt(0)
	s_ashr_i32 s5, s8, 31
	s_mov_b32 s4, s8
	s_delay_alu instid0(SALU_CYCLE_1) | instskip(NEXT) | instid1(VALU_DEP_1)
	v_cmp_ge_i64_e64 s3, s[2:3], s[4:5]
	s_and_b32 vcc_lo, exec_lo, s3
	s_cbranch_vccnz .LBB138_4
; %bb.1:
	s_clause 0x1
	s_load_b64 s[4:5], s[0:1], 0x18
	s_load_b128 s[12:15], s[0:1], 0x28
	s_ashr_i32 s3, s10, 31
	s_mul_hi_u32 s7, s10, s2
	s_mul_i32 s3, s3, s2
	s_mul_i32 s6, s10, s2
	s_add_i32 s7, s7, s3
	v_lshlrev_b32_e32 v5, 4, v0
	s_lshl_b64 s[6:7], s[6:7], 1
	v_and_b32_e32 v16, 31, v0
	s_waitcnt lgkmcnt(0)
	s_add_u32 s4, s4, s6
	s_addc_u32 s3, s5, s7
	s_add_i32 s5, s9, 1
	s_mov_b32 s7, -1
	s_lshr_b32 s6, s5, 31
	s_mov_b32 s19, s7
	s_add_i32 s5, s5, s6
	s_mov_b32 s16, s12
	s_lshl_b32 s6, s5, 1
	s_and_b32 s5, s3, 0xffff
	s_and_b32 s6, s6, -4
	s_and_b32 s17, s13, 0xffff
	buffer_load_b128 v[9:12], v5, s[4:7], 0 offen glc slc
	s_mov_b32 s18, s6
	s_mov_b32 s3, exec_lo
	s_waitcnt vmcnt(0)
	v_lshrrev_b32_e32 v6, 16, v9
	v_and_b32_e32 v8, 0xffff, v10
	v_lshrrev_b32_e32 v15, 16, v12
	v_and_b32_e32 v13, 0xffff, v12
	s_delay_alu instid0(VALU_DEP_4) | instskip(NEXT) | instid1(VALU_DEP_4)
	v_cvt_f32_u32_e32 v6, v6
	v_cvt_f32_u32_e32 v8, v8
	v_and_b32_e32 v7, 0xffff, v9
	v_lshrrev_b32_e32 v9, 16, v10
	v_and_b32_e32 v10, 0xffff, v11
	v_mul_f32_e32 v14, v6, v6
	buffer_load_b128 v[1:4], v5, s[16:19], 0 offen
	v_cvt_f32_u32_e32 v7, v7
	v_cvt_f32_u32_e32 v9, v9
	v_lshrrev_b32_e32 v11, 16, v11
	v_cvt_f32_u32_e32 v10, v10
	v_cvt_f32_u32_e32 v12, v13
	v_fmac_f32_e32 v14, v7, v7
	v_cvt_f32_u32_e32 v13, v15
	v_cvt_f32_u32_e32 v11, v11
	s_delay_alu instid0(VALU_DEP_3) | instskip(NEXT) | instid1(VALU_DEP_1)
	v_fmac_f32_e32 v14, v8, v8
	v_fmac_f32_e32 v14, v9, v9
	s_delay_alu instid0(VALU_DEP_1) | instskip(NEXT) | instid1(VALU_DEP_1)
	v_fmac_f32_e32 v14, v10, v10
	v_fmac_f32_e32 v14, v11, v11
	s_delay_alu instid0(VALU_DEP_1) | instskip(NEXT) | instid1(VALU_DEP_1)
	;; [unrolled: 3-line block ×3, first 2 shown]
	v_mov_b32_dpp v15, v14 quad_perm:[1,0,3,2] row_mask:0xf bank_mask:0xf
	v_add_f32_e32 v14, v14, v15
	s_delay_alu instid0(VALU_DEP_1) | instskip(NEXT) | instid1(VALU_DEP_1)
	v_mov_b32_dpp v15, v14 quad_perm:[2,3,0,1] row_mask:0xf bank_mask:0xf
	v_add_f32_e32 v14, v14, v15
	s_delay_alu instid0(VALU_DEP_1) | instskip(NEXT) | instid1(VALU_DEP_1)
	v_mov_b32_dpp v15, v14 row_xmask:7 row_mask:0xf bank_mask:0xf
	v_add_f32_e32 v14, v14, v15
	s_delay_alu instid0(VALU_DEP_1)
	v_mov_b32_dpp v15, v14 row_xmask:15 row_mask:0xf bank_mask:0xf
	v_cmpx_eq_u32_e32 31, v16
	s_cbranch_execz .LBB138_3
; %bb.2:
	s_delay_alu instid0(VALU_DEP_2) | instskip(SKIP_2) | instid1(VALU_DEP_2)
	v_add_f32_e32 v14, v14, v15
	s_mov_b32 s4, 0x76543210
	v_lshrrev_b32_e32 v15, 3, v0
	v_permlanex16_b32 v16, v14, s4, 0xfedcba98 op_sel:[1,1]
	s_delay_alu instid0(VALU_DEP_1)
	v_dual_add_f32 v14, v14, v16 :: v_dual_and_b32 v15, 0x7c, v15
	ds_store_b32 v15, v14
.LBB138_3:
	s_or_b32 exec_lo, exec_lo, s3
	v_and_b32_e32 v0, 1, v0
	s_waitcnt vmcnt(0) lgkmcnt(0)
	s_barrier
	buffer_gl0_inv
	v_cvt_f32_i32_e32 v15, s9
	v_lshlrev_b32_e32 v0, 2, v0
	ds_load_b32 v0, v0
	s_clause 0x1
	s_load_b64 s[4:5], s[0:1], 0x0
	s_load_b32 s0, s[0:1], 0x4c
	s_waitcnt lgkmcnt(0)
	v_mov_b32_dpp v14, v0 quad_perm:[1,0,3,2] row_mask:0xf bank_mask:0xf
	s_ashr_i32 s1, s0, 31
	s_mul_hi_u32 s3, s0, s2
	s_mul_i32 s1, s1, s2
	s_mul_i32 s0, s0, s2
	v_add_f32_e32 v0, v0, v14
	s_add_i32 s1, s3, s1
	s_delay_alu instid0(SALU_CYCLE_1) | instskip(NEXT) | instid1(SALU_CYCLE_1)
	s_lshl_b64 s[0:1], s[0:1], 1
	s_add_u32 s4, s4, s0
	s_delay_alu instid0(VALU_DEP_1) | instskip(SKIP_2) | instid1(VALU_DEP_2)
	v_div_scale_f32 v14, null, v15, v15, v0
	v_div_scale_f32 v18, vcc_lo, v0, v15, v0
	s_addc_u32 s0, s5, s1
	v_rcp_f32_e32 v16, v14
	s_and_b32 s5, s0, 0xffff
	s_waitcnt_depctr 0xfff
	v_fma_f32 v17, -v14, v16, 1.0
	s_delay_alu instid0(VALU_DEP_1) | instskip(NEXT) | instid1(VALU_DEP_1)
	v_fmac_f32_e32 v16, v17, v16
	v_mul_f32_e32 v17, v18, v16
	s_delay_alu instid0(VALU_DEP_1) | instskip(NEXT) | instid1(VALU_DEP_1)
	v_fma_f32 v19, -v14, v17, v18
	v_fmac_f32_e32 v17, v19, v16
	s_delay_alu instid0(VALU_DEP_1) | instskip(NEXT) | instid1(VALU_DEP_1)
	v_fma_f32 v14, -v14, v17, v18
	v_div_fmas_f32 v14, v14, v16, v17
	v_lshrrev_b32_e32 v16, 16, v3
	v_lshrrev_b32_e32 v17, 16, v4
	s_delay_alu instid0(VALU_DEP_3) | instskip(NEXT) | instid1(VALU_DEP_3)
	v_div_fixup_f32 v0, v14, v15, v0
	v_cvt_f32_u32_e32 v16, v16
	s_delay_alu instid0(VALU_DEP_3) | instskip(NEXT) | instid1(VALU_DEP_3)
	v_cvt_f32_u32_e32 v17, v17
	v_cvt_f64_f32_e32 v[14:15], v0
	s_delay_alu instid0(VALU_DEP_1) | instskip(NEXT) | instid1(VALU_DEP_1)
	v_add_f64 v[14:15], v[14:15], s[14:15]
	v_cvt_f32_f64_e32 v0, v[14:15]
	v_lshrrev_b32_e32 v15, 16, v1
	v_and_b32_e32 v1, 0xffff, v1
	s_delay_alu instid0(VALU_DEP_2) | instskip(NEXT) | instid1(VALU_DEP_2)
	v_cvt_f32_u32_e32 v15, v15
	v_cvt_f32_u32_e32 v1, v1
	v_mul_f32_e32 v14, 0x4b800000, v0
	v_cmp_gt_f32_e32 vcc_lo, 0x800000, v0
	s_delay_alu instid0(VALU_DEP_2) | instskip(SKIP_1) | instid1(VALU_DEP_2)
	v_cndmask_b32_e32 v0, v0, v14, vcc_lo
	v_lshrrev_b32_e32 v14, 16, v2
	v_rsq_f32_e32 v0, v0
	s_delay_alu instid0(VALU_DEP_1) | instskip(SKIP_2) | instid1(VALU_DEP_1)
	v_cvt_f32_u32_e32 v14, v14
	s_waitcnt_depctr 0xfff
	v_mul_f32_e32 v18, 0x45800000, v0
	v_dual_cndmask_b32 v0, v0, v18 :: v_dual_and_b32 v3, 0xffff, v3
	v_and_b32_e32 v2, 0xffff, v2
	v_and_b32_e32 v4, 0xffff, v4
	s_delay_alu instid0(VALU_DEP_3) | instskip(NEXT) | instid1(VALU_DEP_4)
	v_cvt_f32_u32_e32 v3, v3
	v_mul_f32_e32 v11, v0, v11
	v_mul_f32_e32 v6, v0, v6
	s_delay_alu instid0(VALU_DEP_4)
	v_cvt_f32_u32_e32 v4, v4
	v_mul_f32_e32 v7, v0, v7
	v_mul_f32_e32 v8, v0, v8
	;; [unrolled: 1-line block ×3, first 2 shown]
	v_cvt_f32_u32_e32 v2, v2
	v_mul_f32_e32 v10, v0, v10
	v_mul_f32_e32 v12, v0, v12
	;; [unrolled: 1-line block ×4, first 2 shown]
	s_delay_alu instid0(VALU_DEP_4) | instskip(NEXT) | instid1(VALU_DEP_4)
	v_dual_mul_f32 v1, v8, v2 :: v_dual_mul_f32 v2, v10, v3
	v_mul_f32_e32 v3, v12, v4
	s_delay_alu instid0(VALU_DEP_4) | instskip(SKIP_3) | instid1(VALU_DEP_4)
	v_mul_f32_e32 v0, v0, v17
	v_mul_f32_e32 v4, v11, v16
	;; [unrolled: 1-line block ×4, first 2 shown]
	v_perm_b32 v3, v0, v3, 0x7060302
	s_delay_alu instid0(VALU_DEP_4) | instskip(NEXT) | instid1(VALU_DEP_4)
	v_perm_b32 v2, v4, v2, 0x7060302
	v_perm_b32 v1, v8, v1, 0x7060302
	s_delay_alu instid0(VALU_DEP_4)
	v_perm_b32 v0, v6, v7, 0x7060302
	buffer_store_b128 v[0:3], v5, s[4:7], 0 offen
	;;#ASMSTART
	s_nop 0
	;;#ASMEND
.LBB138_4:
	s_nop 0
	s_sendmsg sendmsg(MSG_DEALLOC_VGPRS)
	s_endpgm
	.section	.rodata,"a",@progbits
	.p2align	6, 0x0
	.amdhsa_kernel _ZN5aiter24add_rmsnorm_quant_kernelIttLi64ELi8ELb0ELb0ELb1ELi1EEEvPT0_PT_PfS4_S4_S4_diiiiiiib
		.amdhsa_group_segment_fixed_size 8
		.amdhsa_private_segment_fixed_size 0
		.amdhsa_kernarg_size 88
		.amdhsa_user_sgpr_count 15
		.amdhsa_user_sgpr_dispatch_ptr 0
		.amdhsa_user_sgpr_queue_ptr 0
		.amdhsa_user_sgpr_kernarg_segment_ptr 1
		.amdhsa_user_sgpr_dispatch_id 0
		.amdhsa_user_sgpr_private_segment_size 0
		.amdhsa_wavefront_size32 1
		.amdhsa_uses_dynamic_stack 0
		.amdhsa_enable_private_segment 0
		.amdhsa_system_sgpr_workgroup_id_x 1
		.amdhsa_system_sgpr_workgroup_id_y 0
		.amdhsa_system_sgpr_workgroup_id_z 0
		.amdhsa_system_sgpr_workgroup_info 0
		.amdhsa_system_vgpr_workitem_id 0
		.amdhsa_next_free_vgpr 20
		.amdhsa_next_free_sgpr 20
		.amdhsa_reserve_vcc 1
		.amdhsa_float_round_mode_32 0
		.amdhsa_float_round_mode_16_64 0
		.amdhsa_float_denorm_mode_32 3
		.amdhsa_float_denorm_mode_16_64 3
		.amdhsa_dx10_clamp 1
		.amdhsa_ieee_mode 1
		.amdhsa_fp16_overflow 0
		.amdhsa_workgroup_processor_mode 1
		.amdhsa_memory_ordered 1
		.amdhsa_forward_progress 0
		.amdhsa_shared_vgpr_count 0
		.amdhsa_exception_fp_ieee_invalid_op 0
		.amdhsa_exception_fp_denorm_src 0
		.amdhsa_exception_fp_ieee_div_zero 0
		.amdhsa_exception_fp_ieee_overflow 0
		.amdhsa_exception_fp_ieee_underflow 0
		.amdhsa_exception_fp_ieee_inexact 0
		.amdhsa_exception_int_div_zero 0
	.end_amdhsa_kernel
	.section	.text._ZN5aiter24add_rmsnorm_quant_kernelIttLi64ELi8ELb0ELb0ELb1ELi1EEEvPT0_PT_PfS4_S4_S4_diiiiiiib,"axG",@progbits,_ZN5aiter24add_rmsnorm_quant_kernelIttLi64ELi8ELb0ELb0ELb1ELi1EEEvPT0_PT_PfS4_S4_S4_diiiiiiib,comdat
.Lfunc_end138:
	.size	_ZN5aiter24add_rmsnorm_quant_kernelIttLi64ELi8ELb0ELb0ELb1ELi1EEEvPT0_PT_PfS4_S4_S4_diiiiiiib, .Lfunc_end138-_ZN5aiter24add_rmsnorm_quant_kernelIttLi64ELi8ELb0ELb0ELb1ELi1EEEvPT0_PT_PfS4_S4_S4_diiiiiiib
                                        ; -- End function
	.section	.AMDGPU.csdata,"",@progbits
; Kernel info:
; codeLenInByte = 988
; NumSgprs: 22
; NumVgprs: 20
; ScratchSize: 0
; MemoryBound: 0
; FloatMode: 240
; IeeeMode: 1
; LDSByteSize: 8 bytes/workgroup (compile time only)
; SGPRBlocks: 2
; VGPRBlocks: 2
; NumSGPRsForWavesPerEU: 22
; NumVGPRsForWavesPerEU: 20
; Occupancy: 16
; WaveLimiterHint : 1
; COMPUTE_PGM_RSRC2:SCRATCH_EN: 0
; COMPUTE_PGM_RSRC2:USER_SGPR: 15
; COMPUTE_PGM_RSRC2:TRAP_HANDLER: 0
; COMPUTE_PGM_RSRC2:TGID_X_EN: 1
; COMPUTE_PGM_RSRC2:TGID_Y_EN: 0
; COMPUTE_PGM_RSRC2:TGID_Z_EN: 0
; COMPUTE_PGM_RSRC2:TIDIG_COMP_CNT: 0
	.section	.text._ZN5aiter24add_rmsnorm_quant_kernelIDF16_DF16_Li64ELi8ELb0ELb0ELb0ELi1EEEvPT0_PT_PfS4_S4_S4_diiiiiiib,"axG",@progbits,_ZN5aiter24add_rmsnorm_quant_kernelIDF16_DF16_Li64ELi8ELb0ELb0ELb0ELi1EEEvPT0_PT_PfS4_S4_S4_diiiiiiib,comdat
	.protected	_ZN5aiter24add_rmsnorm_quant_kernelIDF16_DF16_Li64ELi8ELb0ELb0ELb0ELi1EEEvPT0_PT_PfS4_S4_S4_diiiiiiib ; -- Begin function _ZN5aiter24add_rmsnorm_quant_kernelIDF16_DF16_Li64ELi8ELb0ELb0ELb0ELi1EEEvPT0_PT_PfS4_S4_S4_diiiiiiib
	.globl	_ZN5aiter24add_rmsnorm_quant_kernelIDF16_DF16_Li64ELi8ELb0ELb0ELb0ELi1EEEvPT0_PT_PfS4_S4_S4_diiiiiiib
	.p2align	8
	.type	_ZN5aiter24add_rmsnorm_quant_kernelIDF16_DF16_Li64ELi8ELb0ELb0ELb0ELi1EEEvPT0_PT_PfS4_S4_S4_diiiiiiib,@function
_ZN5aiter24add_rmsnorm_quant_kernelIDF16_DF16_Li64ELi8ELb0ELb0ELb0ELi1EEEvPT0_PT_PfS4_S4_S4_diiiiiiib: ; @_ZN5aiter24add_rmsnorm_quant_kernelIDF16_DF16_Li64ELi8ELb0ELb0ELb0ELi1EEEvPT0_PT_PfS4_S4_S4_diiiiiiib
; %bb.0:
	s_load_b128 s[8:11], s[0:1], 0x38
	s_mov_b32 s2, s15
	s_mov_b32 s3, 0
	s_waitcnt lgkmcnt(0)
	s_ashr_i32 s5, s8, 31
	s_mov_b32 s4, s8
	s_delay_alu instid0(SALU_CYCLE_1) | instskip(NEXT) | instid1(VALU_DEP_1)
	v_cmp_ge_i64_e64 s3, s[2:3], s[4:5]
	s_and_b32 vcc_lo, exec_lo, s3
	s_cbranch_vccnz .LBB139_4
; %bb.1:
	s_clause 0x1
	s_load_b64 s[4:5], s[0:1], 0x18
	s_load_b128 s[12:15], s[0:1], 0x28
	s_ashr_i32 s3, s10, 31
	s_mul_hi_u32 s7, s10, s2
	s_mul_i32 s3, s3, s2
	s_mul_i32 s6, s10, s2
	s_add_i32 s7, s7, s3
	v_lshlrev_b32_e32 v5, 4, v0
	s_lshl_b64 s[6:7], s[6:7], 1
	v_and_b32_e32 v16, 31, v0
	s_waitcnt lgkmcnt(0)
	s_add_u32 s4, s4, s6
	s_addc_u32 s3, s5, s7
	s_add_i32 s5, s9, 1
	s_mov_b32 s7, -1
	s_lshr_b32 s6, s5, 31
	s_mov_b32 s19, s7
	s_add_i32 s5, s5, s6
	s_mov_b32 s16, s12
	s_lshl_b32 s6, s5, 1
	s_and_b32 s5, s3, 0xffff
	s_and_b32 s6, s6, -4
	s_and_b32 s17, s13, 0xffff
	buffer_load_b128 v[7:10], v5, s[4:7], 0 offen glc slc
	s_mov_b32 s18, s6
	s_mov_b32 s3, exec_lo
	s_waitcnt vmcnt(0)
	v_lshrrev_b32_e32 v6, 16, v7
	v_lshrrev_b32_e32 v15, 16, v8
	;; [unrolled: 1-line block ×3, first 2 shown]
	s_delay_alu instid0(VALU_DEP_3) | instskip(NEXT) | instid1(VALU_DEP_1)
	v_cvt_f32_f16_e32 v6, v6
	v_mul_f32_e32 v11, v6, v6
	s_delay_alu instid0(VALU_DEP_1) | instskip(NEXT) | instid1(VALU_DEP_1)
	v_fma_mix_f32 v11, v7, v7, v11 op_sel_hi:[1,1,0]
	v_fma_mix_f32 v11, v8, v8, v11 op_sel_hi:[1,1,0]
	s_delay_alu instid0(VALU_DEP_1) | instskip(NEXT) | instid1(VALU_DEP_1)
	v_fma_mix_f32 v11, v8, v8, v11 op_sel:[1,1,0] op_sel_hi:[1,1,0]
	v_fma_mix_f32 v11, v9, v9, v11 op_sel_hi:[1,1,0]
	s_delay_alu instid0(VALU_DEP_1) | instskip(NEXT) | instid1(VALU_DEP_1)
	v_fma_mix_f32 v11, v9, v9, v11 op_sel:[1,1,0] op_sel_hi:[1,1,0]
	v_fma_mix_f32 v11, v10, v10, v11 op_sel_hi:[1,1,0]
	s_delay_alu instid0(VALU_DEP_1) | instskip(NEXT) | instid1(VALU_DEP_1)
	v_fma_mix_f32 v11, v10, v10, v11 op_sel:[1,1,0] op_sel_hi:[1,1,0]
	v_mov_b32_dpp v12, v11 quad_perm:[1,0,3,2] row_mask:0xf bank_mask:0xf
	s_delay_alu instid0(VALU_DEP_1) | instskip(NEXT) | instid1(VALU_DEP_1)
	v_add_f32_e32 v11, v11, v12
	v_mov_b32_dpp v12, v11 quad_perm:[2,3,0,1] row_mask:0xf bank_mask:0xf
	s_delay_alu instid0(VALU_DEP_1)
	v_add_f32_e32 v11, v11, v12
	v_cvt_f32_f16_e32 v12, v7
	v_cvt_f32_f16_e32 v7, v8
	;; [unrolled: 1-line block ×3, first 2 shown]
	v_lshrrev_b32_e32 v9, 16, v9
	v_mov_b32_dpp v13, v11 row_xmask:7 row_mask:0xf bank_mask:0xf
	s_delay_alu instid0(VALU_DEP_2) | instskip(NEXT) | instid1(VALU_DEP_2)
	v_cvt_f32_f16_e32 v9, v9
	v_add_f32_e32 v14, v11, v13
	buffer_load_b128 v[1:4], v5, s[16:19], 0 offen
	v_cvt_f32_f16_e32 v11, v10
	v_cvt_f32_f16_e32 v13, v15
	;; [unrolled: 1-line block ×3, first 2 shown]
	v_mov_b32_dpp v15, v14 row_xmask:15 row_mask:0xf bank_mask:0xf
	v_cmpx_eq_u32_e32 31, v16
	s_cbranch_execz .LBB139_3
; %bb.2:
	s_delay_alu instid0(VALU_DEP_2) | instskip(SKIP_2) | instid1(VALU_DEP_2)
	v_add_f32_e32 v14, v14, v15
	s_mov_b32 s4, 0x76543210
	v_lshrrev_b32_e32 v15, 3, v0
	v_permlanex16_b32 v16, v14, s4, 0xfedcba98 op_sel:[1,1]
	s_delay_alu instid0(VALU_DEP_1)
	v_dual_add_f32 v14, v14, v16 :: v_dual_and_b32 v15, 0x7c, v15
	ds_store_b32 v15, v14
.LBB139_3:
	s_or_b32 exec_lo, exec_lo, s3
	v_and_b32_e32 v0, 1, v0
	s_waitcnt vmcnt(0) lgkmcnt(0)
	s_barrier
	buffer_gl0_inv
	v_cvt_f32_i32_e32 v15, s9
	v_lshlrev_b32_e32 v0, 2, v0
	s_clause 0x1
	s_load_b32 s3, s[0:1], 0x4c
	s_load_b64 s[0:1], s[0:1], 0x0
	ds_load_b32 v0, v0
	s_waitcnt lgkmcnt(0)
	s_ashr_i32 s4, s3, 31
	s_mul_hi_u32 s5, s3, s2
	s_mul_i32 s4, s4, s2
	s_mul_i32 s2, s3, s2
	v_mov_b32_dpp v14, v0 quad_perm:[1,0,3,2] row_mask:0xf bank_mask:0xf
	s_add_i32 s3, s5, s4
	s_delay_alu instid0(SALU_CYCLE_1) | instskip(NEXT) | instid1(SALU_CYCLE_1)
	s_lshl_b64 s[2:3], s[2:3], 1
	s_add_u32 s4, s0, s2
	s_delay_alu instid0(VALU_DEP_1) | instskip(SKIP_1) | instid1(SALU_CYCLE_1)
	v_add_f32_e32 v0, v0, v14
	s_addc_u32 s0, s1, s3
	s_and_b32 s5, s0, 0xffff
	s_delay_alu instid0(VALU_DEP_1) | instskip(SKIP_1) | instid1(VALU_DEP_2)
	v_div_scale_f32 v14, null, v15, v15, v0
	v_div_scale_f32 v18, vcc_lo, v0, v15, v0
	v_rcp_f32_e32 v16, v14
	s_waitcnt_depctr 0xfff
	v_fma_f32 v17, -v14, v16, 1.0
	s_delay_alu instid0(VALU_DEP_1) | instskip(NEXT) | instid1(VALU_DEP_1)
	v_fmac_f32_e32 v16, v17, v16
	v_mul_f32_e32 v17, v18, v16
	s_delay_alu instid0(VALU_DEP_1) | instskip(NEXT) | instid1(VALU_DEP_1)
	v_fma_f32 v19, -v14, v17, v18
	v_fmac_f32_e32 v17, v19, v16
	s_delay_alu instid0(VALU_DEP_1) | instskip(NEXT) | instid1(VALU_DEP_1)
	v_fma_f32 v14, -v14, v17, v18
	v_div_fmas_f32 v14, v14, v16, v17
	s_delay_alu instid0(VALU_DEP_1) | instskip(NEXT) | instid1(VALU_DEP_1)
	v_div_fixup_f32 v0, v14, v15, v0
	v_cvt_f64_f32_e32 v[14:15], v0
	s_delay_alu instid0(VALU_DEP_1) | instskip(NEXT) | instid1(VALU_DEP_1)
	v_add_f64 v[14:15], v[14:15], s[14:15]
	v_cvt_f32_f64_e32 v0, v[14:15]
	s_delay_alu instid0(VALU_DEP_1) | instskip(SKIP_1) | instid1(VALU_DEP_2)
	v_mul_f32_e32 v14, 0x4b800000, v0
	v_cmp_gt_f32_e32 vcc_lo, 0x800000, v0
	v_cndmask_b32_e32 v0, v0, v14, vcc_lo
	s_delay_alu instid0(VALU_DEP_1) | instskip(SKIP_2) | instid1(VALU_DEP_1)
	v_rsq_f32_e32 v0, v0
	s_waitcnt_depctr 0xfff
	v_mul_f32_e32 v14, 0x45800000, v0
	v_cndmask_b32_e32 v0, v0, v14, vcc_lo
	s_delay_alu instid0(VALU_DEP_1)
	v_mul_f32_e32 v14, v0, v6
	v_mul_f32_e32 v6, v0, v12
	;; [unrolled: 1-line block ×8, first 2 shown]
	v_fma_mixlo_f16 v9, v11, v4, 0 op_sel_hi:[0,1,0]
	v_fma_mixlo_f16 v8, v8, v3, 0 op_sel_hi:[0,1,0]
	;; [unrolled: 1-line block ×4, first 2 shown]
	s_delay_alu instid0(VALU_DEP_4) | instskip(NEXT) | instid1(VALU_DEP_4)
	v_fma_mixhi_f16 v9, v0, v4, 0 op_sel:[0,1,0] op_sel_hi:[0,1,0]
	v_fma_mixhi_f16 v8, v13, v3, 0 op_sel:[0,1,0] op_sel_hi:[0,1,0]
	s_delay_alu instid0(VALU_DEP_4) | instskip(NEXT) | instid1(VALU_DEP_4)
	v_fma_mixhi_f16 v7, v12, v2, 0 op_sel:[0,1,0] op_sel_hi:[0,1,0]
	v_fma_mixhi_f16 v6, v14, v1, 0 op_sel:[0,1,0] op_sel_hi:[0,1,0]
	buffer_store_b128 v[6:9], v5, s[4:7], 0 offen
	;;#ASMSTART
	s_nop 0
	;;#ASMEND
.LBB139_4:
	s_nop 0
	s_sendmsg sendmsg(MSG_DEALLOC_VGPRS)
	s_endpgm
	.section	.rodata,"a",@progbits
	.p2align	6, 0x0
	.amdhsa_kernel _ZN5aiter24add_rmsnorm_quant_kernelIDF16_DF16_Li64ELi8ELb0ELb0ELb0ELi1EEEvPT0_PT_PfS4_S4_S4_diiiiiiib
		.amdhsa_group_segment_fixed_size 8
		.amdhsa_private_segment_fixed_size 0
		.amdhsa_kernarg_size 88
		.amdhsa_user_sgpr_count 15
		.amdhsa_user_sgpr_dispatch_ptr 0
		.amdhsa_user_sgpr_queue_ptr 0
		.amdhsa_user_sgpr_kernarg_segment_ptr 1
		.amdhsa_user_sgpr_dispatch_id 0
		.amdhsa_user_sgpr_private_segment_size 0
		.amdhsa_wavefront_size32 1
		.amdhsa_uses_dynamic_stack 0
		.amdhsa_enable_private_segment 0
		.amdhsa_system_sgpr_workgroup_id_x 1
		.amdhsa_system_sgpr_workgroup_id_y 0
		.amdhsa_system_sgpr_workgroup_id_z 0
		.amdhsa_system_sgpr_workgroup_info 0
		.amdhsa_system_vgpr_workitem_id 0
		.amdhsa_next_free_vgpr 20
		.amdhsa_next_free_sgpr 20
		.amdhsa_reserve_vcc 1
		.amdhsa_float_round_mode_32 0
		.amdhsa_float_round_mode_16_64 0
		.amdhsa_float_denorm_mode_32 3
		.amdhsa_float_denorm_mode_16_64 3
		.amdhsa_dx10_clamp 1
		.amdhsa_ieee_mode 1
		.amdhsa_fp16_overflow 0
		.amdhsa_workgroup_processor_mode 1
		.amdhsa_memory_ordered 1
		.amdhsa_forward_progress 0
		.amdhsa_shared_vgpr_count 0
		.amdhsa_exception_fp_ieee_invalid_op 0
		.amdhsa_exception_fp_denorm_src 0
		.amdhsa_exception_fp_ieee_div_zero 0
		.amdhsa_exception_fp_ieee_overflow 0
		.amdhsa_exception_fp_ieee_underflow 0
		.amdhsa_exception_fp_ieee_inexact 0
		.amdhsa_exception_int_div_zero 0
	.end_amdhsa_kernel
	.section	.text._ZN5aiter24add_rmsnorm_quant_kernelIDF16_DF16_Li64ELi8ELb0ELb0ELb0ELi1EEEvPT0_PT_PfS4_S4_S4_diiiiiiib,"axG",@progbits,_ZN5aiter24add_rmsnorm_quant_kernelIDF16_DF16_Li64ELi8ELb0ELb0ELb0ELi1EEEvPT0_PT_PfS4_S4_S4_diiiiiiib,comdat
.Lfunc_end139:
	.size	_ZN5aiter24add_rmsnorm_quant_kernelIDF16_DF16_Li64ELi8ELb0ELb0ELb0ELi1EEEvPT0_PT_PfS4_S4_S4_diiiiiiib, .Lfunc_end139-_ZN5aiter24add_rmsnorm_quant_kernelIDF16_DF16_Li64ELi8ELb0ELb0ELb0ELi1EEEvPT0_PT_PfS4_S4_S4_diiiiiiib
                                        ; -- End function
	.section	.AMDGPU.csdata,"",@progbits
; Kernel info:
; codeLenInByte = 872
; NumSgprs: 22
; NumVgprs: 20
; ScratchSize: 0
; MemoryBound: 0
; FloatMode: 240
; IeeeMode: 1
; LDSByteSize: 8 bytes/workgroup (compile time only)
; SGPRBlocks: 2
; VGPRBlocks: 2
; NumSGPRsForWavesPerEU: 22
; NumVGPRsForWavesPerEU: 20
; Occupancy: 16
; WaveLimiterHint : 1
; COMPUTE_PGM_RSRC2:SCRATCH_EN: 0
; COMPUTE_PGM_RSRC2:USER_SGPR: 15
; COMPUTE_PGM_RSRC2:TRAP_HANDLER: 0
; COMPUTE_PGM_RSRC2:TGID_X_EN: 1
; COMPUTE_PGM_RSRC2:TGID_Y_EN: 0
; COMPUTE_PGM_RSRC2:TGID_Z_EN: 0
; COMPUTE_PGM_RSRC2:TIDIG_COMP_CNT: 0
	.section	.text._ZN5aiter24add_rmsnorm_quant_kernelIttLi64ELi8ELb0ELb0ELb0ELi1EEEvPT0_PT_PfS4_S4_S4_diiiiiiib,"axG",@progbits,_ZN5aiter24add_rmsnorm_quant_kernelIttLi64ELi8ELb0ELb0ELb0ELi1EEEvPT0_PT_PfS4_S4_S4_diiiiiiib,comdat
	.protected	_ZN5aiter24add_rmsnorm_quant_kernelIttLi64ELi8ELb0ELb0ELb0ELi1EEEvPT0_PT_PfS4_S4_S4_diiiiiiib ; -- Begin function _ZN5aiter24add_rmsnorm_quant_kernelIttLi64ELi8ELb0ELb0ELb0ELi1EEEvPT0_PT_PfS4_S4_S4_diiiiiiib
	.globl	_ZN5aiter24add_rmsnorm_quant_kernelIttLi64ELi8ELb0ELb0ELb0ELi1EEEvPT0_PT_PfS4_S4_S4_diiiiiiib
	.p2align	8
	.type	_ZN5aiter24add_rmsnorm_quant_kernelIttLi64ELi8ELb0ELb0ELb0ELi1EEEvPT0_PT_PfS4_S4_S4_diiiiiiib,@function
_ZN5aiter24add_rmsnorm_quant_kernelIttLi64ELi8ELb0ELb0ELb0ELi1EEEvPT0_PT_PfS4_S4_S4_diiiiiiib: ; @_ZN5aiter24add_rmsnorm_quant_kernelIttLi64ELi8ELb0ELb0ELb0ELi1EEEvPT0_PT_PfS4_S4_S4_diiiiiiib
; %bb.0:
	s_load_b128 s[8:11], s[0:1], 0x38
	s_mov_b32 s2, s15
	s_mov_b32 s3, 0
	s_waitcnt lgkmcnt(0)
	s_ashr_i32 s5, s8, 31
	s_mov_b32 s4, s8
	s_delay_alu instid0(SALU_CYCLE_1) | instskip(NEXT) | instid1(VALU_DEP_1)
	v_cmp_ge_i64_e64 s3, s[2:3], s[4:5]
	s_and_b32 vcc_lo, exec_lo, s3
	s_cbranch_vccnz .LBB140_4
; %bb.1:
	s_clause 0x1
	s_load_b64 s[4:5], s[0:1], 0x18
	s_load_b128 s[12:15], s[0:1], 0x28
	s_ashr_i32 s3, s10, 31
	s_mul_hi_u32 s7, s10, s2
	s_mul_i32 s3, s3, s2
	s_mul_i32 s6, s10, s2
	s_add_i32 s7, s7, s3
	v_lshlrev_b32_e32 v5, 4, v0
	s_lshl_b64 s[6:7], s[6:7], 1
	v_and_b32_e32 v16, 31, v0
	s_waitcnt lgkmcnt(0)
	s_add_u32 s4, s4, s6
	s_addc_u32 s3, s5, s7
	s_add_i32 s5, s9, 1
	s_mov_b32 s7, -1
	s_lshr_b32 s6, s5, 31
	s_mov_b32 s19, s7
	s_add_i32 s5, s5, s6
	s_mov_b32 s16, s12
	s_lshl_b32 s6, s5, 1
	s_and_b32 s5, s3, 0xffff
	s_and_b32 s6, s6, -4
	s_and_b32 s17, s13, 0xffff
	buffer_load_b128 v[9:12], v5, s[4:7], 0 offen glc slc
	s_mov_b32 s18, s6
	s_mov_b32 s3, exec_lo
	s_waitcnt vmcnt(0)
	v_lshrrev_b32_e32 v6, 16, v9
	v_and_b32_e32 v8, 0xffff, v10
	v_lshrrev_b32_e32 v15, 16, v12
	v_and_b32_e32 v13, 0xffff, v12
	s_delay_alu instid0(VALU_DEP_4) | instskip(NEXT) | instid1(VALU_DEP_4)
	v_cvt_f32_u32_e32 v6, v6
	v_cvt_f32_u32_e32 v8, v8
	v_and_b32_e32 v7, 0xffff, v9
	v_lshrrev_b32_e32 v9, 16, v10
	v_and_b32_e32 v10, 0xffff, v11
	v_mul_f32_e32 v14, v6, v6
	buffer_load_b128 v[1:4], v5, s[16:19], 0 offen
	v_cvt_f32_u32_e32 v7, v7
	v_cvt_f32_u32_e32 v9, v9
	v_lshrrev_b32_e32 v11, 16, v11
	v_cvt_f32_u32_e32 v10, v10
	v_cvt_f32_u32_e32 v12, v13
	v_fmac_f32_e32 v14, v7, v7
	v_cvt_f32_u32_e32 v13, v15
	v_cvt_f32_u32_e32 v11, v11
	s_delay_alu instid0(VALU_DEP_3) | instskip(NEXT) | instid1(VALU_DEP_1)
	v_fmac_f32_e32 v14, v8, v8
	v_fmac_f32_e32 v14, v9, v9
	s_delay_alu instid0(VALU_DEP_1) | instskip(NEXT) | instid1(VALU_DEP_1)
	v_fmac_f32_e32 v14, v10, v10
	v_fmac_f32_e32 v14, v11, v11
	s_delay_alu instid0(VALU_DEP_1) | instskip(NEXT) | instid1(VALU_DEP_1)
	;; [unrolled: 3-line block ×3, first 2 shown]
	v_mov_b32_dpp v15, v14 quad_perm:[1,0,3,2] row_mask:0xf bank_mask:0xf
	v_add_f32_e32 v14, v14, v15
	s_delay_alu instid0(VALU_DEP_1) | instskip(NEXT) | instid1(VALU_DEP_1)
	v_mov_b32_dpp v15, v14 quad_perm:[2,3,0,1] row_mask:0xf bank_mask:0xf
	v_add_f32_e32 v14, v14, v15
	s_delay_alu instid0(VALU_DEP_1) | instskip(NEXT) | instid1(VALU_DEP_1)
	v_mov_b32_dpp v15, v14 row_xmask:7 row_mask:0xf bank_mask:0xf
	v_add_f32_e32 v14, v14, v15
	s_delay_alu instid0(VALU_DEP_1)
	v_mov_b32_dpp v15, v14 row_xmask:15 row_mask:0xf bank_mask:0xf
	v_cmpx_eq_u32_e32 31, v16
	s_cbranch_execz .LBB140_3
; %bb.2:
	s_delay_alu instid0(VALU_DEP_2) | instskip(SKIP_2) | instid1(VALU_DEP_2)
	v_add_f32_e32 v14, v14, v15
	s_mov_b32 s4, 0x76543210
	v_lshrrev_b32_e32 v15, 3, v0
	v_permlanex16_b32 v16, v14, s4, 0xfedcba98 op_sel:[1,1]
	s_delay_alu instid0(VALU_DEP_1)
	v_dual_add_f32 v14, v14, v16 :: v_dual_and_b32 v15, 0x7c, v15
	ds_store_b32 v15, v14
.LBB140_3:
	s_or_b32 exec_lo, exec_lo, s3
	v_and_b32_e32 v0, 1, v0
	s_waitcnt vmcnt(0) lgkmcnt(0)
	s_barrier
	buffer_gl0_inv
	v_cvt_f32_i32_e32 v15, s9
	v_lshlrev_b32_e32 v0, 2, v0
	ds_load_b32 v0, v0
	s_clause 0x1
	s_load_b64 s[4:5], s[0:1], 0x0
	s_load_b32 s0, s[0:1], 0x4c
	s_waitcnt lgkmcnt(0)
	v_mov_b32_dpp v14, v0 quad_perm:[1,0,3,2] row_mask:0xf bank_mask:0xf
	s_ashr_i32 s1, s0, 31
	s_mul_hi_u32 s3, s0, s2
	s_mul_i32 s1, s1, s2
	s_mul_i32 s0, s0, s2
	v_add_f32_e32 v0, v0, v14
	s_add_i32 s1, s3, s1
	s_delay_alu instid0(SALU_CYCLE_1) | instskip(NEXT) | instid1(SALU_CYCLE_1)
	s_lshl_b64 s[0:1], s[0:1], 1
	s_add_u32 s4, s4, s0
	s_delay_alu instid0(VALU_DEP_1) | instskip(SKIP_2) | instid1(VALU_DEP_2)
	v_div_scale_f32 v14, null, v15, v15, v0
	v_div_scale_f32 v18, vcc_lo, v0, v15, v0
	s_addc_u32 s0, s5, s1
	v_rcp_f32_e32 v16, v14
	s_and_b32 s5, s0, 0xffff
	s_waitcnt_depctr 0xfff
	v_fma_f32 v17, -v14, v16, 1.0
	s_delay_alu instid0(VALU_DEP_1) | instskip(NEXT) | instid1(VALU_DEP_1)
	v_fmac_f32_e32 v16, v17, v16
	v_mul_f32_e32 v17, v18, v16
	s_delay_alu instid0(VALU_DEP_1) | instskip(NEXT) | instid1(VALU_DEP_1)
	v_fma_f32 v19, -v14, v17, v18
	v_fmac_f32_e32 v17, v19, v16
	s_delay_alu instid0(VALU_DEP_1) | instskip(NEXT) | instid1(VALU_DEP_1)
	v_fma_f32 v14, -v14, v17, v18
	v_div_fmas_f32 v14, v14, v16, v17
	v_lshrrev_b32_e32 v16, 16, v3
	v_lshrrev_b32_e32 v17, 16, v4
	s_delay_alu instid0(VALU_DEP_3) | instskip(NEXT) | instid1(VALU_DEP_3)
	v_div_fixup_f32 v0, v14, v15, v0
	v_cvt_f32_u32_e32 v16, v16
	s_delay_alu instid0(VALU_DEP_3) | instskip(NEXT) | instid1(VALU_DEP_3)
	v_cvt_f32_u32_e32 v17, v17
	v_cvt_f64_f32_e32 v[14:15], v0
	s_delay_alu instid0(VALU_DEP_1) | instskip(NEXT) | instid1(VALU_DEP_1)
	v_add_f64 v[14:15], v[14:15], s[14:15]
	v_cvt_f32_f64_e32 v0, v[14:15]
	v_lshrrev_b32_e32 v15, 16, v1
	v_and_b32_e32 v1, 0xffff, v1
	s_delay_alu instid0(VALU_DEP_2) | instskip(NEXT) | instid1(VALU_DEP_2)
	v_cvt_f32_u32_e32 v15, v15
	v_cvt_f32_u32_e32 v1, v1
	v_mul_f32_e32 v14, 0x4b800000, v0
	v_cmp_gt_f32_e32 vcc_lo, 0x800000, v0
	s_delay_alu instid0(VALU_DEP_2) | instskip(SKIP_1) | instid1(VALU_DEP_2)
	v_cndmask_b32_e32 v0, v0, v14, vcc_lo
	v_lshrrev_b32_e32 v14, 16, v2
	v_rsq_f32_e32 v0, v0
	s_delay_alu instid0(VALU_DEP_1) | instskip(SKIP_2) | instid1(VALU_DEP_1)
	v_cvt_f32_u32_e32 v14, v14
	s_waitcnt_depctr 0xfff
	v_mul_f32_e32 v18, 0x45800000, v0
	v_dual_cndmask_b32 v0, v0, v18 :: v_dual_and_b32 v3, 0xffff, v3
	v_and_b32_e32 v2, 0xffff, v2
	v_and_b32_e32 v4, 0xffff, v4
	s_delay_alu instid0(VALU_DEP_3) | instskip(NEXT) | instid1(VALU_DEP_4)
	v_cvt_f32_u32_e32 v3, v3
	v_mul_f32_e32 v11, v0, v11
	v_mul_f32_e32 v6, v0, v6
	s_delay_alu instid0(VALU_DEP_4)
	v_cvt_f32_u32_e32 v4, v4
	v_mul_f32_e32 v7, v0, v7
	v_mul_f32_e32 v8, v0, v8
	;; [unrolled: 1-line block ×3, first 2 shown]
	v_cvt_f32_u32_e32 v2, v2
	v_mul_f32_e32 v10, v0, v10
	v_mul_f32_e32 v12, v0, v12
	;; [unrolled: 1-line block ×4, first 2 shown]
	s_delay_alu instid0(VALU_DEP_4) | instskip(NEXT) | instid1(VALU_DEP_4)
	v_dual_mul_f32 v1, v8, v2 :: v_dual_mul_f32 v2, v10, v3
	v_mul_f32_e32 v3, v12, v4
	s_delay_alu instid0(VALU_DEP_4) | instskip(SKIP_3) | instid1(VALU_DEP_4)
	v_mul_f32_e32 v0, v0, v17
	v_mul_f32_e32 v4, v11, v16
	;; [unrolled: 1-line block ×4, first 2 shown]
	v_perm_b32 v3, v0, v3, 0x7060302
	s_delay_alu instid0(VALU_DEP_4) | instskip(NEXT) | instid1(VALU_DEP_4)
	v_perm_b32 v2, v4, v2, 0x7060302
	v_perm_b32 v1, v8, v1, 0x7060302
	s_delay_alu instid0(VALU_DEP_4)
	v_perm_b32 v0, v6, v7, 0x7060302
	buffer_store_b128 v[0:3], v5, s[4:7], 0 offen
	;;#ASMSTART
	s_nop 0
	;;#ASMEND
.LBB140_4:
	s_nop 0
	s_sendmsg sendmsg(MSG_DEALLOC_VGPRS)
	s_endpgm
	.section	.rodata,"a",@progbits
	.p2align	6, 0x0
	.amdhsa_kernel _ZN5aiter24add_rmsnorm_quant_kernelIttLi64ELi8ELb0ELb0ELb0ELi1EEEvPT0_PT_PfS4_S4_S4_diiiiiiib
		.amdhsa_group_segment_fixed_size 8
		.amdhsa_private_segment_fixed_size 0
		.amdhsa_kernarg_size 88
		.amdhsa_user_sgpr_count 15
		.amdhsa_user_sgpr_dispatch_ptr 0
		.amdhsa_user_sgpr_queue_ptr 0
		.amdhsa_user_sgpr_kernarg_segment_ptr 1
		.amdhsa_user_sgpr_dispatch_id 0
		.amdhsa_user_sgpr_private_segment_size 0
		.amdhsa_wavefront_size32 1
		.amdhsa_uses_dynamic_stack 0
		.amdhsa_enable_private_segment 0
		.amdhsa_system_sgpr_workgroup_id_x 1
		.amdhsa_system_sgpr_workgroup_id_y 0
		.amdhsa_system_sgpr_workgroup_id_z 0
		.amdhsa_system_sgpr_workgroup_info 0
		.amdhsa_system_vgpr_workitem_id 0
		.amdhsa_next_free_vgpr 20
		.amdhsa_next_free_sgpr 20
		.amdhsa_reserve_vcc 1
		.amdhsa_float_round_mode_32 0
		.amdhsa_float_round_mode_16_64 0
		.amdhsa_float_denorm_mode_32 3
		.amdhsa_float_denorm_mode_16_64 3
		.amdhsa_dx10_clamp 1
		.amdhsa_ieee_mode 1
		.amdhsa_fp16_overflow 0
		.amdhsa_workgroup_processor_mode 1
		.amdhsa_memory_ordered 1
		.amdhsa_forward_progress 0
		.amdhsa_shared_vgpr_count 0
		.amdhsa_exception_fp_ieee_invalid_op 0
		.amdhsa_exception_fp_denorm_src 0
		.amdhsa_exception_fp_ieee_div_zero 0
		.amdhsa_exception_fp_ieee_overflow 0
		.amdhsa_exception_fp_ieee_underflow 0
		.amdhsa_exception_fp_ieee_inexact 0
		.amdhsa_exception_int_div_zero 0
	.end_amdhsa_kernel
	.section	.text._ZN5aiter24add_rmsnorm_quant_kernelIttLi64ELi8ELb0ELb0ELb0ELi1EEEvPT0_PT_PfS4_S4_S4_diiiiiiib,"axG",@progbits,_ZN5aiter24add_rmsnorm_quant_kernelIttLi64ELi8ELb0ELb0ELb0ELi1EEEvPT0_PT_PfS4_S4_S4_diiiiiiib,comdat
.Lfunc_end140:
	.size	_ZN5aiter24add_rmsnorm_quant_kernelIttLi64ELi8ELb0ELb0ELb0ELi1EEEvPT0_PT_PfS4_S4_S4_diiiiiiib, .Lfunc_end140-_ZN5aiter24add_rmsnorm_quant_kernelIttLi64ELi8ELb0ELb0ELb0ELi1EEEvPT0_PT_PfS4_S4_S4_diiiiiiib
                                        ; -- End function
	.section	.AMDGPU.csdata,"",@progbits
; Kernel info:
; codeLenInByte = 988
; NumSgprs: 22
; NumVgprs: 20
; ScratchSize: 0
; MemoryBound: 0
; FloatMode: 240
; IeeeMode: 1
; LDSByteSize: 8 bytes/workgroup (compile time only)
; SGPRBlocks: 2
; VGPRBlocks: 2
; NumSGPRsForWavesPerEU: 22
; NumVGPRsForWavesPerEU: 20
; Occupancy: 16
; WaveLimiterHint : 1
; COMPUTE_PGM_RSRC2:SCRATCH_EN: 0
; COMPUTE_PGM_RSRC2:USER_SGPR: 15
; COMPUTE_PGM_RSRC2:TRAP_HANDLER: 0
; COMPUTE_PGM_RSRC2:TGID_X_EN: 1
; COMPUTE_PGM_RSRC2:TGID_Y_EN: 0
; COMPUTE_PGM_RSRC2:TGID_Z_EN: 0
; COMPUTE_PGM_RSRC2:TIDIG_COMP_CNT: 0
	.section	.text._ZN5aiter24add_rmsnorm_quant_kernelIDF16_DF16_Li128ELi8ELb0ELb0ELb1ELi1EEEvPT0_PT_PfS4_S4_S4_diiiiiiib,"axG",@progbits,_ZN5aiter24add_rmsnorm_quant_kernelIDF16_DF16_Li128ELi8ELb0ELb0ELb1ELi1EEEvPT0_PT_PfS4_S4_S4_diiiiiiib,comdat
	.protected	_ZN5aiter24add_rmsnorm_quant_kernelIDF16_DF16_Li128ELi8ELb0ELb0ELb1ELi1EEEvPT0_PT_PfS4_S4_S4_diiiiiiib ; -- Begin function _ZN5aiter24add_rmsnorm_quant_kernelIDF16_DF16_Li128ELi8ELb0ELb0ELb1ELi1EEEvPT0_PT_PfS4_S4_S4_diiiiiiib
	.globl	_ZN5aiter24add_rmsnorm_quant_kernelIDF16_DF16_Li128ELi8ELb0ELb0ELb1ELi1EEEvPT0_PT_PfS4_S4_S4_diiiiiiib
	.p2align	8
	.type	_ZN5aiter24add_rmsnorm_quant_kernelIDF16_DF16_Li128ELi8ELb0ELb0ELb1ELi1EEEvPT0_PT_PfS4_S4_S4_diiiiiiib,@function
_ZN5aiter24add_rmsnorm_quant_kernelIDF16_DF16_Li128ELi8ELb0ELb0ELb1ELi1EEEvPT0_PT_PfS4_S4_S4_diiiiiiib: ; @_ZN5aiter24add_rmsnorm_quant_kernelIDF16_DF16_Li128ELi8ELb0ELb0ELb1ELi1EEEvPT0_PT_PfS4_S4_S4_diiiiiiib
; %bb.0:
	s_load_b128 s[8:11], s[0:1], 0x38
	s_mov_b32 s2, s15
	s_mov_b32 s3, 0
	s_waitcnt lgkmcnt(0)
	s_ashr_i32 s5, s8, 31
	s_mov_b32 s4, s8
	s_delay_alu instid0(SALU_CYCLE_1) | instskip(NEXT) | instid1(VALU_DEP_1)
	v_cmp_ge_i64_e64 s3, s[2:3], s[4:5]
	s_and_b32 vcc_lo, exec_lo, s3
	s_cbranch_vccnz .LBB141_4
; %bb.1:
	s_clause 0x1
	s_load_b64 s[4:5], s[0:1], 0x18
	s_load_b128 s[12:15], s[0:1], 0x28
	s_ashr_i32 s3, s10, 31
	s_mul_hi_u32 s7, s10, s2
	s_mul_i32 s3, s3, s2
	s_mul_i32 s6, s10, s2
	s_add_i32 s7, s7, s3
	v_lshlrev_b32_e32 v5, 4, v0
	s_lshl_b64 s[6:7], s[6:7], 1
	v_and_b32_e32 v16, 31, v0
	s_waitcnt lgkmcnt(0)
	s_add_u32 s4, s4, s6
	s_addc_u32 s3, s5, s7
	s_add_i32 s5, s9, 1
	s_mov_b32 s7, -1
	s_lshr_b32 s6, s5, 31
	s_mov_b32 s19, s7
	s_add_i32 s5, s5, s6
	s_mov_b32 s16, s12
	s_lshl_b32 s6, s5, 1
	s_and_b32 s5, s3, 0xffff
	s_and_b32 s6, s6, -4
	s_and_b32 s17, s13, 0xffff
	buffer_load_b128 v[7:10], v5, s[4:7], 0 offen glc slc
	s_mov_b32 s18, s6
	s_mov_b32 s3, exec_lo
	s_waitcnt vmcnt(0)
	v_lshrrev_b32_e32 v6, 16, v7
	v_lshrrev_b32_e32 v15, 16, v8
	v_lshrrev_b32_e32 v17, 16, v10
	s_delay_alu instid0(VALU_DEP_3) | instskip(NEXT) | instid1(VALU_DEP_1)
	v_cvt_f32_f16_e32 v6, v6
	v_mul_f32_e32 v11, v6, v6
	s_delay_alu instid0(VALU_DEP_1) | instskip(NEXT) | instid1(VALU_DEP_1)
	v_fma_mix_f32 v11, v7, v7, v11 op_sel_hi:[1,1,0]
	v_fma_mix_f32 v11, v8, v8, v11 op_sel_hi:[1,1,0]
	s_delay_alu instid0(VALU_DEP_1) | instskip(NEXT) | instid1(VALU_DEP_1)
	v_fma_mix_f32 v11, v8, v8, v11 op_sel:[1,1,0] op_sel_hi:[1,1,0]
	v_fma_mix_f32 v11, v9, v9, v11 op_sel_hi:[1,1,0]
	s_delay_alu instid0(VALU_DEP_1) | instskip(NEXT) | instid1(VALU_DEP_1)
	v_fma_mix_f32 v11, v9, v9, v11 op_sel:[1,1,0] op_sel_hi:[1,1,0]
	;; [unrolled: 3-line block ×3, first 2 shown]
	v_mov_b32_dpp v12, v11 quad_perm:[1,0,3,2] row_mask:0xf bank_mask:0xf
	s_delay_alu instid0(VALU_DEP_1) | instskip(NEXT) | instid1(VALU_DEP_1)
	v_add_f32_e32 v11, v11, v12
	v_mov_b32_dpp v12, v11 quad_perm:[2,3,0,1] row_mask:0xf bank_mask:0xf
	s_delay_alu instid0(VALU_DEP_1)
	v_add_f32_e32 v11, v11, v12
	v_cvt_f32_f16_e32 v12, v7
	v_cvt_f32_f16_e32 v7, v8
	;; [unrolled: 1-line block ×3, first 2 shown]
	v_lshrrev_b32_e32 v9, 16, v9
	v_mov_b32_dpp v13, v11 row_xmask:7 row_mask:0xf bank_mask:0xf
	s_delay_alu instid0(VALU_DEP_2) | instskip(NEXT) | instid1(VALU_DEP_2)
	v_cvt_f32_f16_e32 v9, v9
	v_add_f32_e32 v14, v11, v13
	buffer_load_b128 v[1:4], v5, s[16:19], 0 offen
	v_cvt_f32_f16_e32 v11, v10
	v_cvt_f32_f16_e32 v13, v15
	;; [unrolled: 1-line block ×3, first 2 shown]
	v_mov_b32_dpp v15, v14 row_xmask:15 row_mask:0xf bank_mask:0xf
	v_cmpx_eq_u32_e32 31, v16
	s_cbranch_execz .LBB141_3
; %bb.2:
	s_delay_alu instid0(VALU_DEP_2) | instskip(SKIP_2) | instid1(VALU_DEP_2)
	v_add_f32_e32 v14, v14, v15
	s_mov_b32 s4, 0x76543210
	v_lshrrev_b32_e32 v15, 3, v0
	v_permlanex16_b32 v16, v14, s4, 0xfedcba98 op_sel:[1,1]
	s_delay_alu instid0(VALU_DEP_1)
	v_dual_add_f32 v14, v14, v16 :: v_dual_and_b32 v15, 0x7c, v15
	ds_store_b32 v15, v14
.LBB141_3:
	s_or_b32 exec_lo, exec_lo, s3
	v_and_b32_e32 v0, 3, v0
	s_waitcnt vmcnt(0) lgkmcnt(0)
	s_barrier
	buffer_gl0_inv
	v_cvt_f32_i32_e32 v15, s9
	v_lshlrev_b32_e32 v0, 2, v0
	s_clause 0x1
	s_load_b32 s3, s[0:1], 0x4c
	s_load_b64 s[0:1], s[0:1], 0x0
	ds_load_b32 v0, v0
	s_waitcnt lgkmcnt(0)
	s_ashr_i32 s4, s3, 31
	s_mul_hi_u32 s5, s3, s2
	s_mul_i32 s4, s4, s2
	s_mul_i32 s2, s3, s2
	v_mov_b32_dpp v14, v0 quad_perm:[1,0,3,2] row_mask:0xf bank_mask:0xf
	s_add_i32 s3, s5, s4
	s_delay_alu instid0(SALU_CYCLE_1) | instskip(NEXT) | instid1(SALU_CYCLE_1)
	s_lshl_b64 s[2:3], s[2:3], 1
	s_add_u32 s4, s0, s2
	s_delay_alu instid0(VALU_DEP_1) | instskip(SKIP_1) | instid1(SALU_CYCLE_1)
	v_add_f32_e32 v0, v0, v14
	s_addc_u32 s0, s1, s3
	s_and_b32 s5, s0, 0xffff
	s_delay_alu instid0(VALU_DEP_1) | instskip(NEXT) | instid1(VALU_DEP_1)
	v_mov_b32_dpp v14, v0 quad_perm:[2,3,0,1] row_mask:0xf bank_mask:0xf
	v_add_f32_e32 v0, v0, v14
	s_delay_alu instid0(VALU_DEP_1) | instskip(SKIP_1) | instid1(VALU_DEP_2)
	v_div_scale_f32 v14, null, v15, v15, v0
	v_div_scale_f32 v18, vcc_lo, v0, v15, v0
	v_rcp_f32_e32 v16, v14
	s_waitcnt_depctr 0xfff
	v_fma_f32 v17, -v14, v16, 1.0
	s_delay_alu instid0(VALU_DEP_1) | instskip(NEXT) | instid1(VALU_DEP_1)
	v_fmac_f32_e32 v16, v17, v16
	v_mul_f32_e32 v17, v18, v16
	s_delay_alu instid0(VALU_DEP_1) | instskip(NEXT) | instid1(VALU_DEP_1)
	v_fma_f32 v19, -v14, v17, v18
	v_fmac_f32_e32 v17, v19, v16
	s_delay_alu instid0(VALU_DEP_1) | instskip(NEXT) | instid1(VALU_DEP_1)
	v_fma_f32 v14, -v14, v17, v18
	v_div_fmas_f32 v14, v14, v16, v17
	s_delay_alu instid0(VALU_DEP_1) | instskip(NEXT) | instid1(VALU_DEP_1)
	v_div_fixup_f32 v0, v14, v15, v0
	v_cvt_f64_f32_e32 v[14:15], v0
	s_delay_alu instid0(VALU_DEP_1) | instskip(NEXT) | instid1(VALU_DEP_1)
	v_add_f64 v[14:15], v[14:15], s[14:15]
	v_cvt_f32_f64_e32 v0, v[14:15]
	s_delay_alu instid0(VALU_DEP_1) | instskip(SKIP_1) | instid1(VALU_DEP_2)
	v_mul_f32_e32 v14, 0x4b800000, v0
	v_cmp_gt_f32_e32 vcc_lo, 0x800000, v0
	v_cndmask_b32_e32 v0, v0, v14, vcc_lo
	s_delay_alu instid0(VALU_DEP_1) | instskip(SKIP_2) | instid1(VALU_DEP_1)
	v_rsq_f32_e32 v0, v0
	s_waitcnt_depctr 0xfff
	v_mul_f32_e32 v14, 0x45800000, v0
	v_cndmask_b32_e32 v0, v0, v14, vcc_lo
	s_delay_alu instid0(VALU_DEP_1)
	v_mul_f32_e32 v14, v0, v6
	v_mul_f32_e32 v6, v0, v12
	;; [unrolled: 1-line block ×8, first 2 shown]
	v_fma_mixlo_f16 v9, v11, v4, 0 op_sel_hi:[0,1,0]
	v_fma_mixlo_f16 v8, v8, v3, 0 op_sel_hi:[0,1,0]
	;; [unrolled: 1-line block ×4, first 2 shown]
	s_delay_alu instid0(VALU_DEP_4) | instskip(NEXT) | instid1(VALU_DEP_4)
	v_fma_mixhi_f16 v9, v0, v4, 0 op_sel:[0,1,0] op_sel_hi:[0,1,0]
	v_fma_mixhi_f16 v8, v13, v3, 0 op_sel:[0,1,0] op_sel_hi:[0,1,0]
	s_delay_alu instid0(VALU_DEP_4) | instskip(NEXT) | instid1(VALU_DEP_4)
	v_fma_mixhi_f16 v7, v12, v2, 0 op_sel:[0,1,0] op_sel_hi:[0,1,0]
	v_fma_mixhi_f16 v6, v14, v1, 0 op_sel:[0,1,0] op_sel_hi:[0,1,0]
	buffer_store_b128 v[6:9], v5, s[4:7], 0 offen
	;;#ASMSTART
	s_nop 0
	;;#ASMEND
.LBB141_4:
	s_nop 0
	s_sendmsg sendmsg(MSG_DEALLOC_VGPRS)
	s_endpgm
	.section	.rodata,"a",@progbits
	.p2align	6, 0x0
	.amdhsa_kernel _ZN5aiter24add_rmsnorm_quant_kernelIDF16_DF16_Li128ELi8ELb0ELb0ELb1ELi1EEEvPT0_PT_PfS4_S4_S4_diiiiiiib
		.amdhsa_group_segment_fixed_size 16
		.amdhsa_private_segment_fixed_size 0
		.amdhsa_kernarg_size 88
		.amdhsa_user_sgpr_count 15
		.amdhsa_user_sgpr_dispatch_ptr 0
		.amdhsa_user_sgpr_queue_ptr 0
		.amdhsa_user_sgpr_kernarg_segment_ptr 1
		.amdhsa_user_sgpr_dispatch_id 0
		.amdhsa_user_sgpr_private_segment_size 0
		.amdhsa_wavefront_size32 1
		.amdhsa_uses_dynamic_stack 0
		.amdhsa_enable_private_segment 0
		.amdhsa_system_sgpr_workgroup_id_x 1
		.amdhsa_system_sgpr_workgroup_id_y 0
		.amdhsa_system_sgpr_workgroup_id_z 0
		.amdhsa_system_sgpr_workgroup_info 0
		.amdhsa_system_vgpr_workitem_id 0
		.amdhsa_next_free_vgpr 20
		.amdhsa_next_free_sgpr 20
		.amdhsa_reserve_vcc 1
		.amdhsa_float_round_mode_32 0
		.amdhsa_float_round_mode_16_64 0
		.amdhsa_float_denorm_mode_32 3
		.amdhsa_float_denorm_mode_16_64 3
		.amdhsa_dx10_clamp 1
		.amdhsa_ieee_mode 1
		.amdhsa_fp16_overflow 0
		.amdhsa_workgroup_processor_mode 1
		.amdhsa_memory_ordered 1
		.amdhsa_forward_progress 0
		.amdhsa_shared_vgpr_count 0
		.amdhsa_exception_fp_ieee_invalid_op 0
		.amdhsa_exception_fp_denorm_src 0
		.amdhsa_exception_fp_ieee_div_zero 0
		.amdhsa_exception_fp_ieee_overflow 0
		.amdhsa_exception_fp_ieee_underflow 0
		.amdhsa_exception_fp_ieee_inexact 0
		.amdhsa_exception_int_div_zero 0
	.end_amdhsa_kernel
	.section	.text._ZN5aiter24add_rmsnorm_quant_kernelIDF16_DF16_Li128ELi8ELb0ELb0ELb1ELi1EEEvPT0_PT_PfS4_S4_S4_diiiiiiib,"axG",@progbits,_ZN5aiter24add_rmsnorm_quant_kernelIDF16_DF16_Li128ELi8ELb0ELb0ELb1ELi1EEEvPT0_PT_PfS4_S4_S4_diiiiiiib,comdat
.Lfunc_end141:
	.size	_ZN5aiter24add_rmsnorm_quant_kernelIDF16_DF16_Li128ELi8ELb0ELb0ELb1ELi1EEEvPT0_PT_PfS4_S4_S4_diiiiiiib, .Lfunc_end141-_ZN5aiter24add_rmsnorm_quant_kernelIDF16_DF16_Li128ELi8ELb0ELb0ELb1ELi1EEEvPT0_PT_PfS4_S4_S4_diiiiiiib
                                        ; -- End function
	.section	.AMDGPU.csdata,"",@progbits
; Kernel info:
; codeLenInByte = 888
; NumSgprs: 22
; NumVgprs: 20
; ScratchSize: 0
; MemoryBound: 0
; FloatMode: 240
; IeeeMode: 1
; LDSByteSize: 16 bytes/workgroup (compile time only)
; SGPRBlocks: 2
; VGPRBlocks: 2
; NumSGPRsForWavesPerEU: 22
; NumVGPRsForWavesPerEU: 20
; Occupancy: 16
; WaveLimiterHint : 1
; COMPUTE_PGM_RSRC2:SCRATCH_EN: 0
; COMPUTE_PGM_RSRC2:USER_SGPR: 15
; COMPUTE_PGM_RSRC2:TRAP_HANDLER: 0
; COMPUTE_PGM_RSRC2:TGID_X_EN: 1
; COMPUTE_PGM_RSRC2:TGID_Y_EN: 0
; COMPUTE_PGM_RSRC2:TGID_Z_EN: 0
; COMPUTE_PGM_RSRC2:TIDIG_COMP_CNT: 0
	.section	.text._ZN5aiter24add_rmsnorm_quant_kernelIttLi128ELi8ELb0ELb0ELb1ELi1EEEvPT0_PT_PfS4_S4_S4_diiiiiiib,"axG",@progbits,_ZN5aiter24add_rmsnorm_quant_kernelIttLi128ELi8ELb0ELb0ELb1ELi1EEEvPT0_PT_PfS4_S4_S4_diiiiiiib,comdat
	.protected	_ZN5aiter24add_rmsnorm_quant_kernelIttLi128ELi8ELb0ELb0ELb1ELi1EEEvPT0_PT_PfS4_S4_S4_diiiiiiib ; -- Begin function _ZN5aiter24add_rmsnorm_quant_kernelIttLi128ELi8ELb0ELb0ELb1ELi1EEEvPT0_PT_PfS4_S4_S4_diiiiiiib
	.globl	_ZN5aiter24add_rmsnorm_quant_kernelIttLi128ELi8ELb0ELb0ELb1ELi1EEEvPT0_PT_PfS4_S4_S4_diiiiiiib
	.p2align	8
	.type	_ZN5aiter24add_rmsnorm_quant_kernelIttLi128ELi8ELb0ELb0ELb1ELi1EEEvPT0_PT_PfS4_S4_S4_diiiiiiib,@function
_ZN5aiter24add_rmsnorm_quant_kernelIttLi128ELi8ELb0ELb0ELb1ELi1EEEvPT0_PT_PfS4_S4_S4_diiiiiiib: ; @_ZN5aiter24add_rmsnorm_quant_kernelIttLi128ELi8ELb0ELb0ELb1ELi1EEEvPT0_PT_PfS4_S4_S4_diiiiiiib
; %bb.0:
	s_load_b128 s[8:11], s[0:1], 0x38
	s_mov_b32 s2, s15
	s_mov_b32 s3, 0
	s_waitcnt lgkmcnt(0)
	s_ashr_i32 s5, s8, 31
	s_mov_b32 s4, s8
	s_delay_alu instid0(SALU_CYCLE_1) | instskip(NEXT) | instid1(VALU_DEP_1)
	v_cmp_ge_i64_e64 s3, s[2:3], s[4:5]
	s_and_b32 vcc_lo, exec_lo, s3
	s_cbranch_vccnz .LBB142_4
; %bb.1:
	s_clause 0x1
	s_load_b64 s[4:5], s[0:1], 0x18
	s_load_b128 s[12:15], s[0:1], 0x28
	s_ashr_i32 s3, s10, 31
	s_mul_hi_u32 s7, s10, s2
	s_mul_i32 s3, s3, s2
	s_mul_i32 s6, s10, s2
	s_add_i32 s7, s7, s3
	v_lshlrev_b32_e32 v5, 4, v0
	s_lshl_b64 s[6:7], s[6:7], 1
	v_and_b32_e32 v16, 31, v0
	s_waitcnt lgkmcnt(0)
	s_add_u32 s4, s4, s6
	s_addc_u32 s3, s5, s7
	s_add_i32 s5, s9, 1
	s_mov_b32 s7, -1
	s_lshr_b32 s6, s5, 31
	s_mov_b32 s19, s7
	s_add_i32 s5, s5, s6
	s_mov_b32 s16, s12
	s_lshl_b32 s6, s5, 1
	s_and_b32 s5, s3, 0xffff
	s_and_b32 s6, s6, -4
	s_and_b32 s17, s13, 0xffff
	buffer_load_b128 v[9:12], v5, s[4:7], 0 offen glc slc
	s_mov_b32 s18, s6
	s_mov_b32 s3, exec_lo
	s_waitcnt vmcnt(0)
	v_lshrrev_b32_e32 v6, 16, v9
	v_and_b32_e32 v8, 0xffff, v10
	v_lshrrev_b32_e32 v15, 16, v12
	v_and_b32_e32 v13, 0xffff, v12
	s_delay_alu instid0(VALU_DEP_4) | instskip(NEXT) | instid1(VALU_DEP_4)
	v_cvt_f32_u32_e32 v6, v6
	v_cvt_f32_u32_e32 v8, v8
	v_and_b32_e32 v7, 0xffff, v9
	v_lshrrev_b32_e32 v9, 16, v10
	v_and_b32_e32 v10, 0xffff, v11
	v_mul_f32_e32 v14, v6, v6
	buffer_load_b128 v[1:4], v5, s[16:19], 0 offen
	v_cvt_f32_u32_e32 v7, v7
	v_cvt_f32_u32_e32 v9, v9
	v_lshrrev_b32_e32 v11, 16, v11
	v_cvt_f32_u32_e32 v10, v10
	v_cvt_f32_u32_e32 v12, v13
	v_fmac_f32_e32 v14, v7, v7
	v_cvt_f32_u32_e32 v13, v15
	v_cvt_f32_u32_e32 v11, v11
	s_delay_alu instid0(VALU_DEP_3) | instskip(NEXT) | instid1(VALU_DEP_1)
	v_fmac_f32_e32 v14, v8, v8
	v_fmac_f32_e32 v14, v9, v9
	s_delay_alu instid0(VALU_DEP_1) | instskip(NEXT) | instid1(VALU_DEP_1)
	v_fmac_f32_e32 v14, v10, v10
	v_fmac_f32_e32 v14, v11, v11
	s_delay_alu instid0(VALU_DEP_1) | instskip(NEXT) | instid1(VALU_DEP_1)
	;; [unrolled: 3-line block ×3, first 2 shown]
	v_mov_b32_dpp v15, v14 quad_perm:[1,0,3,2] row_mask:0xf bank_mask:0xf
	v_add_f32_e32 v14, v14, v15
	s_delay_alu instid0(VALU_DEP_1) | instskip(NEXT) | instid1(VALU_DEP_1)
	v_mov_b32_dpp v15, v14 quad_perm:[2,3,0,1] row_mask:0xf bank_mask:0xf
	v_add_f32_e32 v14, v14, v15
	s_delay_alu instid0(VALU_DEP_1) | instskip(NEXT) | instid1(VALU_DEP_1)
	v_mov_b32_dpp v15, v14 row_xmask:7 row_mask:0xf bank_mask:0xf
	v_add_f32_e32 v14, v14, v15
	s_delay_alu instid0(VALU_DEP_1)
	v_mov_b32_dpp v15, v14 row_xmask:15 row_mask:0xf bank_mask:0xf
	v_cmpx_eq_u32_e32 31, v16
	s_cbranch_execz .LBB142_3
; %bb.2:
	s_delay_alu instid0(VALU_DEP_2) | instskip(SKIP_2) | instid1(VALU_DEP_2)
	v_add_f32_e32 v14, v14, v15
	s_mov_b32 s4, 0x76543210
	v_lshrrev_b32_e32 v15, 3, v0
	v_permlanex16_b32 v16, v14, s4, 0xfedcba98 op_sel:[1,1]
	s_delay_alu instid0(VALU_DEP_1)
	v_dual_add_f32 v14, v14, v16 :: v_dual_and_b32 v15, 0x7c, v15
	ds_store_b32 v15, v14
.LBB142_3:
	s_or_b32 exec_lo, exec_lo, s3
	v_and_b32_e32 v0, 3, v0
	s_waitcnt vmcnt(0) lgkmcnt(0)
	s_barrier
	buffer_gl0_inv
	v_cvt_f32_i32_e32 v15, s9
	v_lshlrev_b32_e32 v0, 2, v0
	ds_load_b32 v0, v0
	s_clause 0x1
	s_load_b64 s[4:5], s[0:1], 0x0
	s_load_b32 s0, s[0:1], 0x4c
	s_waitcnt lgkmcnt(0)
	v_mov_b32_dpp v14, v0 quad_perm:[1,0,3,2] row_mask:0xf bank_mask:0xf
	s_ashr_i32 s1, s0, 31
	s_mul_hi_u32 s3, s0, s2
	s_mul_i32 s1, s1, s2
	s_mul_i32 s0, s0, s2
	v_add_f32_e32 v0, v0, v14
	s_add_i32 s1, s3, s1
	s_delay_alu instid0(SALU_CYCLE_1) | instskip(NEXT) | instid1(SALU_CYCLE_1)
	s_lshl_b64 s[0:1], s[0:1], 1
	s_add_u32 s4, s4, s0
	s_delay_alu instid0(VALU_DEP_1) | instskip(SKIP_1) | instid1(SALU_CYCLE_1)
	v_mov_b32_dpp v14, v0 quad_perm:[2,3,0,1] row_mask:0xf bank_mask:0xf
	s_addc_u32 s0, s5, s1
	s_and_b32 s5, s0, 0xffff
	s_delay_alu instid0(VALU_DEP_1) | instskip(NEXT) | instid1(VALU_DEP_1)
	v_add_f32_e32 v0, v0, v14
	v_div_scale_f32 v14, null, v15, v15, v0
	v_div_scale_f32 v18, vcc_lo, v0, v15, v0
	s_delay_alu instid0(VALU_DEP_2) | instskip(SKIP_2) | instid1(VALU_DEP_1)
	v_rcp_f32_e32 v16, v14
	s_waitcnt_depctr 0xfff
	v_fma_f32 v17, -v14, v16, 1.0
	v_fmac_f32_e32 v16, v17, v16
	s_delay_alu instid0(VALU_DEP_1) | instskip(NEXT) | instid1(VALU_DEP_1)
	v_mul_f32_e32 v17, v18, v16
	v_fma_f32 v19, -v14, v17, v18
	s_delay_alu instid0(VALU_DEP_1) | instskip(NEXT) | instid1(VALU_DEP_1)
	v_fmac_f32_e32 v17, v19, v16
	v_fma_f32 v14, -v14, v17, v18
	s_delay_alu instid0(VALU_DEP_1) | instskip(SKIP_3) | instid1(VALU_DEP_4)
	v_div_fmas_f32 v14, v14, v16, v17
	v_lshrrev_b32_e32 v16, 16, v3
	v_lshrrev_b32_e32 v17, 16, v4
	v_and_b32_e32 v3, 0xffff, v3
	v_div_fixup_f32 v0, v14, v15, v0
	s_delay_alu instid0(VALU_DEP_4) | instskip(NEXT) | instid1(VALU_DEP_4)
	v_cvt_f32_u32_e32 v16, v16
	v_cvt_f32_u32_e32 v17, v17
	s_delay_alu instid0(VALU_DEP_4) | instskip(NEXT) | instid1(VALU_DEP_4)
	v_cvt_f32_u32_e32 v3, v3
	v_cvt_f64_f32_e32 v[14:15], v0
	s_delay_alu instid0(VALU_DEP_1) | instskip(NEXT) | instid1(VALU_DEP_1)
	v_add_f64 v[14:15], v[14:15], s[14:15]
	v_cvt_f32_f64_e32 v0, v[14:15]
	v_lshrrev_b32_e32 v15, 16, v1
	v_and_b32_e32 v1, 0xffff, v1
	s_delay_alu instid0(VALU_DEP_2) | instskip(NEXT) | instid1(VALU_DEP_2)
	v_cvt_f32_u32_e32 v15, v15
	v_cvt_f32_u32_e32 v1, v1
	v_mul_f32_e32 v14, 0x4b800000, v0
	v_cmp_gt_f32_e32 vcc_lo, 0x800000, v0
	s_delay_alu instid0(VALU_DEP_2) | instskip(SKIP_1) | instid1(VALU_DEP_2)
	v_cndmask_b32_e32 v0, v0, v14, vcc_lo
	v_lshrrev_b32_e32 v14, 16, v2
	v_rsq_f32_e32 v0, v0
	s_delay_alu instid0(VALU_DEP_1) | instskip(SKIP_2) | instid1(VALU_DEP_1)
	v_cvt_f32_u32_e32 v14, v14
	s_waitcnt_depctr 0xfff
	v_mul_f32_e32 v18, 0x45800000, v0
	v_cndmask_b32_e32 v0, v0, v18, vcc_lo
	v_and_b32_e32 v2, 0xffff, v2
	s_delay_alu instid0(VALU_DEP_2) | instskip(SKIP_1) | instid1(VALU_DEP_2)
	v_dual_mul_f32 v11, v0, v11 :: v_dual_and_b32 v4, 0xffff, v4
	v_mul_f32_e32 v6, v0, v6
	v_cvt_f32_u32_e32 v4, v4
	v_mul_f32_e32 v7, v0, v7
	v_mul_f32_e32 v8, v0, v8
	;; [unrolled: 1-line block ×3, first 2 shown]
	v_cvt_f32_u32_e32 v2, v2
	v_mul_f32_e32 v10, v0, v10
	v_mul_f32_e32 v12, v0, v12
	;; [unrolled: 1-line block ×4, first 2 shown]
	s_delay_alu instid0(VALU_DEP_4) | instskip(NEXT) | instid1(VALU_DEP_4)
	v_dual_mul_f32 v1, v8, v2 :: v_dual_mul_f32 v2, v10, v3
	v_mul_f32_e32 v3, v12, v4
	s_delay_alu instid0(VALU_DEP_4) | instskip(SKIP_3) | instid1(VALU_DEP_4)
	v_mul_f32_e32 v0, v0, v17
	v_mul_f32_e32 v4, v11, v16
	;; [unrolled: 1-line block ×4, first 2 shown]
	v_perm_b32 v3, v0, v3, 0x7060302
	s_delay_alu instid0(VALU_DEP_4) | instskip(NEXT) | instid1(VALU_DEP_4)
	v_perm_b32 v2, v4, v2, 0x7060302
	v_perm_b32 v1, v8, v1, 0x7060302
	s_delay_alu instid0(VALU_DEP_4)
	v_perm_b32 v0, v6, v7, 0x7060302
	buffer_store_b128 v[0:3], v5, s[4:7], 0 offen
	;;#ASMSTART
	s_nop 0
	;;#ASMEND
.LBB142_4:
	s_nop 0
	s_sendmsg sendmsg(MSG_DEALLOC_VGPRS)
	s_endpgm
	.section	.rodata,"a",@progbits
	.p2align	6, 0x0
	.amdhsa_kernel _ZN5aiter24add_rmsnorm_quant_kernelIttLi128ELi8ELb0ELb0ELb1ELi1EEEvPT0_PT_PfS4_S4_S4_diiiiiiib
		.amdhsa_group_segment_fixed_size 16
		.amdhsa_private_segment_fixed_size 0
		.amdhsa_kernarg_size 88
		.amdhsa_user_sgpr_count 15
		.amdhsa_user_sgpr_dispatch_ptr 0
		.amdhsa_user_sgpr_queue_ptr 0
		.amdhsa_user_sgpr_kernarg_segment_ptr 1
		.amdhsa_user_sgpr_dispatch_id 0
		.amdhsa_user_sgpr_private_segment_size 0
		.amdhsa_wavefront_size32 1
		.amdhsa_uses_dynamic_stack 0
		.amdhsa_enable_private_segment 0
		.amdhsa_system_sgpr_workgroup_id_x 1
		.amdhsa_system_sgpr_workgroup_id_y 0
		.amdhsa_system_sgpr_workgroup_id_z 0
		.amdhsa_system_sgpr_workgroup_info 0
		.amdhsa_system_vgpr_workitem_id 0
		.amdhsa_next_free_vgpr 20
		.amdhsa_next_free_sgpr 20
		.amdhsa_reserve_vcc 1
		.amdhsa_float_round_mode_32 0
		.amdhsa_float_round_mode_16_64 0
		.amdhsa_float_denorm_mode_32 3
		.amdhsa_float_denorm_mode_16_64 3
		.amdhsa_dx10_clamp 1
		.amdhsa_ieee_mode 1
		.amdhsa_fp16_overflow 0
		.amdhsa_workgroup_processor_mode 1
		.amdhsa_memory_ordered 1
		.amdhsa_forward_progress 0
		.amdhsa_shared_vgpr_count 0
		.amdhsa_exception_fp_ieee_invalid_op 0
		.amdhsa_exception_fp_denorm_src 0
		.amdhsa_exception_fp_ieee_div_zero 0
		.amdhsa_exception_fp_ieee_overflow 0
		.amdhsa_exception_fp_ieee_underflow 0
		.amdhsa_exception_fp_ieee_inexact 0
		.amdhsa_exception_int_div_zero 0
	.end_amdhsa_kernel
	.section	.text._ZN5aiter24add_rmsnorm_quant_kernelIttLi128ELi8ELb0ELb0ELb1ELi1EEEvPT0_PT_PfS4_S4_S4_diiiiiiib,"axG",@progbits,_ZN5aiter24add_rmsnorm_quant_kernelIttLi128ELi8ELb0ELb0ELb1ELi1EEEvPT0_PT_PfS4_S4_S4_diiiiiiib,comdat
.Lfunc_end142:
	.size	_ZN5aiter24add_rmsnorm_quant_kernelIttLi128ELi8ELb0ELb0ELb1ELi1EEEvPT0_PT_PfS4_S4_S4_diiiiiiib, .Lfunc_end142-_ZN5aiter24add_rmsnorm_quant_kernelIttLi128ELi8ELb0ELb0ELb1ELi1EEEvPT0_PT_PfS4_S4_S4_diiiiiiib
                                        ; -- End function
	.section	.AMDGPU.csdata,"",@progbits
; Kernel info:
; codeLenInByte = 1004
; NumSgprs: 22
; NumVgprs: 20
; ScratchSize: 0
; MemoryBound: 0
; FloatMode: 240
; IeeeMode: 1
; LDSByteSize: 16 bytes/workgroup (compile time only)
; SGPRBlocks: 2
; VGPRBlocks: 2
; NumSGPRsForWavesPerEU: 22
; NumVGPRsForWavesPerEU: 20
; Occupancy: 16
; WaveLimiterHint : 1
; COMPUTE_PGM_RSRC2:SCRATCH_EN: 0
; COMPUTE_PGM_RSRC2:USER_SGPR: 15
; COMPUTE_PGM_RSRC2:TRAP_HANDLER: 0
; COMPUTE_PGM_RSRC2:TGID_X_EN: 1
; COMPUTE_PGM_RSRC2:TGID_Y_EN: 0
; COMPUTE_PGM_RSRC2:TGID_Z_EN: 0
; COMPUTE_PGM_RSRC2:TIDIG_COMP_CNT: 0
	.section	.text._ZN5aiter24add_rmsnorm_quant_kernelIDF16_DF16_Li128ELi8ELb0ELb0ELb0ELi1EEEvPT0_PT_PfS4_S4_S4_diiiiiiib,"axG",@progbits,_ZN5aiter24add_rmsnorm_quant_kernelIDF16_DF16_Li128ELi8ELb0ELb0ELb0ELi1EEEvPT0_PT_PfS4_S4_S4_diiiiiiib,comdat
	.protected	_ZN5aiter24add_rmsnorm_quant_kernelIDF16_DF16_Li128ELi8ELb0ELb0ELb0ELi1EEEvPT0_PT_PfS4_S4_S4_diiiiiiib ; -- Begin function _ZN5aiter24add_rmsnorm_quant_kernelIDF16_DF16_Li128ELi8ELb0ELb0ELb0ELi1EEEvPT0_PT_PfS4_S4_S4_diiiiiiib
	.globl	_ZN5aiter24add_rmsnorm_quant_kernelIDF16_DF16_Li128ELi8ELb0ELb0ELb0ELi1EEEvPT0_PT_PfS4_S4_S4_diiiiiiib
	.p2align	8
	.type	_ZN5aiter24add_rmsnorm_quant_kernelIDF16_DF16_Li128ELi8ELb0ELb0ELb0ELi1EEEvPT0_PT_PfS4_S4_S4_diiiiiiib,@function
_ZN5aiter24add_rmsnorm_quant_kernelIDF16_DF16_Li128ELi8ELb0ELb0ELb0ELi1EEEvPT0_PT_PfS4_S4_S4_diiiiiiib: ; @_ZN5aiter24add_rmsnorm_quant_kernelIDF16_DF16_Li128ELi8ELb0ELb0ELb0ELi1EEEvPT0_PT_PfS4_S4_S4_diiiiiiib
; %bb.0:
	s_load_b128 s[8:11], s[0:1], 0x38
	s_mov_b32 s2, s15
	s_mov_b32 s3, 0
	s_waitcnt lgkmcnt(0)
	s_ashr_i32 s5, s8, 31
	s_mov_b32 s4, s8
	s_delay_alu instid0(SALU_CYCLE_1) | instskip(NEXT) | instid1(VALU_DEP_1)
	v_cmp_ge_i64_e64 s3, s[2:3], s[4:5]
	s_and_b32 vcc_lo, exec_lo, s3
	s_cbranch_vccnz .LBB143_4
; %bb.1:
	s_clause 0x1
	s_load_b64 s[4:5], s[0:1], 0x18
	s_load_b128 s[12:15], s[0:1], 0x28
	s_ashr_i32 s3, s10, 31
	s_mul_hi_u32 s7, s10, s2
	s_mul_i32 s3, s3, s2
	s_mul_i32 s6, s10, s2
	s_add_i32 s7, s7, s3
	v_lshlrev_b32_e32 v5, 4, v0
	s_lshl_b64 s[6:7], s[6:7], 1
	v_and_b32_e32 v16, 31, v0
	s_waitcnt lgkmcnt(0)
	s_add_u32 s4, s4, s6
	s_addc_u32 s3, s5, s7
	s_add_i32 s5, s9, 1
	s_mov_b32 s7, -1
	s_lshr_b32 s6, s5, 31
	s_mov_b32 s19, s7
	s_add_i32 s5, s5, s6
	s_mov_b32 s16, s12
	s_lshl_b32 s6, s5, 1
	s_and_b32 s5, s3, 0xffff
	s_and_b32 s6, s6, -4
	s_and_b32 s17, s13, 0xffff
	buffer_load_b128 v[7:10], v5, s[4:7], 0 offen glc slc
	s_mov_b32 s18, s6
	s_mov_b32 s3, exec_lo
	s_waitcnt vmcnt(0)
	v_lshrrev_b32_e32 v6, 16, v7
	v_lshrrev_b32_e32 v15, 16, v8
	;; [unrolled: 1-line block ×3, first 2 shown]
	s_delay_alu instid0(VALU_DEP_3) | instskip(NEXT) | instid1(VALU_DEP_1)
	v_cvt_f32_f16_e32 v6, v6
	v_mul_f32_e32 v11, v6, v6
	s_delay_alu instid0(VALU_DEP_1) | instskip(NEXT) | instid1(VALU_DEP_1)
	v_fma_mix_f32 v11, v7, v7, v11 op_sel_hi:[1,1,0]
	v_fma_mix_f32 v11, v8, v8, v11 op_sel_hi:[1,1,0]
	s_delay_alu instid0(VALU_DEP_1) | instskip(NEXT) | instid1(VALU_DEP_1)
	v_fma_mix_f32 v11, v8, v8, v11 op_sel:[1,1,0] op_sel_hi:[1,1,0]
	v_fma_mix_f32 v11, v9, v9, v11 op_sel_hi:[1,1,0]
	s_delay_alu instid0(VALU_DEP_1) | instskip(NEXT) | instid1(VALU_DEP_1)
	v_fma_mix_f32 v11, v9, v9, v11 op_sel:[1,1,0] op_sel_hi:[1,1,0]
	;; [unrolled: 3-line block ×3, first 2 shown]
	v_mov_b32_dpp v12, v11 quad_perm:[1,0,3,2] row_mask:0xf bank_mask:0xf
	s_delay_alu instid0(VALU_DEP_1) | instskip(NEXT) | instid1(VALU_DEP_1)
	v_add_f32_e32 v11, v11, v12
	v_mov_b32_dpp v12, v11 quad_perm:[2,3,0,1] row_mask:0xf bank_mask:0xf
	s_delay_alu instid0(VALU_DEP_1)
	v_add_f32_e32 v11, v11, v12
	v_cvt_f32_f16_e32 v12, v7
	v_cvt_f32_f16_e32 v7, v8
	;; [unrolled: 1-line block ×3, first 2 shown]
	v_lshrrev_b32_e32 v9, 16, v9
	v_mov_b32_dpp v13, v11 row_xmask:7 row_mask:0xf bank_mask:0xf
	s_delay_alu instid0(VALU_DEP_2) | instskip(NEXT) | instid1(VALU_DEP_2)
	v_cvt_f32_f16_e32 v9, v9
	v_add_f32_e32 v14, v11, v13
	buffer_load_b128 v[1:4], v5, s[16:19], 0 offen
	v_cvt_f32_f16_e32 v11, v10
	v_cvt_f32_f16_e32 v13, v15
	;; [unrolled: 1-line block ×3, first 2 shown]
	v_mov_b32_dpp v15, v14 row_xmask:15 row_mask:0xf bank_mask:0xf
	v_cmpx_eq_u32_e32 31, v16
	s_cbranch_execz .LBB143_3
; %bb.2:
	s_delay_alu instid0(VALU_DEP_2) | instskip(SKIP_2) | instid1(VALU_DEP_2)
	v_add_f32_e32 v14, v14, v15
	s_mov_b32 s4, 0x76543210
	v_lshrrev_b32_e32 v15, 3, v0
	v_permlanex16_b32 v16, v14, s4, 0xfedcba98 op_sel:[1,1]
	s_delay_alu instid0(VALU_DEP_1)
	v_dual_add_f32 v14, v14, v16 :: v_dual_and_b32 v15, 0x7c, v15
	ds_store_b32 v15, v14
.LBB143_3:
	s_or_b32 exec_lo, exec_lo, s3
	v_and_b32_e32 v0, 3, v0
	s_waitcnt vmcnt(0) lgkmcnt(0)
	s_barrier
	buffer_gl0_inv
	v_cvt_f32_i32_e32 v15, s9
	v_lshlrev_b32_e32 v0, 2, v0
	s_clause 0x1
	s_load_b32 s3, s[0:1], 0x4c
	s_load_b64 s[0:1], s[0:1], 0x0
	ds_load_b32 v0, v0
	s_waitcnt lgkmcnt(0)
	s_ashr_i32 s4, s3, 31
	s_mul_hi_u32 s5, s3, s2
	s_mul_i32 s4, s4, s2
	s_mul_i32 s2, s3, s2
	v_mov_b32_dpp v14, v0 quad_perm:[1,0,3,2] row_mask:0xf bank_mask:0xf
	s_add_i32 s3, s5, s4
	s_delay_alu instid0(SALU_CYCLE_1) | instskip(NEXT) | instid1(SALU_CYCLE_1)
	s_lshl_b64 s[2:3], s[2:3], 1
	s_add_u32 s4, s0, s2
	s_delay_alu instid0(VALU_DEP_1) | instskip(SKIP_1) | instid1(SALU_CYCLE_1)
	v_add_f32_e32 v0, v0, v14
	s_addc_u32 s0, s1, s3
	s_and_b32 s5, s0, 0xffff
	s_delay_alu instid0(VALU_DEP_1) | instskip(NEXT) | instid1(VALU_DEP_1)
	v_mov_b32_dpp v14, v0 quad_perm:[2,3,0,1] row_mask:0xf bank_mask:0xf
	v_add_f32_e32 v0, v0, v14
	s_delay_alu instid0(VALU_DEP_1) | instskip(SKIP_1) | instid1(VALU_DEP_2)
	v_div_scale_f32 v14, null, v15, v15, v0
	v_div_scale_f32 v18, vcc_lo, v0, v15, v0
	v_rcp_f32_e32 v16, v14
	s_waitcnt_depctr 0xfff
	v_fma_f32 v17, -v14, v16, 1.0
	s_delay_alu instid0(VALU_DEP_1) | instskip(NEXT) | instid1(VALU_DEP_1)
	v_fmac_f32_e32 v16, v17, v16
	v_mul_f32_e32 v17, v18, v16
	s_delay_alu instid0(VALU_DEP_1) | instskip(NEXT) | instid1(VALU_DEP_1)
	v_fma_f32 v19, -v14, v17, v18
	v_fmac_f32_e32 v17, v19, v16
	s_delay_alu instid0(VALU_DEP_1) | instskip(NEXT) | instid1(VALU_DEP_1)
	v_fma_f32 v14, -v14, v17, v18
	v_div_fmas_f32 v14, v14, v16, v17
	s_delay_alu instid0(VALU_DEP_1) | instskip(NEXT) | instid1(VALU_DEP_1)
	v_div_fixup_f32 v0, v14, v15, v0
	v_cvt_f64_f32_e32 v[14:15], v0
	s_delay_alu instid0(VALU_DEP_1) | instskip(NEXT) | instid1(VALU_DEP_1)
	v_add_f64 v[14:15], v[14:15], s[14:15]
	v_cvt_f32_f64_e32 v0, v[14:15]
	s_delay_alu instid0(VALU_DEP_1) | instskip(SKIP_1) | instid1(VALU_DEP_2)
	v_mul_f32_e32 v14, 0x4b800000, v0
	v_cmp_gt_f32_e32 vcc_lo, 0x800000, v0
	v_cndmask_b32_e32 v0, v0, v14, vcc_lo
	s_delay_alu instid0(VALU_DEP_1) | instskip(SKIP_2) | instid1(VALU_DEP_1)
	v_rsq_f32_e32 v0, v0
	s_waitcnt_depctr 0xfff
	v_mul_f32_e32 v14, 0x45800000, v0
	v_cndmask_b32_e32 v0, v0, v14, vcc_lo
	s_delay_alu instid0(VALU_DEP_1)
	v_mul_f32_e32 v14, v0, v6
	v_mul_f32_e32 v6, v0, v12
	;; [unrolled: 1-line block ×8, first 2 shown]
	v_fma_mixlo_f16 v9, v11, v4, 0 op_sel_hi:[0,1,0]
	v_fma_mixlo_f16 v8, v8, v3, 0 op_sel_hi:[0,1,0]
	;; [unrolled: 1-line block ×4, first 2 shown]
	s_delay_alu instid0(VALU_DEP_4) | instskip(NEXT) | instid1(VALU_DEP_4)
	v_fma_mixhi_f16 v9, v0, v4, 0 op_sel:[0,1,0] op_sel_hi:[0,1,0]
	v_fma_mixhi_f16 v8, v13, v3, 0 op_sel:[0,1,0] op_sel_hi:[0,1,0]
	s_delay_alu instid0(VALU_DEP_4) | instskip(NEXT) | instid1(VALU_DEP_4)
	v_fma_mixhi_f16 v7, v12, v2, 0 op_sel:[0,1,0] op_sel_hi:[0,1,0]
	v_fma_mixhi_f16 v6, v14, v1, 0 op_sel:[0,1,0] op_sel_hi:[0,1,0]
	buffer_store_b128 v[6:9], v5, s[4:7], 0 offen
	;;#ASMSTART
	s_nop 0
	;;#ASMEND
.LBB143_4:
	s_nop 0
	s_sendmsg sendmsg(MSG_DEALLOC_VGPRS)
	s_endpgm
	.section	.rodata,"a",@progbits
	.p2align	6, 0x0
	.amdhsa_kernel _ZN5aiter24add_rmsnorm_quant_kernelIDF16_DF16_Li128ELi8ELb0ELb0ELb0ELi1EEEvPT0_PT_PfS4_S4_S4_diiiiiiib
		.amdhsa_group_segment_fixed_size 16
		.amdhsa_private_segment_fixed_size 0
		.amdhsa_kernarg_size 88
		.amdhsa_user_sgpr_count 15
		.amdhsa_user_sgpr_dispatch_ptr 0
		.amdhsa_user_sgpr_queue_ptr 0
		.amdhsa_user_sgpr_kernarg_segment_ptr 1
		.amdhsa_user_sgpr_dispatch_id 0
		.amdhsa_user_sgpr_private_segment_size 0
		.amdhsa_wavefront_size32 1
		.amdhsa_uses_dynamic_stack 0
		.amdhsa_enable_private_segment 0
		.amdhsa_system_sgpr_workgroup_id_x 1
		.amdhsa_system_sgpr_workgroup_id_y 0
		.amdhsa_system_sgpr_workgroup_id_z 0
		.amdhsa_system_sgpr_workgroup_info 0
		.amdhsa_system_vgpr_workitem_id 0
		.amdhsa_next_free_vgpr 20
		.amdhsa_next_free_sgpr 20
		.amdhsa_reserve_vcc 1
		.amdhsa_float_round_mode_32 0
		.amdhsa_float_round_mode_16_64 0
		.amdhsa_float_denorm_mode_32 3
		.amdhsa_float_denorm_mode_16_64 3
		.amdhsa_dx10_clamp 1
		.amdhsa_ieee_mode 1
		.amdhsa_fp16_overflow 0
		.amdhsa_workgroup_processor_mode 1
		.amdhsa_memory_ordered 1
		.amdhsa_forward_progress 0
		.amdhsa_shared_vgpr_count 0
		.amdhsa_exception_fp_ieee_invalid_op 0
		.amdhsa_exception_fp_denorm_src 0
		.amdhsa_exception_fp_ieee_div_zero 0
		.amdhsa_exception_fp_ieee_overflow 0
		.amdhsa_exception_fp_ieee_underflow 0
		.amdhsa_exception_fp_ieee_inexact 0
		.amdhsa_exception_int_div_zero 0
	.end_amdhsa_kernel
	.section	.text._ZN5aiter24add_rmsnorm_quant_kernelIDF16_DF16_Li128ELi8ELb0ELb0ELb0ELi1EEEvPT0_PT_PfS4_S4_S4_diiiiiiib,"axG",@progbits,_ZN5aiter24add_rmsnorm_quant_kernelIDF16_DF16_Li128ELi8ELb0ELb0ELb0ELi1EEEvPT0_PT_PfS4_S4_S4_diiiiiiib,comdat
.Lfunc_end143:
	.size	_ZN5aiter24add_rmsnorm_quant_kernelIDF16_DF16_Li128ELi8ELb0ELb0ELb0ELi1EEEvPT0_PT_PfS4_S4_S4_diiiiiiib, .Lfunc_end143-_ZN5aiter24add_rmsnorm_quant_kernelIDF16_DF16_Li128ELi8ELb0ELb0ELb0ELi1EEEvPT0_PT_PfS4_S4_S4_diiiiiiib
                                        ; -- End function
	.section	.AMDGPU.csdata,"",@progbits
; Kernel info:
; codeLenInByte = 888
; NumSgprs: 22
; NumVgprs: 20
; ScratchSize: 0
; MemoryBound: 0
; FloatMode: 240
; IeeeMode: 1
; LDSByteSize: 16 bytes/workgroup (compile time only)
; SGPRBlocks: 2
; VGPRBlocks: 2
; NumSGPRsForWavesPerEU: 22
; NumVGPRsForWavesPerEU: 20
; Occupancy: 16
; WaveLimiterHint : 1
; COMPUTE_PGM_RSRC2:SCRATCH_EN: 0
; COMPUTE_PGM_RSRC2:USER_SGPR: 15
; COMPUTE_PGM_RSRC2:TRAP_HANDLER: 0
; COMPUTE_PGM_RSRC2:TGID_X_EN: 1
; COMPUTE_PGM_RSRC2:TGID_Y_EN: 0
; COMPUTE_PGM_RSRC2:TGID_Z_EN: 0
; COMPUTE_PGM_RSRC2:TIDIG_COMP_CNT: 0
	.section	.text._ZN5aiter24add_rmsnorm_quant_kernelIttLi128ELi8ELb0ELb0ELb0ELi1EEEvPT0_PT_PfS4_S4_S4_diiiiiiib,"axG",@progbits,_ZN5aiter24add_rmsnorm_quant_kernelIttLi128ELi8ELb0ELb0ELb0ELi1EEEvPT0_PT_PfS4_S4_S4_diiiiiiib,comdat
	.protected	_ZN5aiter24add_rmsnorm_quant_kernelIttLi128ELi8ELb0ELb0ELb0ELi1EEEvPT0_PT_PfS4_S4_S4_diiiiiiib ; -- Begin function _ZN5aiter24add_rmsnorm_quant_kernelIttLi128ELi8ELb0ELb0ELb0ELi1EEEvPT0_PT_PfS4_S4_S4_diiiiiiib
	.globl	_ZN5aiter24add_rmsnorm_quant_kernelIttLi128ELi8ELb0ELb0ELb0ELi1EEEvPT0_PT_PfS4_S4_S4_diiiiiiib
	.p2align	8
	.type	_ZN5aiter24add_rmsnorm_quant_kernelIttLi128ELi8ELb0ELb0ELb0ELi1EEEvPT0_PT_PfS4_S4_S4_diiiiiiib,@function
_ZN5aiter24add_rmsnorm_quant_kernelIttLi128ELi8ELb0ELb0ELb0ELi1EEEvPT0_PT_PfS4_S4_S4_diiiiiiib: ; @_ZN5aiter24add_rmsnorm_quant_kernelIttLi128ELi8ELb0ELb0ELb0ELi1EEEvPT0_PT_PfS4_S4_S4_diiiiiiib
; %bb.0:
	s_load_b128 s[8:11], s[0:1], 0x38
	s_mov_b32 s2, s15
	s_mov_b32 s3, 0
	s_waitcnt lgkmcnt(0)
	s_ashr_i32 s5, s8, 31
	s_mov_b32 s4, s8
	s_delay_alu instid0(SALU_CYCLE_1) | instskip(NEXT) | instid1(VALU_DEP_1)
	v_cmp_ge_i64_e64 s3, s[2:3], s[4:5]
	s_and_b32 vcc_lo, exec_lo, s3
	s_cbranch_vccnz .LBB144_4
; %bb.1:
	s_clause 0x1
	s_load_b64 s[4:5], s[0:1], 0x18
	s_load_b128 s[12:15], s[0:1], 0x28
	s_ashr_i32 s3, s10, 31
	s_mul_hi_u32 s7, s10, s2
	s_mul_i32 s3, s3, s2
	s_mul_i32 s6, s10, s2
	s_add_i32 s7, s7, s3
	v_lshlrev_b32_e32 v5, 4, v0
	s_lshl_b64 s[6:7], s[6:7], 1
	v_and_b32_e32 v16, 31, v0
	s_waitcnt lgkmcnt(0)
	s_add_u32 s4, s4, s6
	s_addc_u32 s3, s5, s7
	s_add_i32 s5, s9, 1
	s_mov_b32 s7, -1
	s_lshr_b32 s6, s5, 31
	s_mov_b32 s19, s7
	s_add_i32 s5, s5, s6
	s_mov_b32 s16, s12
	s_lshl_b32 s6, s5, 1
	s_and_b32 s5, s3, 0xffff
	s_and_b32 s6, s6, -4
	s_and_b32 s17, s13, 0xffff
	buffer_load_b128 v[9:12], v5, s[4:7], 0 offen glc slc
	s_mov_b32 s18, s6
	s_mov_b32 s3, exec_lo
	s_waitcnt vmcnt(0)
	v_lshrrev_b32_e32 v6, 16, v9
	v_and_b32_e32 v8, 0xffff, v10
	v_lshrrev_b32_e32 v15, 16, v12
	v_and_b32_e32 v13, 0xffff, v12
	s_delay_alu instid0(VALU_DEP_4) | instskip(NEXT) | instid1(VALU_DEP_4)
	v_cvt_f32_u32_e32 v6, v6
	v_cvt_f32_u32_e32 v8, v8
	v_and_b32_e32 v7, 0xffff, v9
	v_lshrrev_b32_e32 v9, 16, v10
	v_and_b32_e32 v10, 0xffff, v11
	v_mul_f32_e32 v14, v6, v6
	buffer_load_b128 v[1:4], v5, s[16:19], 0 offen
	v_cvt_f32_u32_e32 v7, v7
	v_cvt_f32_u32_e32 v9, v9
	v_lshrrev_b32_e32 v11, 16, v11
	v_cvt_f32_u32_e32 v10, v10
	v_cvt_f32_u32_e32 v12, v13
	v_fmac_f32_e32 v14, v7, v7
	v_cvt_f32_u32_e32 v13, v15
	v_cvt_f32_u32_e32 v11, v11
	s_delay_alu instid0(VALU_DEP_3) | instskip(NEXT) | instid1(VALU_DEP_1)
	v_fmac_f32_e32 v14, v8, v8
	v_fmac_f32_e32 v14, v9, v9
	s_delay_alu instid0(VALU_DEP_1) | instskip(NEXT) | instid1(VALU_DEP_1)
	v_fmac_f32_e32 v14, v10, v10
	v_fmac_f32_e32 v14, v11, v11
	s_delay_alu instid0(VALU_DEP_1) | instskip(NEXT) | instid1(VALU_DEP_1)
	v_fmac_f32_e32 v14, v12, v12
	v_fmac_f32_e32 v14, v13, v13
	s_delay_alu instid0(VALU_DEP_1) | instskip(NEXT) | instid1(VALU_DEP_1)
	v_mov_b32_dpp v15, v14 quad_perm:[1,0,3,2] row_mask:0xf bank_mask:0xf
	v_add_f32_e32 v14, v14, v15
	s_delay_alu instid0(VALU_DEP_1) | instskip(NEXT) | instid1(VALU_DEP_1)
	v_mov_b32_dpp v15, v14 quad_perm:[2,3,0,1] row_mask:0xf bank_mask:0xf
	v_add_f32_e32 v14, v14, v15
	s_delay_alu instid0(VALU_DEP_1) | instskip(NEXT) | instid1(VALU_DEP_1)
	v_mov_b32_dpp v15, v14 row_xmask:7 row_mask:0xf bank_mask:0xf
	v_add_f32_e32 v14, v14, v15
	s_delay_alu instid0(VALU_DEP_1)
	v_mov_b32_dpp v15, v14 row_xmask:15 row_mask:0xf bank_mask:0xf
	v_cmpx_eq_u32_e32 31, v16
	s_cbranch_execz .LBB144_3
; %bb.2:
	s_delay_alu instid0(VALU_DEP_2) | instskip(SKIP_2) | instid1(VALU_DEP_2)
	v_add_f32_e32 v14, v14, v15
	s_mov_b32 s4, 0x76543210
	v_lshrrev_b32_e32 v15, 3, v0
	v_permlanex16_b32 v16, v14, s4, 0xfedcba98 op_sel:[1,1]
	s_delay_alu instid0(VALU_DEP_1)
	v_dual_add_f32 v14, v14, v16 :: v_dual_and_b32 v15, 0x7c, v15
	ds_store_b32 v15, v14
.LBB144_3:
	s_or_b32 exec_lo, exec_lo, s3
	v_and_b32_e32 v0, 3, v0
	s_waitcnt vmcnt(0) lgkmcnt(0)
	s_barrier
	buffer_gl0_inv
	v_cvt_f32_i32_e32 v15, s9
	v_lshlrev_b32_e32 v0, 2, v0
	ds_load_b32 v0, v0
	s_clause 0x1
	s_load_b64 s[4:5], s[0:1], 0x0
	s_load_b32 s0, s[0:1], 0x4c
	s_waitcnt lgkmcnt(0)
	v_mov_b32_dpp v14, v0 quad_perm:[1,0,3,2] row_mask:0xf bank_mask:0xf
	s_ashr_i32 s1, s0, 31
	s_mul_hi_u32 s3, s0, s2
	s_mul_i32 s1, s1, s2
	s_mul_i32 s0, s0, s2
	v_add_f32_e32 v0, v0, v14
	s_add_i32 s1, s3, s1
	s_delay_alu instid0(SALU_CYCLE_1) | instskip(NEXT) | instid1(SALU_CYCLE_1)
	s_lshl_b64 s[0:1], s[0:1], 1
	s_add_u32 s4, s4, s0
	s_delay_alu instid0(VALU_DEP_1) | instskip(SKIP_1) | instid1(SALU_CYCLE_1)
	v_mov_b32_dpp v14, v0 quad_perm:[2,3,0,1] row_mask:0xf bank_mask:0xf
	s_addc_u32 s0, s5, s1
	s_and_b32 s5, s0, 0xffff
	s_delay_alu instid0(VALU_DEP_1) | instskip(NEXT) | instid1(VALU_DEP_1)
	v_add_f32_e32 v0, v0, v14
	v_div_scale_f32 v14, null, v15, v15, v0
	v_div_scale_f32 v18, vcc_lo, v0, v15, v0
	s_delay_alu instid0(VALU_DEP_2) | instskip(SKIP_2) | instid1(VALU_DEP_1)
	v_rcp_f32_e32 v16, v14
	s_waitcnt_depctr 0xfff
	v_fma_f32 v17, -v14, v16, 1.0
	v_fmac_f32_e32 v16, v17, v16
	s_delay_alu instid0(VALU_DEP_1) | instskip(NEXT) | instid1(VALU_DEP_1)
	v_mul_f32_e32 v17, v18, v16
	v_fma_f32 v19, -v14, v17, v18
	s_delay_alu instid0(VALU_DEP_1) | instskip(NEXT) | instid1(VALU_DEP_1)
	v_fmac_f32_e32 v17, v19, v16
	v_fma_f32 v14, -v14, v17, v18
	s_delay_alu instid0(VALU_DEP_1) | instskip(SKIP_3) | instid1(VALU_DEP_4)
	v_div_fmas_f32 v14, v14, v16, v17
	v_lshrrev_b32_e32 v16, 16, v3
	v_lshrrev_b32_e32 v17, 16, v4
	v_and_b32_e32 v3, 0xffff, v3
	v_div_fixup_f32 v0, v14, v15, v0
	s_delay_alu instid0(VALU_DEP_4) | instskip(NEXT) | instid1(VALU_DEP_4)
	v_cvt_f32_u32_e32 v16, v16
	v_cvt_f32_u32_e32 v17, v17
	s_delay_alu instid0(VALU_DEP_4) | instskip(NEXT) | instid1(VALU_DEP_4)
	v_cvt_f32_u32_e32 v3, v3
	v_cvt_f64_f32_e32 v[14:15], v0
	s_delay_alu instid0(VALU_DEP_1) | instskip(NEXT) | instid1(VALU_DEP_1)
	v_add_f64 v[14:15], v[14:15], s[14:15]
	v_cvt_f32_f64_e32 v0, v[14:15]
	v_lshrrev_b32_e32 v15, 16, v1
	v_and_b32_e32 v1, 0xffff, v1
	s_delay_alu instid0(VALU_DEP_2) | instskip(NEXT) | instid1(VALU_DEP_2)
	v_cvt_f32_u32_e32 v15, v15
	v_cvt_f32_u32_e32 v1, v1
	v_mul_f32_e32 v14, 0x4b800000, v0
	v_cmp_gt_f32_e32 vcc_lo, 0x800000, v0
	s_delay_alu instid0(VALU_DEP_2) | instskip(SKIP_1) | instid1(VALU_DEP_2)
	v_cndmask_b32_e32 v0, v0, v14, vcc_lo
	v_lshrrev_b32_e32 v14, 16, v2
	v_rsq_f32_e32 v0, v0
	s_delay_alu instid0(VALU_DEP_1) | instskip(SKIP_2) | instid1(VALU_DEP_1)
	v_cvt_f32_u32_e32 v14, v14
	s_waitcnt_depctr 0xfff
	v_mul_f32_e32 v18, 0x45800000, v0
	v_cndmask_b32_e32 v0, v0, v18, vcc_lo
	v_and_b32_e32 v2, 0xffff, v2
	s_delay_alu instid0(VALU_DEP_2) | instskip(SKIP_1) | instid1(VALU_DEP_2)
	v_dual_mul_f32 v11, v0, v11 :: v_dual_and_b32 v4, 0xffff, v4
	v_mul_f32_e32 v6, v0, v6
	v_cvt_f32_u32_e32 v4, v4
	v_mul_f32_e32 v7, v0, v7
	v_mul_f32_e32 v8, v0, v8
	;; [unrolled: 1-line block ×3, first 2 shown]
	v_cvt_f32_u32_e32 v2, v2
	v_mul_f32_e32 v10, v0, v10
	v_mul_f32_e32 v12, v0, v12
	v_mul_f32_e32 v0, v0, v13
	v_mul_f32_e32 v7, v7, v1
	s_delay_alu instid0(VALU_DEP_4) | instskip(NEXT) | instid1(VALU_DEP_4)
	v_dual_mul_f32 v1, v8, v2 :: v_dual_mul_f32 v2, v10, v3
	v_mul_f32_e32 v3, v12, v4
	s_delay_alu instid0(VALU_DEP_4) | instskip(SKIP_3) | instid1(VALU_DEP_4)
	v_mul_f32_e32 v0, v0, v17
	v_mul_f32_e32 v4, v11, v16
	;; [unrolled: 1-line block ×4, first 2 shown]
	v_perm_b32 v3, v0, v3, 0x7060302
	s_delay_alu instid0(VALU_DEP_4) | instskip(NEXT) | instid1(VALU_DEP_4)
	v_perm_b32 v2, v4, v2, 0x7060302
	v_perm_b32 v1, v8, v1, 0x7060302
	s_delay_alu instid0(VALU_DEP_4)
	v_perm_b32 v0, v6, v7, 0x7060302
	buffer_store_b128 v[0:3], v5, s[4:7], 0 offen
	;;#ASMSTART
	s_nop 0
	;;#ASMEND
.LBB144_4:
	s_nop 0
	s_sendmsg sendmsg(MSG_DEALLOC_VGPRS)
	s_endpgm
	.section	.rodata,"a",@progbits
	.p2align	6, 0x0
	.amdhsa_kernel _ZN5aiter24add_rmsnorm_quant_kernelIttLi128ELi8ELb0ELb0ELb0ELi1EEEvPT0_PT_PfS4_S4_S4_diiiiiiib
		.amdhsa_group_segment_fixed_size 16
		.amdhsa_private_segment_fixed_size 0
		.amdhsa_kernarg_size 88
		.amdhsa_user_sgpr_count 15
		.amdhsa_user_sgpr_dispatch_ptr 0
		.amdhsa_user_sgpr_queue_ptr 0
		.amdhsa_user_sgpr_kernarg_segment_ptr 1
		.amdhsa_user_sgpr_dispatch_id 0
		.amdhsa_user_sgpr_private_segment_size 0
		.amdhsa_wavefront_size32 1
		.amdhsa_uses_dynamic_stack 0
		.amdhsa_enable_private_segment 0
		.amdhsa_system_sgpr_workgroup_id_x 1
		.amdhsa_system_sgpr_workgroup_id_y 0
		.amdhsa_system_sgpr_workgroup_id_z 0
		.amdhsa_system_sgpr_workgroup_info 0
		.amdhsa_system_vgpr_workitem_id 0
		.amdhsa_next_free_vgpr 20
		.amdhsa_next_free_sgpr 20
		.amdhsa_reserve_vcc 1
		.amdhsa_float_round_mode_32 0
		.amdhsa_float_round_mode_16_64 0
		.amdhsa_float_denorm_mode_32 3
		.amdhsa_float_denorm_mode_16_64 3
		.amdhsa_dx10_clamp 1
		.amdhsa_ieee_mode 1
		.amdhsa_fp16_overflow 0
		.amdhsa_workgroup_processor_mode 1
		.amdhsa_memory_ordered 1
		.amdhsa_forward_progress 0
		.amdhsa_shared_vgpr_count 0
		.amdhsa_exception_fp_ieee_invalid_op 0
		.amdhsa_exception_fp_denorm_src 0
		.amdhsa_exception_fp_ieee_div_zero 0
		.amdhsa_exception_fp_ieee_overflow 0
		.amdhsa_exception_fp_ieee_underflow 0
		.amdhsa_exception_fp_ieee_inexact 0
		.amdhsa_exception_int_div_zero 0
	.end_amdhsa_kernel
	.section	.text._ZN5aiter24add_rmsnorm_quant_kernelIttLi128ELi8ELb0ELb0ELb0ELi1EEEvPT0_PT_PfS4_S4_S4_diiiiiiib,"axG",@progbits,_ZN5aiter24add_rmsnorm_quant_kernelIttLi128ELi8ELb0ELb0ELb0ELi1EEEvPT0_PT_PfS4_S4_S4_diiiiiiib,comdat
.Lfunc_end144:
	.size	_ZN5aiter24add_rmsnorm_quant_kernelIttLi128ELi8ELb0ELb0ELb0ELi1EEEvPT0_PT_PfS4_S4_S4_diiiiiiib, .Lfunc_end144-_ZN5aiter24add_rmsnorm_quant_kernelIttLi128ELi8ELb0ELb0ELb0ELi1EEEvPT0_PT_PfS4_S4_S4_diiiiiiib
                                        ; -- End function
	.section	.AMDGPU.csdata,"",@progbits
; Kernel info:
; codeLenInByte = 1004
; NumSgprs: 22
; NumVgprs: 20
; ScratchSize: 0
; MemoryBound: 0
; FloatMode: 240
; IeeeMode: 1
; LDSByteSize: 16 bytes/workgroup (compile time only)
; SGPRBlocks: 2
; VGPRBlocks: 2
; NumSGPRsForWavesPerEU: 22
; NumVGPRsForWavesPerEU: 20
; Occupancy: 16
; WaveLimiterHint : 1
; COMPUTE_PGM_RSRC2:SCRATCH_EN: 0
; COMPUTE_PGM_RSRC2:USER_SGPR: 15
; COMPUTE_PGM_RSRC2:TRAP_HANDLER: 0
; COMPUTE_PGM_RSRC2:TGID_X_EN: 1
; COMPUTE_PGM_RSRC2:TGID_Y_EN: 0
; COMPUTE_PGM_RSRC2:TGID_Z_EN: 0
; COMPUTE_PGM_RSRC2:TIDIG_COMP_CNT: 0
	.section	.text._ZN5aiter24add_rmsnorm_quant_kernelIDF16_DF16_Li256ELi8ELb0ELb0ELb1ELi1EEEvPT0_PT_PfS4_S4_S4_diiiiiiib,"axG",@progbits,_ZN5aiter24add_rmsnorm_quant_kernelIDF16_DF16_Li256ELi8ELb0ELb0ELb1ELi1EEEvPT0_PT_PfS4_S4_S4_diiiiiiib,comdat
	.protected	_ZN5aiter24add_rmsnorm_quant_kernelIDF16_DF16_Li256ELi8ELb0ELb0ELb1ELi1EEEvPT0_PT_PfS4_S4_S4_diiiiiiib ; -- Begin function _ZN5aiter24add_rmsnorm_quant_kernelIDF16_DF16_Li256ELi8ELb0ELb0ELb1ELi1EEEvPT0_PT_PfS4_S4_S4_diiiiiiib
	.globl	_ZN5aiter24add_rmsnorm_quant_kernelIDF16_DF16_Li256ELi8ELb0ELb0ELb1ELi1EEEvPT0_PT_PfS4_S4_S4_diiiiiiib
	.p2align	8
	.type	_ZN5aiter24add_rmsnorm_quant_kernelIDF16_DF16_Li256ELi8ELb0ELb0ELb1ELi1EEEvPT0_PT_PfS4_S4_S4_diiiiiiib,@function
_ZN5aiter24add_rmsnorm_quant_kernelIDF16_DF16_Li256ELi8ELb0ELb0ELb1ELi1EEEvPT0_PT_PfS4_S4_S4_diiiiiiib: ; @_ZN5aiter24add_rmsnorm_quant_kernelIDF16_DF16_Li256ELi8ELb0ELb0ELb1ELi1EEEvPT0_PT_PfS4_S4_S4_diiiiiiib
; %bb.0:
	s_load_b128 s[8:11], s[0:1], 0x38
	s_mov_b32 s2, s15
	s_mov_b32 s3, 0
	s_waitcnt lgkmcnt(0)
	s_ashr_i32 s5, s8, 31
	s_mov_b32 s4, s8
	s_delay_alu instid0(SALU_CYCLE_1) | instskip(NEXT) | instid1(VALU_DEP_1)
	v_cmp_ge_i64_e64 s3, s[2:3], s[4:5]
	s_and_b32 vcc_lo, exec_lo, s3
	s_cbranch_vccnz .LBB145_4
; %bb.1:
	s_clause 0x1
	s_load_b64 s[4:5], s[0:1], 0x18
	s_load_b128 s[12:15], s[0:1], 0x28
	s_ashr_i32 s3, s10, 31
	s_mul_hi_u32 s7, s10, s2
	s_mul_i32 s3, s3, s2
	s_mul_i32 s6, s10, s2
	s_add_i32 s7, s7, s3
	v_lshlrev_b32_e32 v5, 4, v0
	s_lshl_b64 s[6:7], s[6:7], 1
	v_and_b32_e32 v16, 31, v0
	s_waitcnt lgkmcnt(0)
	s_add_u32 s4, s4, s6
	s_addc_u32 s3, s5, s7
	s_add_i32 s5, s9, 1
	s_mov_b32 s7, -1
	s_lshr_b32 s6, s5, 31
	s_mov_b32 s19, s7
	s_add_i32 s5, s5, s6
	s_mov_b32 s16, s12
	s_lshl_b32 s6, s5, 1
	s_and_b32 s5, s3, 0xffff
	s_and_b32 s6, s6, -4
	s_and_b32 s17, s13, 0xffff
	buffer_load_b128 v[7:10], v5, s[4:7], 0 offen glc slc
	s_mov_b32 s18, s6
	s_mov_b32 s3, exec_lo
	s_waitcnt vmcnt(0)
	v_lshrrev_b32_e32 v6, 16, v7
	v_lshrrev_b32_e32 v15, 16, v8
	;; [unrolled: 1-line block ×3, first 2 shown]
	s_delay_alu instid0(VALU_DEP_3) | instskip(NEXT) | instid1(VALU_DEP_1)
	v_cvt_f32_f16_e32 v6, v6
	v_mul_f32_e32 v11, v6, v6
	s_delay_alu instid0(VALU_DEP_1) | instskip(NEXT) | instid1(VALU_DEP_1)
	v_fma_mix_f32 v11, v7, v7, v11 op_sel_hi:[1,1,0]
	v_fma_mix_f32 v11, v8, v8, v11 op_sel_hi:[1,1,0]
	s_delay_alu instid0(VALU_DEP_1) | instskip(NEXT) | instid1(VALU_DEP_1)
	v_fma_mix_f32 v11, v8, v8, v11 op_sel:[1,1,0] op_sel_hi:[1,1,0]
	v_fma_mix_f32 v11, v9, v9, v11 op_sel_hi:[1,1,0]
	s_delay_alu instid0(VALU_DEP_1) | instskip(NEXT) | instid1(VALU_DEP_1)
	v_fma_mix_f32 v11, v9, v9, v11 op_sel:[1,1,0] op_sel_hi:[1,1,0]
	;; [unrolled: 3-line block ×3, first 2 shown]
	v_mov_b32_dpp v12, v11 quad_perm:[1,0,3,2] row_mask:0xf bank_mask:0xf
	s_delay_alu instid0(VALU_DEP_1) | instskip(NEXT) | instid1(VALU_DEP_1)
	v_add_f32_e32 v11, v11, v12
	v_mov_b32_dpp v12, v11 quad_perm:[2,3,0,1] row_mask:0xf bank_mask:0xf
	s_delay_alu instid0(VALU_DEP_1)
	v_add_f32_e32 v11, v11, v12
	v_cvt_f32_f16_e32 v12, v7
	v_cvt_f32_f16_e32 v7, v8
	;; [unrolled: 1-line block ×3, first 2 shown]
	v_lshrrev_b32_e32 v9, 16, v9
	v_mov_b32_dpp v13, v11 row_xmask:7 row_mask:0xf bank_mask:0xf
	s_delay_alu instid0(VALU_DEP_2) | instskip(NEXT) | instid1(VALU_DEP_2)
	v_cvt_f32_f16_e32 v9, v9
	v_add_f32_e32 v14, v11, v13
	buffer_load_b128 v[1:4], v5, s[16:19], 0 offen
	v_cvt_f32_f16_e32 v11, v10
	v_cvt_f32_f16_e32 v13, v15
	;; [unrolled: 1-line block ×3, first 2 shown]
	v_mov_b32_dpp v15, v14 row_xmask:15 row_mask:0xf bank_mask:0xf
	v_cmpx_eq_u32_e32 31, v16
	s_cbranch_execz .LBB145_3
; %bb.2:
	s_delay_alu instid0(VALU_DEP_2) | instskip(SKIP_2) | instid1(VALU_DEP_2)
	v_add_f32_e32 v14, v14, v15
	s_mov_b32 s4, 0x76543210
	v_lshrrev_b32_e32 v15, 3, v0
	v_permlanex16_b32 v16, v14, s4, 0xfedcba98 op_sel:[1,1]
	s_delay_alu instid0(VALU_DEP_1)
	v_dual_add_f32 v14, v14, v16 :: v_dual_and_b32 v15, 0x7c, v15
	ds_store_b32 v15, v14
.LBB145_3:
	s_or_b32 exec_lo, exec_lo, s3
	v_and_b32_e32 v0, 7, v0
	s_waitcnt vmcnt(0) lgkmcnt(0)
	s_barrier
	buffer_gl0_inv
	v_cvt_f32_i32_e32 v15, s9
	v_lshlrev_b32_e32 v0, 2, v0
	s_clause 0x1
	s_load_b32 s3, s[0:1], 0x4c
	s_load_b64 s[0:1], s[0:1], 0x0
	ds_load_b32 v0, v0
	s_waitcnt lgkmcnt(0)
	s_ashr_i32 s4, s3, 31
	s_mul_hi_u32 s5, s3, s2
	s_mul_i32 s4, s4, s2
	s_mul_i32 s2, s3, s2
	v_mov_b32_dpp v14, v0 quad_perm:[1,0,3,2] row_mask:0xf bank_mask:0xf
	s_add_i32 s3, s5, s4
	s_delay_alu instid0(SALU_CYCLE_1) | instskip(NEXT) | instid1(SALU_CYCLE_1)
	s_lshl_b64 s[2:3], s[2:3], 1
	s_add_u32 s4, s0, s2
	s_delay_alu instid0(VALU_DEP_1) | instskip(SKIP_1) | instid1(SALU_CYCLE_1)
	v_add_f32_e32 v0, v0, v14
	s_addc_u32 s0, s1, s3
	s_and_b32 s5, s0, 0xffff
	s_delay_alu instid0(VALU_DEP_1) | instskip(NEXT) | instid1(VALU_DEP_1)
	v_mov_b32_dpp v14, v0 quad_perm:[2,3,0,1] row_mask:0xf bank_mask:0xf
	v_add_f32_e32 v0, v0, v14
	s_delay_alu instid0(VALU_DEP_1) | instskip(NEXT) | instid1(VALU_DEP_1)
	v_mov_b32_dpp v14, v0 row_xmask:7 row_mask:0xf bank_mask:0xf
	v_add_f32_e32 v0, v0, v14
	s_delay_alu instid0(VALU_DEP_1) | instskip(SKIP_1) | instid1(VALU_DEP_2)
	v_div_scale_f32 v14, null, v15, v15, v0
	v_div_scale_f32 v18, vcc_lo, v0, v15, v0
	v_rcp_f32_e32 v16, v14
	s_waitcnt_depctr 0xfff
	v_fma_f32 v17, -v14, v16, 1.0
	s_delay_alu instid0(VALU_DEP_1) | instskip(NEXT) | instid1(VALU_DEP_1)
	v_fmac_f32_e32 v16, v17, v16
	v_mul_f32_e32 v17, v18, v16
	s_delay_alu instid0(VALU_DEP_1) | instskip(NEXT) | instid1(VALU_DEP_1)
	v_fma_f32 v19, -v14, v17, v18
	v_fmac_f32_e32 v17, v19, v16
	s_delay_alu instid0(VALU_DEP_1) | instskip(NEXT) | instid1(VALU_DEP_1)
	v_fma_f32 v14, -v14, v17, v18
	v_div_fmas_f32 v14, v14, v16, v17
	s_delay_alu instid0(VALU_DEP_1) | instskip(NEXT) | instid1(VALU_DEP_1)
	v_div_fixup_f32 v0, v14, v15, v0
	v_cvt_f64_f32_e32 v[14:15], v0
	s_delay_alu instid0(VALU_DEP_1) | instskip(NEXT) | instid1(VALU_DEP_1)
	v_add_f64 v[14:15], v[14:15], s[14:15]
	v_cvt_f32_f64_e32 v0, v[14:15]
	s_delay_alu instid0(VALU_DEP_1) | instskip(SKIP_1) | instid1(VALU_DEP_2)
	v_mul_f32_e32 v14, 0x4b800000, v0
	v_cmp_gt_f32_e32 vcc_lo, 0x800000, v0
	v_cndmask_b32_e32 v0, v0, v14, vcc_lo
	s_delay_alu instid0(VALU_DEP_1) | instskip(SKIP_2) | instid1(VALU_DEP_1)
	v_rsq_f32_e32 v0, v0
	s_waitcnt_depctr 0xfff
	v_mul_f32_e32 v14, 0x45800000, v0
	v_cndmask_b32_e32 v0, v0, v14, vcc_lo
	s_delay_alu instid0(VALU_DEP_1)
	v_mul_f32_e32 v14, v0, v6
	v_mul_f32_e32 v6, v0, v12
	;; [unrolled: 1-line block ×8, first 2 shown]
	v_fma_mixlo_f16 v9, v11, v4, 0 op_sel_hi:[0,1,0]
	v_fma_mixlo_f16 v8, v8, v3, 0 op_sel_hi:[0,1,0]
	;; [unrolled: 1-line block ×4, first 2 shown]
	s_delay_alu instid0(VALU_DEP_4) | instskip(NEXT) | instid1(VALU_DEP_4)
	v_fma_mixhi_f16 v9, v0, v4, 0 op_sel:[0,1,0] op_sel_hi:[0,1,0]
	v_fma_mixhi_f16 v8, v13, v3, 0 op_sel:[0,1,0] op_sel_hi:[0,1,0]
	s_delay_alu instid0(VALU_DEP_4) | instskip(NEXT) | instid1(VALU_DEP_4)
	v_fma_mixhi_f16 v7, v12, v2, 0 op_sel:[0,1,0] op_sel_hi:[0,1,0]
	v_fma_mixhi_f16 v6, v14, v1, 0 op_sel:[0,1,0] op_sel_hi:[0,1,0]
	buffer_store_b128 v[6:9], v5, s[4:7], 0 offen
	;;#ASMSTART
	s_nop 0
	;;#ASMEND
.LBB145_4:
	s_nop 0
	s_sendmsg sendmsg(MSG_DEALLOC_VGPRS)
	s_endpgm
	.section	.rodata,"a",@progbits
	.p2align	6, 0x0
	.amdhsa_kernel _ZN5aiter24add_rmsnorm_quant_kernelIDF16_DF16_Li256ELi8ELb0ELb0ELb1ELi1EEEvPT0_PT_PfS4_S4_S4_diiiiiiib
		.amdhsa_group_segment_fixed_size 32
		.amdhsa_private_segment_fixed_size 0
		.amdhsa_kernarg_size 88
		.amdhsa_user_sgpr_count 15
		.amdhsa_user_sgpr_dispatch_ptr 0
		.amdhsa_user_sgpr_queue_ptr 0
		.amdhsa_user_sgpr_kernarg_segment_ptr 1
		.amdhsa_user_sgpr_dispatch_id 0
		.amdhsa_user_sgpr_private_segment_size 0
		.amdhsa_wavefront_size32 1
		.amdhsa_uses_dynamic_stack 0
		.amdhsa_enable_private_segment 0
		.amdhsa_system_sgpr_workgroup_id_x 1
		.amdhsa_system_sgpr_workgroup_id_y 0
		.amdhsa_system_sgpr_workgroup_id_z 0
		.amdhsa_system_sgpr_workgroup_info 0
		.amdhsa_system_vgpr_workitem_id 0
		.amdhsa_next_free_vgpr 20
		.amdhsa_next_free_sgpr 20
		.amdhsa_reserve_vcc 1
		.amdhsa_float_round_mode_32 0
		.amdhsa_float_round_mode_16_64 0
		.amdhsa_float_denorm_mode_32 3
		.amdhsa_float_denorm_mode_16_64 3
		.amdhsa_dx10_clamp 1
		.amdhsa_ieee_mode 1
		.amdhsa_fp16_overflow 0
		.amdhsa_workgroup_processor_mode 1
		.amdhsa_memory_ordered 1
		.amdhsa_forward_progress 0
		.amdhsa_shared_vgpr_count 0
		.amdhsa_exception_fp_ieee_invalid_op 0
		.amdhsa_exception_fp_denorm_src 0
		.amdhsa_exception_fp_ieee_div_zero 0
		.amdhsa_exception_fp_ieee_overflow 0
		.amdhsa_exception_fp_ieee_underflow 0
		.amdhsa_exception_fp_ieee_inexact 0
		.amdhsa_exception_int_div_zero 0
	.end_amdhsa_kernel
	.section	.text._ZN5aiter24add_rmsnorm_quant_kernelIDF16_DF16_Li256ELi8ELb0ELb0ELb1ELi1EEEvPT0_PT_PfS4_S4_S4_diiiiiiib,"axG",@progbits,_ZN5aiter24add_rmsnorm_quant_kernelIDF16_DF16_Li256ELi8ELb0ELb0ELb1ELi1EEEvPT0_PT_PfS4_S4_S4_diiiiiiib,comdat
.Lfunc_end145:
	.size	_ZN5aiter24add_rmsnorm_quant_kernelIDF16_DF16_Li256ELi8ELb0ELb0ELb1ELi1EEEvPT0_PT_PfS4_S4_S4_diiiiiiib, .Lfunc_end145-_ZN5aiter24add_rmsnorm_quant_kernelIDF16_DF16_Li256ELi8ELb0ELb0ELb1ELi1EEEvPT0_PT_PfS4_S4_S4_diiiiiiib
                                        ; -- End function
	.section	.AMDGPU.csdata,"",@progbits
; Kernel info:
; codeLenInByte = 904
; NumSgprs: 22
; NumVgprs: 20
; ScratchSize: 0
; MemoryBound: 0
; FloatMode: 240
; IeeeMode: 1
; LDSByteSize: 32 bytes/workgroup (compile time only)
; SGPRBlocks: 2
; VGPRBlocks: 2
; NumSGPRsForWavesPerEU: 22
; NumVGPRsForWavesPerEU: 20
; Occupancy: 16
; WaveLimiterHint : 1
; COMPUTE_PGM_RSRC2:SCRATCH_EN: 0
; COMPUTE_PGM_RSRC2:USER_SGPR: 15
; COMPUTE_PGM_RSRC2:TRAP_HANDLER: 0
; COMPUTE_PGM_RSRC2:TGID_X_EN: 1
; COMPUTE_PGM_RSRC2:TGID_Y_EN: 0
; COMPUTE_PGM_RSRC2:TGID_Z_EN: 0
; COMPUTE_PGM_RSRC2:TIDIG_COMP_CNT: 0
	.section	.text._ZN5aiter24add_rmsnorm_quant_kernelIttLi256ELi8ELb0ELb0ELb1ELi1EEEvPT0_PT_PfS4_S4_S4_diiiiiiib,"axG",@progbits,_ZN5aiter24add_rmsnorm_quant_kernelIttLi256ELi8ELb0ELb0ELb1ELi1EEEvPT0_PT_PfS4_S4_S4_diiiiiiib,comdat
	.protected	_ZN5aiter24add_rmsnorm_quant_kernelIttLi256ELi8ELb0ELb0ELb1ELi1EEEvPT0_PT_PfS4_S4_S4_diiiiiiib ; -- Begin function _ZN5aiter24add_rmsnorm_quant_kernelIttLi256ELi8ELb0ELb0ELb1ELi1EEEvPT0_PT_PfS4_S4_S4_diiiiiiib
	.globl	_ZN5aiter24add_rmsnorm_quant_kernelIttLi256ELi8ELb0ELb0ELb1ELi1EEEvPT0_PT_PfS4_S4_S4_diiiiiiib
	.p2align	8
	.type	_ZN5aiter24add_rmsnorm_quant_kernelIttLi256ELi8ELb0ELb0ELb1ELi1EEEvPT0_PT_PfS4_S4_S4_diiiiiiib,@function
_ZN5aiter24add_rmsnorm_quant_kernelIttLi256ELi8ELb0ELb0ELb1ELi1EEEvPT0_PT_PfS4_S4_S4_diiiiiiib: ; @_ZN5aiter24add_rmsnorm_quant_kernelIttLi256ELi8ELb0ELb0ELb1ELi1EEEvPT0_PT_PfS4_S4_S4_diiiiiiib
; %bb.0:
	s_load_b128 s[8:11], s[0:1], 0x38
	s_mov_b32 s2, s15
	s_mov_b32 s3, 0
	s_waitcnt lgkmcnt(0)
	s_ashr_i32 s5, s8, 31
	s_mov_b32 s4, s8
	s_delay_alu instid0(SALU_CYCLE_1) | instskip(NEXT) | instid1(VALU_DEP_1)
	v_cmp_ge_i64_e64 s3, s[2:3], s[4:5]
	s_and_b32 vcc_lo, exec_lo, s3
	s_cbranch_vccnz .LBB146_4
; %bb.1:
	s_clause 0x1
	s_load_b64 s[4:5], s[0:1], 0x18
	s_load_b128 s[12:15], s[0:1], 0x28
	s_ashr_i32 s3, s10, 31
	s_mul_hi_u32 s7, s10, s2
	s_mul_i32 s3, s3, s2
	s_mul_i32 s6, s10, s2
	s_add_i32 s7, s7, s3
	v_lshlrev_b32_e32 v5, 4, v0
	s_lshl_b64 s[6:7], s[6:7], 1
	v_and_b32_e32 v16, 31, v0
	s_waitcnt lgkmcnt(0)
	s_add_u32 s4, s4, s6
	s_addc_u32 s3, s5, s7
	s_add_i32 s5, s9, 1
	s_mov_b32 s7, -1
	s_lshr_b32 s6, s5, 31
	s_mov_b32 s19, s7
	s_add_i32 s5, s5, s6
	s_mov_b32 s16, s12
	s_lshl_b32 s6, s5, 1
	s_and_b32 s5, s3, 0xffff
	s_and_b32 s6, s6, -4
	s_and_b32 s17, s13, 0xffff
	buffer_load_b128 v[9:12], v5, s[4:7], 0 offen glc slc
	s_mov_b32 s18, s6
	s_mov_b32 s3, exec_lo
	s_waitcnt vmcnt(0)
	v_lshrrev_b32_e32 v6, 16, v9
	v_and_b32_e32 v8, 0xffff, v10
	v_lshrrev_b32_e32 v15, 16, v12
	v_and_b32_e32 v13, 0xffff, v12
	s_delay_alu instid0(VALU_DEP_4) | instskip(NEXT) | instid1(VALU_DEP_4)
	v_cvt_f32_u32_e32 v6, v6
	v_cvt_f32_u32_e32 v8, v8
	v_and_b32_e32 v7, 0xffff, v9
	v_lshrrev_b32_e32 v9, 16, v10
	v_and_b32_e32 v10, 0xffff, v11
	v_mul_f32_e32 v14, v6, v6
	buffer_load_b128 v[1:4], v5, s[16:19], 0 offen
	v_cvt_f32_u32_e32 v7, v7
	v_cvt_f32_u32_e32 v9, v9
	v_lshrrev_b32_e32 v11, 16, v11
	v_cvt_f32_u32_e32 v10, v10
	v_cvt_f32_u32_e32 v12, v13
	v_fmac_f32_e32 v14, v7, v7
	v_cvt_f32_u32_e32 v13, v15
	v_cvt_f32_u32_e32 v11, v11
	s_delay_alu instid0(VALU_DEP_3) | instskip(NEXT) | instid1(VALU_DEP_1)
	v_fmac_f32_e32 v14, v8, v8
	v_fmac_f32_e32 v14, v9, v9
	s_delay_alu instid0(VALU_DEP_1) | instskip(NEXT) | instid1(VALU_DEP_1)
	v_fmac_f32_e32 v14, v10, v10
	v_fmac_f32_e32 v14, v11, v11
	s_delay_alu instid0(VALU_DEP_1) | instskip(NEXT) | instid1(VALU_DEP_1)
	v_fmac_f32_e32 v14, v12, v12
	v_fmac_f32_e32 v14, v13, v13
	s_delay_alu instid0(VALU_DEP_1) | instskip(NEXT) | instid1(VALU_DEP_1)
	v_mov_b32_dpp v15, v14 quad_perm:[1,0,3,2] row_mask:0xf bank_mask:0xf
	v_add_f32_e32 v14, v14, v15
	s_delay_alu instid0(VALU_DEP_1) | instskip(NEXT) | instid1(VALU_DEP_1)
	v_mov_b32_dpp v15, v14 quad_perm:[2,3,0,1] row_mask:0xf bank_mask:0xf
	v_add_f32_e32 v14, v14, v15
	s_delay_alu instid0(VALU_DEP_1) | instskip(NEXT) | instid1(VALU_DEP_1)
	v_mov_b32_dpp v15, v14 row_xmask:7 row_mask:0xf bank_mask:0xf
	v_add_f32_e32 v14, v14, v15
	s_delay_alu instid0(VALU_DEP_1)
	v_mov_b32_dpp v15, v14 row_xmask:15 row_mask:0xf bank_mask:0xf
	v_cmpx_eq_u32_e32 31, v16
	s_cbranch_execz .LBB146_3
; %bb.2:
	s_delay_alu instid0(VALU_DEP_2) | instskip(SKIP_2) | instid1(VALU_DEP_2)
	v_add_f32_e32 v14, v14, v15
	s_mov_b32 s4, 0x76543210
	v_lshrrev_b32_e32 v15, 3, v0
	v_permlanex16_b32 v16, v14, s4, 0xfedcba98 op_sel:[1,1]
	s_delay_alu instid0(VALU_DEP_1)
	v_dual_add_f32 v14, v14, v16 :: v_dual_and_b32 v15, 0x7c, v15
	ds_store_b32 v15, v14
.LBB146_3:
	s_or_b32 exec_lo, exec_lo, s3
	v_and_b32_e32 v0, 7, v0
	s_waitcnt vmcnt(0) lgkmcnt(0)
	s_barrier
	buffer_gl0_inv
	v_cvt_f32_i32_e32 v15, s9
	v_lshlrev_b32_e32 v0, 2, v0
	ds_load_b32 v0, v0
	s_clause 0x1
	s_load_b64 s[4:5], s[0:1], 0x0
	s_load_b32 s0, s[0:1], 0x4c
	s_waitcnt lgkmcnt(0)
	v_mov_b32_dpp v14, v0 quad_perm:[1,0,3,2] row_mask:0xf bank_mask:0xf
	s_ashr_i32 s1, s0, 31
	s_mul_hi_u32 s3, s0, s2
	s_mul_i32 s1, s1, s2
	s_mul_i32 s0, s0, s2
	v_add_f32_e32 v0, v0, v14
	s_add_i32 s1, s3, s1
	s_delay_alu instid0(SALU_CYCLE_1) | instskip(NEXT) | instid1(SALU_CYCLE_1)
	s_lshl_b64 s[0:1], s[0:1], 1
	s_add_u32 s4, s4, s0
	s_delay_alu instid0(VALU_DEP_1) | instskip(SKIP_1) | instid1(SALU_CYCLE_1)
	v_mov_b32_dpp v14, v0 quad_perm:[2,3,0,1] row_mask:0xf bank_mask:0xf
	s_addc_u32 s0, s5, s1
	s_and_b32 s5, s0, 0xffff
	s_delay_alu instid0(VALU_DEP_1) | instskip(NEXT) | instid1(VALU_DEP_1)
	v_add_f32_e32 v0, v0, v14
	v_mov_b32_dpp v14, v0 row_xmask:7 row_mask:0xf bank_mask:0xf
	s_delay_alu instid0(VALU_DEP_1) | instskip(NEXT) | instid1(VALU_DEP_1)
	v_add_f32_e32 v0, v0, v14
	v_div_scale_f32 v14, null, v15, v15, v0
	v_div_scale_f32 v18, vcc_lo, v0, v15, v0
	s_delay_alu instid0(VALU_DEP_2) | instskip(SKIP_2) | instid1(VALU_DEP_1)
	v_rcp_f32_e32 v16, v14
	s_waitcnt_depctr 0xfff
	v_fma_f32 v17, -v14, v16, 1.0
	v_fmac_f32_e32 v16, v17, v16
	s_delay_alu instid0(VALU_DEP_1) | instskip(NEXT) | instid1(VALU_DEP_1)
	v_mul_f32_e32 v17, v18, v16
	v_fma_f32 v19, -v14, v17, v18
	s_delay_alu instid0(VALU_DEP_1) | instskip(NEXT) | instid1(VALU_DEP_1)
	v_fmac_f32_e32 v17, v19, v16
	v_fma_f32 v14, -v14, v17, v18
	s_delay_alu instid0(VALU_DEP_1) | instskip(SKIP_3) | instid1(VALU_DEP_4)
	v_div_fmas_f32 v14, v14, v16, v17
	v_lshrrev_b32_e32 v16, 16, v3
	v_and_b32_e32 v3, 0xffff, v3
	v_lshrrev_b32_e32 v17, 16, v4
	v_div_fixup_f32 v0, v14, v15, v0
	s_delay_alu instid0(VALU_DEP_4) | instskip(NEXT) | instid1(VALU_DEP_4)
	v_cvt_f32_u32_e32 v16, v16
	v_cvt_f32_u32_e32 v3, v3
	s_delay_alu instid0(VALU_DEP_4) | instskip(NEXT) | instid1(VALU_DEP_4)
	v_cvt_f32_u32_e32 v17, v17
	v_cvt_f64_f32_e32 v[14:15], v0
	s_delay_alu instid0(VALU_DEP_1) | instskip(NEXT) | instid1(VALU_DEP_1)
	v_add_f64 v[14:15], v[14:15], s[14:15]
	v_cvt_f32_f64_e32 v0, v[14:15]
	v_lshrrev_b32_e32 v15, 16, v1
	v_and_b32_e32 v1, 0xffff, v1
	s_delay_alu instid0(VALU_DEP_2) | instskip(NEXT) | instid1(VALU_DEP_2)
	v_cvt_f32_u32_e32 v15, v15
	v_cvt_f32_u32_e32 v1, v1
	v_mul_f32_e32 v14, 0x4b800000, v0
	v_cmp_gt_f32_e32 vcc_lo, 0x800000, v0
	s_delay_alu instid0(VALU_DEP_2) | instskip(SKIP_1) | instid1(VALU_DEP_2)
	v_cndmask_b32_e32 v0, v0, v14, vcc_lo
	v_lshrrev_b32_e32 v14, 16, v2
	v_rsq_f32_e32 v0, v0
	s_delay_alu instid0(VALU_DEP_1) | instskip(SKIP_2) | instid1(VALU_DEP_1)
	v_cvt_f32_u32_e32 v14, v14
	s_waitcnt_depctr 0xfff
	v_mul_f32_e32 v18, 0x45800000, v0
	v_cndmask_b32_e32 v0, v0, v18, vcc_lo
	v_and_b32_e32 v2, 0xffff, v2
	s_delay_alu instid0(VALU_DEP_2) | instskip(SKIP_1) | instid1(VALU_DEP_2)
	v_dual_mul_f32 v11, v0, v11 :: v_dual_and_b32 v4, 0xffff, v4
	v_mul_f32_e32 v6, v0, v6
	v_cvt_f32_u32_e32 v4, v4
	v_mul_f32_e32 v7, v0, v7
	v_mul_f32_e32 v8, v0, v8
	;; [unrolled: 1-line block ×3, first 2 shown]
	v_cvt_f32_u32_e32 v2, v2
	v_mul_f32_e32 v10, v0, v10
	v_mul_f32_e32 v12, v0, v12
	;; [unrolled: 1-line block ×4, first 2 shown]
	s_delay_alu instid0(VALU_DEP_4) | instskip(NEXT) | instid1(VALU_DEP_4)
	v_dual_mul_f32 v1, v8, v2 :: v_dual_mul_f32 v2, v10, v3
	v_mul_f32_e32 v3, v12, v4
	s_delay_alu instid0(VALU_DEP_4) | instskip(SKIP_3) | instid1(VALU_DEP_4)
	v_mul_f32_e32 v0, v0, v17
	v_mul_f32_e32 v4, v11, v16
	;; [unrolled: 1-line block ×4, first 2 shown]
	v_perm_b32 v3, v0, v3, 0x7060302
	s_delay_alu instid0(VALU_DEP_4) | instskip(NEXT) | instid1(VALU_DEP_4)
	v_perm_b32 v2, v4, v2, 0x7060302
	v_perm_b32 v1, v8, v1, 0x7060302
	s_delay_alu instid0(VALU_DEP_4)
	v_perm_b32 v0, v6, v7, 0x7060302
	buffer_store_b128 v[0:3], v5, s[4:7], 0 offen
	;;#ASMSTART
	s_nop 0
	;;#ASMEND
.LBB146_4:
	s_nop 0
	s_sendmsg sendmsg(MSG_DEALLOC_VGPRS)
	s_endpgm
	.section	.rodata,"a",@progbits
	.p2align	6, 0x0
	.amdhsa_kernel _ZN5aiter24add_rmsnorm_quant_kernelIttLi256ELi8ELb0ELb0ELb1ELi1EEEvPT0_PT_PfS4_S4_S4_diiiiiiib
		.amdhsa_group_segment_fixed_size 32
		.amdhsa_private_segment_fixed_size 0
		.amdhsa_kernarg_size 88
		.amdhsa_user_sgpr_count 15
		.amdhsa_user_sgpr_dispatch_ptr 0
		.amdhsa_user_sgpr_queue_ptr 0
		.amdhsa_user_sgpr_kernarg_segment_ptr 1
		.amdhsa_user_sgpr_dispatch_id 0
		.amdhsa_user_sgpr_private_segment_size 0
		.amdhsa_wavefront_size32 1
		.amdhsa_uses_dynamic_stack 0
		.amdhsa_enable_private_segment 0
		.amdhsa_system_sgpr_workgroup_id_x 1
		.amdhsa_system_sgpr_workgroup_id_y 0
		.amdhsa_system_sgpr_workgroup_id_z 0
		.amdhsa_system_sgpr_workgroup_info 0
		.amdhsa_system_vgpr_workitem_id 0
		.amdhsa_next_free_vgpr 20
		.amdhsa_next_free_sgpr 20
		.amdhsa_reserve_vcc 1
		.amdhsa_float_round_mode_32 0
		.amdhsa_float_round_mode_16_64 0
		.amdhsa_float_denorm_mode_32 3
		.amdhsa_float_denorm_mode_16_64 3
		.amdhsa_dx10_clamp 1
		.amdhsa_ieee_mode 1
		.amdhsa_fp16_overflow 0
		.amdhsa_workgroup_processor_mode 1
		.amdhsa_memory_ordered 1
		.amdhsa_forward_progress 0
		.amdhsa_shared_vgpr_count 0
		.amdhsa_exception_fp_ieee_invalid_op 0
		.amdhsa_exception_fp_denorm_src 0
		.amdhsa_exception_fp_ieee_div_zero 0
		.amdhsa_exception_fp_ieee_overflow 0
		.amdhsa_exception_fp_ieee_underflow 0
		.amdhsa_exception_fp_ieee_inexact 0
		.amdhsa_exception_int_div_zero 0
	.end_amdhsa_kernel
	.section	.text._ZN5aiter24add_rmsnorm_quant_kernelIttLi256ELi8ELb0ELb0ELb1ELi1EEEvPT0_PT_PfS4_S4_S4_diiiiiiib,"axG",@progbits,_ZN5aiter24add_rmsnorm_quant_kernelIttLi256ELi8ELb0ELb0ELb1ELi1EEEvPT0_PT_PfS4_S4_S4_diiiiiiib,comdat
.Lfunc_end146:
	.size	_ZN5aiter24add_rmsnorm_quant_kernelIttLi256ELi8ELb0ELb0ELb1ELi1EEEvPT0_PT_PfS4_S4_S4_diiiiiiib, .Lfunc_end146-_ZN5aiter24add_rmsnorm_quant_kernelIttLi256ELi8ELb0ELb0ELb1ELi1EEEvPT0_PT_PfS4_S4_S4_diiiiiiib
                                        ; -- End function
	.section	.AMDGPU.csdata,"",@progbits
; Kernel info:
; codeLenInByte = 1020
; NumSgprs: 22
; NumVgprs: 20
; ScratchSize: 0
; MemoryBound: 0
; FloatMode: 240
; IeeeMode: 1
; LDSByteSize: 32 bytes/workgroup (compile time only)
; SGPRBlocks: 2
; VGPRBlocks: 2
; NumSGPRsForWavesPerEU: 22
; NumVGPRsForWavesPerEU: 20
; Occupancy: 16
; WaveLimiterHint : 1
; COMPUTE_PGM_RSRC2:SCRATCH_EN: 0
; COMPUTE_PGM_RSRC2:USER_SGPR: 15
; COMPUTE_PGM_RSRC2:TRAP_HANDLER: 0
; COMPUTE_PGM_RSRC2:TGID_X_EN: 1
; COMPUTE_PGM_RSRC2:TGID_Y_EN: 0
; COMPUTE_PGM_RSRC2:TGID_Z_EN: 0
; COMPUTE_PGM_RSRC2:TIDIG_COMP_CNT: 0
	.section	.text._ZN5aiter24add_rmsnorm_quant_kernelIDF16_DF16_Li256ELi8ELb0ELb0ELb0ELi1EEEvPT0_PT_PfS4_S4_S4_diiiiiiib,"axG",@progbits,_ZN5aiter24add_rmsnorm_quant_kernelIDF16_DF16_Li256ELi8ELb0ELb0ELb0ELi1EEEvPT0_PT_PfS4_S4_S4_diiiiiiib,comdat
	.protected	_ZN5aiter24add_rmsnorm_quant_kernelIDF16_DF16_Li256ELi8ELb0ELb0ELb0ELi1EEEvPT0_PT_PfS4_S4_S4_diiiiiiib ; -- Begin function _ZN5aiter24add_rmsnorm_quant_kernelIDF16_DF16_Li256ELi8ELb0ELb0ELb0ELi1EEEvPT0_PT_PfS4_S4_S4_diiiiiiib
	.globl	_ZN5aiter24add_rmsnorm_quant_kernelIDF16_DF16_Li256ELi8ELb0ELb0ELb0ELi1EEEvPT0_PT_PfS4_S4_S4_diiiiiiib
	.p2align	8
	.type	_ZN5aiter24add_rmsnorm_quant_kernelIDF16_DF16_Li256ELi8ELb0ELb0ELb0ELi1EEEvPT0_PT_PfS4_S4_S4_diiiiiiib,@function
_ZN5aiter24add_rmsnorm_quant_kernelIDF16_DF16_Li256ELi8ELb0ELb0ELb0ELi1EEEvPT0_PT_PfS4_S4_S4_diiiiiiib: ; @_ZN5aiter24add_rmsnorm_quant_kernelIDF16_DF16_Li256ELi8ELb0ELb0ELb0ELi1EEEvPT0_PT_PfS4_S4_S4_diiiiiiib
; %bb.0:
	s_load_b128 s[8:11], s[0:1], 0x38
	s_mov_b32 s2, s15
	s_mov_b32 s3, 0
	s_waitcnt lgkmcnt(0)
	s_ashr_i32 s5, s8, 31
	s_mov_b32 s4, s8
	s_delay_alu instid0(SALU_CYCLE_1) | instskip(NEXT) | instid1(VALU_DEP_1)
	v_cmp_ge_i64_e64 s3, s[2:3], s[4:5]
	s_and_b32 vcc_lo, exec_lo, s3
	s_cbranch_vccnz .LBB147_4
; %bb.1:
	s_clause 0x1
	s_load_b64 s[4:5], s[0:1], 0x18
	s_load_b128 s[12:15], s[0:1], 0x28
	s_ashr_i32 s3, s10, 31
	s_mul_hi_u32 s7, s10, s2
	s_mul_i32 s3, s3, s2
	s_mul_i32 s6, s10, s2
	s_add_i32 s7, s7, s3
	v_lshlrev_b32_e32 v5, 4, v0
	s_lshl_b64 s[6:7], s[6:7], 1
	v_and_b32_e32 v16, 31, v0
	s_waitcnt lgkmcnt(0)
	s_add_u32 s4, s4, s6
	s_addc_u32 s3, s5, s7
	s_add_i32 s5, s9, 1
	s_mov_b32 s7, -1
	s_lshr_b32 s6, s5, 31
	s_mov_b32 s19, s7
	s_add_i32 s5, s5, s6
	s_mov_b32 s16, s12
	s_lshl_b32 s6, s5, 1
	s_and_b32 s5, s3, 0xffff
	s_and_b32 s6, s6, -4
	s_and_b32 s17, s13, 0xffff
	buffer_load_b128 v[7:10], v5, s[4:7], 0 offen glc slc
	s_mov_b32 s18, s6
	s_mov_b32 s3, exec_lo
	s_waitcnt vmcnt(0)
	v_lshrrev_b32_e32 v6, 16, v7
	v_lshrrev_b32_e32 v15, 16, v8
	;; [unrolled: 1-line block ×3, first 2 shown]
	s_delay_alu instid0(VALU_DEP_3) | instskip(NEXT) | instid1(VALU_DEP_1)
	v_cvt_f32_f16_e32 v6, v6
	v_mul_f32_e32 v11, v6, v6
	s_delay_alu instid0(VALU_DEP_1) | instskip(NEXT) | instid1(VALU_DEP_1)
	v_fma_mix_f32 v11, v7, v7, v11 op_sel_hi:[1,1,0]
	v_fma_mix_f32 v11, v8, v8, v11 op_sel_hi:[1,1,0]
	s_delay_alu instid0(VALU_DEP_1) | instskip(NEXT) | instid1(VALU_DEP_1)
	v_fma_mix_f32 v11, v8, v8, v11 op_sel:[1,1,0] op_sel_hi:[1,1,0]
	v_fma_mix_f32 v11, v9, v9, v11 op_sel_hi:[1,1,0]
	s_delay_alu instid0(VALU_DEP_1) | instskip(NEXT) | instid1(VALU_DEP_1)
	v_fma_mix_f32 v11, v9, v9, v11 op_sel:[1,1,0] op_sel_hi:[1,1,0]
	;; [unrolled: 3-line block ×3, first 2 shown]
	v_mov_b32_dpp v12, v11 quad_perm:[1,0,3,2] row_mask:0xf bank_mask:0xf
	s_delay_alu instid0(VALU_DEP_1) | instskip(NEXT) | instid1(VALU_DEP_1)
	v_add_f32_e32 v11, v11, v12
	v_mov_b32_dpp v12, v11 quad_perm:[2,3,0,1] row_mask:0xf bank_mask:0xf
	s_delay_alu instid0(VALU_DEP_1)
	v_add_f32_e32 v11, v11, v12
	v_cvt_f32_f16_e32 v12, v7
	v_cvt_f32_f16_e32 v7, v8
	;; [unrolled: 1-line block ×3, first 2 shown]
	v_lshrrev_b32_e32 v9, 16, v9
	v_mov_b32_dpp v13, v11 row_xmask:7 row_mask:0xf bank_mask:0xf
	s_delay_alu instid0(VALU_DEP_2) | instskip(NEXT) | instid1(VALU_DEP_2)
	v_cvt_f32_f16_e32 v9, v9
	v_add_f32_e32 v14, v11, v13
	buffer_load_b128 v[1:4], v5, s[16:19], 0 offen
	v_cvt_f32_f16_e32 v11, v10
	v_cvt_f32_f16_e32 v13, v15
	;; [unrolled: 1-line block ×3, first 2 shown]
	v_mov_b32_dpp v15, v14 row_xmask:15 row_mask:0xf bank_mask:0xf
	v_cmpx_eq_u32_e32 31, v16
	s_cbranch_execz .LBB147_3
; %bb.2:
	s_delay_alu instid0(VALU_DEP_2) | instskip(SKIP_2) | instid1(VALU_DEP_2)
	v_add_f32_e32 v14, v14, v15
	s_mov_b32 s4, 0x76543210
	v_lshrrev_b32_e32 v15, 3, v0
	v_permlanex16_b32 v16, v14, s4, 0xfedcba98 op_sel:[1,1]
	s_delay_alu instid0(VALU_DEP_1)
	v_dual_add_f32 v14, v14, v16 :: v_dual_and_b32 v15, 0x7c, v15
	ds_store_b32 v15, v14
.LBB147_3:
	s_or_b32 exec_lo, exec_lo, s3
	v_and_b32_e32 v0, 7, v0
	s_waitcnt vmcnt(0) lgkmcnt(0)
	s_barrier
	buffer_gl0_inv
	v_cvt_f32_i32_e32 v15, s9
	v_lshlrev_b32_e32 v0, 2, v0
	s_clause 0x1
	s_load_b32 s3, s[0:1], 0x4c
	s_load_b64 s[0:1], s[0:1], 0x0
	ds_load_b32 v0, v0
	s_waitcnt lgkmcnt(0)
	s_ashr_i32 s4, s3, 31
	s_mul_hi_u32 s5, s3, s2
	s_mul_i32 s4, s4, s2
	s_mul_i32 s2, s3, s2
	v_mov_b32_dpp v14, v0 quad_perm:[1,0,3,2] row_mask:0xf bank_mask:0xf
	s_add_i32 s3, s5, s4
	s_delay_alu instid0(SALU_CYCLE_1) | instskip(NEXT) | instid1(SALU_CYCLE_1)
	s_lshl_b64 s[2:3], s[2:3], 1
	s_add_u32 s4, s0, s2
	s_delay_alu instid0(VALU_DEP_1) | instskip(SKIP_1) | instid1(SALU_CYCLE_1)
	v_add_f32_e32 v0, v0, v14
	s_addc_u32 s0, s1, s3
	s_and_b32 s5, s0, 0xffff
	s_delay_alu instid0(VALU_DEP_1) | instskip(NEXT) | instid1(VALU_DEP_1)
	v_mov_b32_dpp v14, v0 quad_perm:[2,3,0,1] row_mask:0xf bank_mask:0xf
	v_add_f32_e32 v0, v0, v14
	s_delay_alu instid0(VALU_DEP_1) | instskip(NEXT) | instid1(VALU_DEP_1)
	v_mov_b32_dpp v14, v0 row_xmask:7 row_mask:0xf bank_mask:0xf
	v_add_f32_e32 v0, v0, v14
	s_delay_alu instid0(VALU_DEP_1) | instskip(SKIP_1) | instid1(VALU_DEP_2)
	v_div_scale_f32 v14, null, v15, v15, v0
	v_div_scale_f32 v18, vcc_lo, v0, v15, v0
	v_rcp_f32_e32 v16, v14
	s_waitcnt_depctr 0xfff
	v_fma_f32 v17, -v14, v16, 1.0
	s_delay_alu instid0(VALU_DEP_1) | instskip(NEXT) | instid1(VALU_DEP_1)
	v_fmac_f32_e32 v16, v17, v16
	v_mul_f32_e32 v17, v18, v16
	s_delay_alu instid0(VALU_DEP_1) | instskip(NEXT) | instid1(VALU_DEP_1)
	v_fma_f32 v19, -v14, v17, v18
	v_fmac_f32_e32 v17, v19, v16
	s_delay_alu instid0(VALU_DEP_1) | instskip(NEXT) | instid1(VALU_DEP_1)
	v_fma_f32 v14, -v14, v17, v18
	v_div_fmas_f32 v14, v14, v16, v17
	s_delay_alu instid0(VALU_DEP_1) | instskip(NEXT) | instid1(VALU_DEP_1)
	v_div_fixup_f32 v0, v14, v15, v0
	v_cvt_f64_f32_e32 v[14:15], v0
	s_delay_alu instid0(VALU_DEP_1) | instskip(NEXT) | instid1(VALU_DEP_1)
	v_add_f64 v[14:15], v[14:15], s[14:15]
	v_cvt_f32_f64_e32 v0, v[14:15]
	s_delay_alu instid0(VALU_DEP_1) | instskip(SKIP_1) | instid1(VALU_DEP_2)
	v_mul_f32_e32 v14, 0x4b800000, v0
	v_cmp_gt_f32_e32 vcc_lo, 0x800000, v0
	v_cndmask_b32_e32 v0, v0, v14, vcc_lo
	s_delay_alu instid0(VALU_DEP_1) | instskip(SKIP_2) | instid1(VALU_DEP_1)
	v_rsq_f32_e32 v0, v0
	s_waitcnt_depctr 0xfff
	v_mul_f32_e32 v14, 0x45800000, v0
	v_cndmask_b32_e32 v0, v0, v14, vcc_lo
	s_delay_alu instid0(VALU_DEP_1)
	v_mul_f32_e32 v14, v0, v6
	v_mul_f32_e32 v6, v0, v12
	;; [unrolled: 1-line block ×8, first 2 shown]
	v_fma_mixlo_f16 v9, v11, v4, 0 op_sel_hi:[0,1,0]
	v_fma_mixlo_f16 v8, v8, v3, 0 op_sel_hi:[0,1,0]
	;; [unrolled: 1-line block ×4, first 2 shown]
	s_delay_alu instid0(VALU_DEP_4) | instskip(NEXT) | instid1(VALU_DEP_4)
	v_fma_mixhi_f16 v9, v0, v4, 0 op_sel:[0,1,0] op_sel_hi:[0,1,0]
	v_fma_mixhi_f16 v8, v13, v3, 0 op_sel:[0,1,0] op_sel_hi:[0,1,0]
	s_delay_alu instid0(VALU_DEP_4) | instskip(NEXT) | instid1(VALU_DEP_4)
	v_fma_mixhi_f16 v7, v12, v2, 0 op_sel:[0,1,0] op_sel_hi:[0,1,0]
	v_fma_mixhi_f16 v6, v14, v1, 0 op_sel:[0,1,0] op_sel_hi:[0,1,0]
	buffer_store_b128 v[6:9], v5, s[4:7], 0 offen
	;;#ASMSTART
	s_nop 0
	;;#ASMEND
.LBB147_4:
	s_nop 0
	s_sendmsg sendmsg(MSG_DEALLOC_VGPRS)
	s_endpgm
	.section	.rodata,"a",@progbits
	.p2align	6, 0x0
	.amdhsa_kernel _ZN5aiter24add_rmsnorm_quant_kernelIDF16_DF16_Li256ELi8ELb0ELb0ELb0ELi1EEEvPT0_PT_PfS4_S4_S4_diiiiiiib
		.amdhsa_group_segment_fixed_size 32
		.amdhsa_private_segment_fixed_size 0
		.amdhsa_kernarg_size 88
		.amdhsa_user_sgpr_count 15
		.amdhsa_user_sgpr_dispatch_ptr 0
		.amdhsa_user_sgpr_queue_ptr 0
		.amdhsa_user_sgpr_kernarg_segment_ptr 1
		.amdhsa_user_sgpr_dispatch_id 0
		.amdhsa_user_sgpr_private_segment_size 0
		.amdhsa_wavefront_size32 1
		.amdhsa_uses_dynamic_stack 0
		.amdhsa_enable_private_segment 0
		.amdhsa_system_sgpr_workgroup_id_x 1
		.amdhsa_system_sgpr_workgroup_id_y 0
		.amdhsa_system_sgpr_workgroup_id_z 0
		.amdhsa_system_sgpr_workgroup_info 0
		.amdhsa_system_vgpr_workitem_id 0
		.amdhsa_next_free_vgpr 20
		.amdhsa_next_free_sgpr 20
		.amdhsa_reserve_vcc 1
		.amdhsa_float_round_mode_32 0
		.amdhsa_float_round_mode_16_64 0
		.amdhsa_float_denorm_mode_32 3
		.amdhsa_float_denorm_mode_16_64 3
		.amdhsa_dx10_clamp 1
		.amdhsa_ieee_mode 1
		.amdhsa_fp16_overflow 0
		.amdhsa_workgroup_processor_mode 1
		.amdhsa_memory_ordered 1
		.amdhsa_forward_progress 0
		.amdhsa_shared_vgpr_count 0
		.amdhsa_exception_fp_ieee_invalid_op 0
		.amdhsa_exception_fp_denorm_src 0
		.amdhsa_exception_fp_ieee_div_zero 0
		.amdhsa_exception_fp_ieee_overflow 0
		.amdhsa_exception_fp_ieee_underflow 0
		.amdhsa_exception_fp_ieee_inexact 0
		.amdhsa_exception_int_div_zero 0
	.end_amdhsa_kernel
	.section	.text._ZN5aiter24add_rmsnorm_quant_kernelIDF16_DF16_Li256ELi8ELb0ELb0ELb0ELi1EEEvPT0_PT_PfS4_S4_S4_diiiiiiib,"axG",@progbits,_ZN5aiter24add_rmsnorm_quant_kernelIDF16_DF16_Li256ELi8ELb0ELb0ELb0ELi1EEEvPT0_PT_PfS4_S4_S4_diiiiiiib,comdat
.Lfunc_end147:
	.size	_ZN5aiter24add_rmsnorm_quant_kernelIDF16_DF16_Li256ELi8ELb0ELb0ELb0ELi1EEEvPT0_PT_PfS4_S4_S4_diiiiiiib, .Lfunc_end147-_ZN5aiter24add_rmsnorm_quant_kernelIDF16_DF16_Li256ELi8ELb0ELb0ELb0ELi1EEEvPT0_PT_PfS4_S4_S4_diiiiiiib
                                        ; -- End function
	.section	.AMDGPU.csdata,"",@progbits
; Kernel info:
; codeLenInByte = 904
; NumSgprs: 22
; NumVgprs: 20
; ScratchSize: 0
; MemoryBound: 0
; FloatMode: 240
; IeeeMode: 1
; LDSByteSize: 32 bytes/workgroup (compile time only)
; SGPRBlocks: 2
; VGPRBlocks: 2
; NumSGPRsForWavesPerEU: 22
; NumVGPRsForWavesPerEU: 20
; Occupancy: 16
; WaveLimiterHint : 1
; COMPUTE_PGM_RSRC2:SCRATCH_EN: 0
; COMPUTE_PGM_RSRC2:USER_SGPR: 15
; COMPUTE_PGM_RSRC2:TRAP_HANDLER: 0
; COMPUTE_PGM_RSRC2:TGID_X_EN: 1
; COMPUTE_PGM_RSRC2:TGID_Y_EN: 0
; COMPUTE_PGM_RSRC2:TGID_Z_EN: 0
; COMPUTE_PGM_RSRC2:TIDIG_COMP_CNT: 0
	.section	.text._ZN5aiter24add_rmsnorm_quant_kernelIttLi256ELi8ELb0ELb0ELb0ELi1EEEvPT0_PT_PfS4_S4_S4_diiiiiiib,"axG",@progbits,_ZN5aiter24add_rmsnorm_quant_kernelIttLi256ELi8ELb0ELb0ELb0ELi1EEEvPT0_PT_PfS4_S4_S4_diiiiiiib,comdat
	.protected	_ZN5aiter24add_rmsnorm_quant_kernelIttLi256ELi8ELb0ELb0ELb0ELi1EEEvPT0_PT_PfS4_S4_S4_diiiiiiib ; -- Begin function _ZN5aiter24add_rmsnorm_quant_kernelIttLi256ELi8ELb0ELb0ELb0ELi1EEEvPT0_PT_PfS4_S4_S4_diiiiiiib
	.globl	_ZN5aiter24add_rmsnorm_quant_kernelIttLi256ELi8ELb0ELb0ELb0ELi1EEEvPT0_PT_PfS4_S4_S4_diiiiiiib
	.p2align	8
	.type	_ZN5aiter24add_rmsnorm_quant_kernelIttLi256ELi8ELb0ELb0ELb0ELi1EEEvPT0_PT_PfS4_S4_S4_diiiiiiib,@function
_ZN5aiter24add_rmsnorm_quant_kernelIttLi256ELi8ELb0ELb0ELb0ELi1EEEvPT0_PT_PfS4_S4_S4_diiiiiiib: ; @_ZN5aiter24add_rmsnorm_quant_kernelIttLi256ELi8ELb0ELb0ELb0ELi1EEEvPT0_PT_PfS4_S4_S4_diiiiiiib
; %bb.0:
	s_load_b128 s[8:11], s[0:1], 0x38
	s_mov_b32 s2, s15
	s_mov_b32 s3, 0
	s_waitcnt lgkmcnt(0)
	s_ashr_i32 s5, s8, 31
	s_mov_b32 s4, s8
	s_delay_alu instid0(SALU_CYCLE_1) | instskip(NEXT) | instid1(VALU_DEP_1)
	v_cmp_ge_i64_e64 s3, s[2:3], s[4:5]
	s_and_b32 vcc_lo, exec_lo, s3
	s_cbranch_vccnz .LBB148_4
; %bb.1:
	s_clause 0x1
	s_load_b64 s[4:5], s[0:1], 0x18
	s_load_b128 s[12:15], s[0:1], 0x28
	s_ashr_i32 s3, s10, 31
	s_mul_hi_u32 s7, s10, s2
	s_mul_i32 s3, s3, s2
	s_mul_i32 s6, s10, s2
	s_add_i32 s7, s7, s3
	v_lshlrev_b32_e32 v5, 4, v0
	s_lshl_b64 s[6:7], s[6:7], 1
	v_and_b32_e32 v16, 31, v0
	s_waitcnt lgkmcnt(0)
	s_add_u32 s4, s4, s6
	s_addc_u32 s3, s5, s7
	s_add_i32 s5, s9, 1
	s_mov_b32 s7, -1
	s_lshr_b32 s6, s5, 31
	s_mov_b32 s19, s7
	s_add_i32 s5, s5, s6
	s_mov_b32 s16, s12
	s_lshl_b32 s6, s5, 1
	s_and_b32 s5, s3, 0xffff
	s_and_b32 s6, s6, -4
	s_and_b32 s17, s13, 0xffff
	buffer_load_b128 v[9:12], v5, s[4:7], 0 offen glc slc
	s_mov_b32 s18, s6
	s_mov_b32 s3, exec_lo
	s_waitcnt vmcnt(0)
	v_lshrrev_b32_e32 v6, 16, v9
	v_and_b32_e32 v8, 0xffff, v10
	v_lshrrev_b32_e32 v15, 16, v12
	v_and_b32_e32 v13, 0xffff, v12
	s_delay_alu instid0(VALU_DEP_4) | instskip(NEXT) | instid1(VALU_DEP_4)
	v_cvt_f32_u32_e32 v6, v6
	v_cvt_f32_u32_e32 v8, v8
	v_and_b32_e32 v7, 0xffff, v9
	v_lshrrev_b32_e32 v9, 16, v10
	v_and_b32_e32 v10, 0xffff, v11
	v_mul_f32_e32 v14, v6, v6
	buffer_load_b128 v[1:4], v5, s[16:19], 0 offen
	v_cvt_f32_u32_e32 v7, v7
	v_cvt_f32_u32_e32 v9, v9
	v_lshrrev_b32_e32 v11, 16, v11
	v_cvt_f32_u32_e32 v10, v10
	v_cvt_f32_u32_e32 v12, v13
	v_fmac_f32_e32 v14, v7, v7
	v_cvt_f32_u32_e32 v13, v15
	v_cvt_f32_u32_e32 v11, v11
	s_delay_alu instid0(VALU_DEP_3) | instskip(NEXT) | instid1(VALU_DEP_1)
	v_fmac_f32_e32 v14, v8, v8
	v_fmac_f32_e32 v14, v9, v9
	s_delay_alu instid0(VALU_DEP_1) | instskip(NEXT) | instid1(VALU_DEP_1)
	v_fmac_f32_e32 v14, v10, v10
	v_fmac_f32_e32 v14, v11, v11
	s_delay_alu instid0(VALU_DEP_1) | instskip(NEXT) | instid1(VALU_DEP_1)
	;; [unrolled: 3-line block ×3, first 2 shown]
	v_mov_b32_dpp v15, v14 quad_perm:[1,0,3,2] row_mask:0xf bank_mask:0xf
	v_add_f32_e32 v14, v14, v15
	s_delay_alu instid0(VALU_DEP_1) | instskip(NEXT) | instid1(VALU_DEP_1)
	v_mov_b32_dpp v15, v14 quad_perm:[2,3,0,1] row_mask:0xf bank_mask:0xf
	v_add_f32_e32 v14, v14, v15
	s_delay_alu instid0(VALU_DEP_1) | instskip(NEXT) | instid1(VALU_DEP_1)
	v_mov_b32_dpp v15, v14 row_xmask:7 row_mask:0xf bank_mask:0xf
	v_add_f32_e32 v14, v14, v15
	s_delay_alu instid0(VALU_DEP_1)
	v_mov_b32_dpp v15, v14 row_xmask:15 row_mask:0xf bank_mask:0xf
	v_cmpx_eq_u32_e32 31, v16
	s_cbranch_execz .LBB148_3
; %bb.2:
	s_delay_alu instid0(VALU_DEP_2) | instskip(SKIP_2) | instid1(VALU_DEP_2)
	v_add_f32_e32 v14, v14, v15
	s_mov_b32 s4, 0x76543210
	v_lshrrev_b32_e32 v15, 3, v0
	v_permlanex16_b32 v16, v14, s4, 0xfedcba98 op_sel:[1,1]
	s_delay_alu instid0(VALU_DEP_1)
	v_dual_add_f32 v14, v14, v16 :: v_dual_and_b32 v15, 0x7c, v15
	ds_store_b32 v15, v14
.LBB148_3:
	s_or_b32 exec_lo, exec_lo, s3
	v_and_b32_e32 v0, 7, v0
	s_waitcnt vmcnt(0) lgkmcnt(0)
	s_barrier
	buffer_gl0_inv
	v_cvt_f32_i32_e32 v15, s9
	v_lshlrev_b32_e32 v0, 2, v0
	ds_load_b32 v0, v0
	s_clause 0x1
	s_load_b64 s[4:5], s[0:1], 0x0
	s_load_b32 s0, s[0:1], 0x4c
	s_waitcnt lgkmcnt(0)
	v_mov_b32_dpp v14, v0 quad_perm:[1,0,3,2] row_mask:0xf bank_mask:0xf
	s_ashr_i32 s1, s0, 31
	s_mul_hi_u32 s3, s0, s2
	s_mul_i32 s1, s1, s2
	s_mul_i32 s0, s0, s2
	v_add_f32_e32 v0, v0, v14
	s_add_i32 s1, s3, s1
	s_delay_alu instid0(SALU_CYCLE_1) | instskip(NEXT) | instid1(SALU_CYCLE_1)
	s_lshl_b64 s[0:1], s[0:1], 1
	s_add_u32 s4, s4, s0
	s_delay_alu instid0(VALU_DEP_1) | instskip(SKIP_1) | instid1(SALU_CYCLE_1)
	v_mov_b32_dpp v14, v0 quad_perm:[2,3,0,1] row_mask:0xf bank_mask:0xf
	s_addc_u32 s0, s5, s1
	s_and_b32 s5, s0, 0xffff
	s_delay_alu instid0(VALU_DEP_1) | instskip(NEXT) | instid1(VALU_DEP_1)
	v_add_f32_e32 v0, v0, v14
	v_mov_b32_dpp v14, v0 row_xmask:7 row_mask:0xf bank_mask:0xf
	s_delay_alu instid0(VALU_DEP_1) | instskip(NEXT) | instid1(VALU_DEP_1)
	v_add_f32_e32 v0, v0, v14
	v_div_scale_f32 v14, null, v15, v15, v0
	v_div_scale_f32 v18, vcc_lo, v0, v15, v0
	s_delay_alu instid0(VALU_DEP_2) | instskip(SKIP_2) | instid1(VALU_DEP_1)
	v_rcp_f32_e32 v16, v14
	s_waitcnt_depctr 0xfff
	v_fma_f32 v17, -v14, v16, 1.0
	v_fmac_f32_e32 v16, v17, v16
	s_delay_alu instid0(VALU_DEP_1) | instskip(NEXT) | instid1(VALU_DEP_1)
	v_mul_f32_e32 v17, v18, v16
	v_fma_f32 v19, -v14, v17, v18
	s_delay_alu instid0(VALU_DEP_1) | instskip(NEXT) | instid1(VALU_DEP_1)
	v_fmac_f32_e32 v17, v19, v16
	v_fma_f32 v14, -v14, v17, v18
	s_delay_alu instid0(VALU_DEP_1) | instskip(SKIP_3) | instid1(VALU_DEP_4)
	v_div_fmas_f32 v14, v14, v16, v17
	v_lshrrev_b32_e32 v16, 16, v3
	v_and_b32_e32 v3, 0xffff, v3
	v_lshrrev_b32_e32 v17, 16, v4
	v_div_fixup_f32 v0, v14, v15, v0
	s_delay_alu instid0(VALU_DEP_4) | instskip(NEXT) | instid1(VALU_DEP_4)
	v_cvt_f32_u32_e32 v16, v16
	v_cvt_f32_u32_e32 v3, v3
	s_delay_alu instid0(VALU_DEP_4) | instskip(NEXT) | instid1(VALU_DEP_4)
	v_cvt_f32_u32_e32 v17, v17
	v_cvt_f64_f32_e32 v[14:15], v0
	s_delay_alu instid0(VALU_DEP_1) | instskip(NEXT) | instid1(VALU_DEP_1)
	v_add_f64 v[14:15], v[14:15], s[14:15]
	v_cvt_f32_f64_e32 v0, v[14:15]
	v_lshrrev_b32_e32 v15, 16, v1
	v_and_b32_e32 v1, 0xffff, v1
	s_delay_alu instid0(VALU_DEP_2) | instskip(NEXT) | instid1(VALU_DEP_2)
	v_cvt_f32_u32_e32 v15, v15
	v_cvt_f32_u32_e32 v1, v1
	v_mul_f32_e32 v14, 0x4b800000, v0
	v_cmp_gt_f32_e32 vcc_lo, 0x800000, v0
	s_delay_alu instid0(VALU_DEP_2) | instskip(SKIP_1) | instid1(VALU_DEP_2)
	v_cndmask_b32_e32 v0, v0, v14, vcc_lo
	v_lshrrev_b32_e32 v14, 16, v2
	v_rsq_f32_e32 v0, v0
	s_delay_alu instid0(VALU_DEP_1) | instskip(SKIP_2) | instid1(VALU_DEP_1)
	v_cvt_f32_u32_e32 v14, v14
	s_waitcnt_depctr 0xfff
	v_mul_f32_e32 v18, 0x45800000, v0
	v_cndmask_b32_e32 v0, v0, v18, vcc_lo
	v_and_b32_e32 v2, 0xffff, v2
	s_delay_alu instid0(VALU_DEP_2) | instskip(SKIP_1) | instid1(VALU_DEP_2)
	v_dual_mul_f32 v11, v0, v11 :: v_dual_and_b32 v4, 0xffff, v4
	v_mul_f32_e32 v6, v0, v6
	v_cvt_f32_u32_e32 v4, v4
	v_mul_f32_e32 v7, v0, v7
	v_mul_f32_e32 v8, v0, v8
	;; [unrolled: 1-line block ×3, first 2 shown]
	v_cvt_f32_u32_e32 v2, v2
	v_mul_f32_e32 v10, v0, v10
	v_mul_f32_e32 v12, v0, v12
	;; [unrolled: 1-line block ×4, first 2 shown]
	s_delay_alu instid0(VALU_DEP_4) | instskip(NEXT) | instid1(VALU_DEP_4)
	v_dual_mul_f32 v1, v8, v2 :: v_dual_mul_f32 v2, v10, v3
	v_mul_f32_e32 v3, v12, v4
	s_delay_alu instid0(VALU_DEP_4) | instskip(SKIP_3) | instid1(VALU_DEP_4)
	v_mul_f32_e32 v0, v0, v17
	v_mul_f32_e32 v4, v11, v16
	v_mul_f32_e32 v8, v9, v14
	v_mul_f32_e32 v6, v6, v15
	v_perm_b32 v3, v0, v3, 0x7060302
	s_delay_alu instid0(VALU_DEP_4) | instskip(NEXT) | instid1(VALU_DEP_4)
	v_perm_b32 v2, v4, v2, 0x7060302
	v_perm_b32 v1, v8, v1, 0x7060302
	s_delay_alu instid0(VALU_DEP_4)
	v_perm_b32 v0, v6, v7, 0x7060302
	buffer_store_b128 v[0:3], v5, s[4:7], 0 offen
	;;#ASMSTART
	s_nop 0
	;;#ASMEND
.LBB148_4:
	s_nop 0
	s_sendmsg sendmsg(MSG_DEALLOC_VGPRS)
	s_endpgm
	.section	.rodata,"a",@progbits
	.p2align	6, 0x0
	.amdhsa_kernel _ZN5aiter24add_rmsnorm_quant_kernelIttLi256ELi8ELb0ELb0ELb0ELi1EEEvPT0_PT_PfS4_S4_S4_diiiiiiib
		.amdhsa_group_segment_fixed_size 32
		.amdhsa_private_segment_fixed_size 0
		.amdhsa_kernarg_size 88
		.amdhsa_user_sgpr_count 15
		.amdhsa_user_sgpr_dispatch_ptr 0
		.amdhsa_user_sgpr_queue_ptr 0
		.amdhsa_user_sgpr_kernarg_segment_ptr 1
		.amdhsa_user_sgpr_dispatch_id 0
		.amdhsa_user_sgpr_private_segment_size 0
		.amdhsa_wavefront_size32 1
		.amdhsa_uses_dynamic_stack 0
		.amdhsa_enable_private_segment 0
		.amdhsa_system_sgpr_workgroup_id_x 1
		.amdhsa_system_sgpr_workgroup_id_y 0
		.amdhsa_system_sgpr_workgroup_id_z 0
		.amdhsa_system_sgpr_workgroup_info 0
		.amdhsa_system_vgpr_workitem_id 0
		.amdhsa_next_free_vgpr 20
		.amdhsa_next_free_sgpr 20
		.amdhsa_reserve_vcc 1
		.amdhsa_float_round_mode_32 0
		.amdhsa_float_round_mode_16_64 0
		.amdhsa_float_denorm_mode_32 3
		.amdhsa_float_denorm_mode_16_64 3
		.amdhsa_dx10_clamp 1
		.amdhsa_ieee_mode 1
		.amdhsa_fp16_overflow 0
		.amdhsa_workgroup_processor_mode 1
		.amdhsa_memory_ordered 1
		.amdhsa_forward_progress 0
		.amdhsa_shared_vgpr_count 0
		.amdhsa_exception_fp_ieee_invalid_op 0
		.amdhsa_exception_fp_denorm_src 0
		.amdhsa_exception_fp_ieee_div_zero 0
		.amdhsa_exception_fp_ieee_overflow 0
		.amdhsa_exception_fp_ieee_underflow 0
		.amdhsa_exception_fp_ieee_inexact 0
		.amdhsa_exception_int_div_zero 0
	.end_amdhsa_kernel
	.section	.text._ZN5aiter24add_rmsnorm_quant_kernelIttLi256ELi8ELb0ELb0ELb0ELi1EEEvPT0_PT_PfS4_S4_S4_diiiiiiib,"axG",@progbits,_ZN5aiter24add_rmsnorm_quant_kernelIttLi256ELi8ELb0ELb0ELb0ELi1EEEvPT0_PT_PfS4_S4_S4_diiiiiiib,comdat
.Lfunc_end148:
	.size	_ZN5aiter24add_rmsnorm_quant_kernelIttLi256ELi8ELb0ELb0ELb0ELi1EEEvPT0_PT_PfS4_S4_S4_diiiiiiib, .Lfunc_end148-_ZN5aiter24add_rmsnorm_quant_kernelIttLi256ELi8ELb0ELb0ELb0ELi1EEEvPT0_PT_PfS4_S4_S4_diiiiiiib
                                        ; -- End function
	.section	.AMDGPU.csdata,"",@progbits
; Kernel info:
; codeLenInByte = 1020
; NumSgprs: 22
; NumVgprs: 20
; ScratchSize: 0
; MemoryBound: 0
; FloatMode: 240
; IeeeMode: 1
; LDSByteSize: 32 bytes/workgroup (compile time only)
; SGPRBlocks: 2
; VGPRBlocks: 2
; NumSGPRsForWavesPerEU: 22
; NumVGPRsForWavesPerEU: 20
; Occupancy: 16
; WaveLimiterHint : 1
; COMPUTE_PGM_RSRC2:SCRATCH_EN: 0
; COMPUTE_PGM_RSRC2:USER_SGPR: 15
; COMPUTE_PGM_RSRC2:TRAP_HANDLER: 0
; COMPUTE_PGM_RSRC2:TGID_X_EN: 1
; COMPUTE_PGM_RSRC2:TGID_Y_EN: 0
; COMPUTE_PGM_RSRC2:TGID_Z_EN: 0
; COMPUTE_PGM_RSRC2:TIDIG_COMP_CNT: 0
	.section	.text._ZN5aiter24add_rmsnorm_quant_kernelIDF16_DF16_Li256ELi16ELb0ELb0ELb1ELi1EEEvPT0_PT_PfS4_S4_S4_diiiiiiib,"axG",@progbits,_ZN5aiter24add_rmsnorm_quant_kernelIDF16_DF16_Li256ELi16ELb0ELb0ELb1ELi1EEEvPT0_PT_PfS4_S4_S4_diiiiiiib,comdat
	.protected	_ZN5aiter24add_rmsnorm_quant_kernelIDF16_DF16_Li256ELi16ELb0ELb0ELb1ELi1EEEvPT0_PT_PfS4_S4_S4_diiiiiiib ; -- Begin function _ZN5aiter24add_rmsnorm_quant_kernelIDF16_DF16_Li256ELi16ELb0ELb0ELb1ELi1EEEvPT0_PT_PfS4_S4_S4_diiiiiiib
	.globl	_ZN5aiter24add_rmsnorm_quant_kernelIDF16_DF16_Li256ELi16ELb0ELb0ELb1ELi1EEEvPT0_PT_PfS4_S4_S4_diiiiiiib
	.p2align	8
	.type	_ZN5aiter24add_rmsnorm_quant_kernelIDF16_DF16_Li256ELi16ELb0ELb0ELb1ELi1EEEvPT0_PT_PfS4_S4_S4_diiiiiiib,@function
_ZN5aiter24add_rmsnorm_quant_kernelIDF16_DF16_Li256ELi16ELb0ELb0ELb1ELi1EEEvPT0_PT_PfS4_S4_S4_diiiiiiib: ; @_ZN5aiter24add_rmsnorm_quant_kernelIDF16_DF16_Li256ELi16ELb0ELb0ELb1ELi1EEEvPT0_PT_PfS4_S4_S4_diiiiiiib
; %bb.0:
	s_mov_b32 s2, s15
	s_load_b128 s[12:15], s[0:1], 0x38
	s_mov_b32 s3, 0
	s_waitcnt lgkmcnt(0)
	s_ashr_i32 s5, s12, 31
	s_mov_b32 s4, s12
	s_delay_alu instid0(SALU_CYCLE_1) | instskip(NEXT) | instid1(VALU_DEP_1)
	v_cmp_ge_i64_e64 s3, s[2:3], s[4:5]
	s_and_b32 vcc_lo, exec_lo, s3
	s_cbranch_vccnz .LBB149_4
; %bb.1:
	s_clause 0x1
	s_load_b64 s[4:5], s[0:1], 0x18
	s_load_b128 s[8:11], s[0:1], 0x28
	s_ashr_i32 s3, s14, 31
	s_mul_hi_u32 s7, s14, s2
	s_mul_i32 s3, s3, s2
	v_lshlrev_b32_e32 v1, 5, v0
	s_mul_i32 s6, s14, s2
	s_add_i32 s7, s7, s3
	v_lshlrev_b32_e32 v2, 4, v0
	s_lshl_b64 s[6:7], s[6:7], 1
	v_and_b32_e32 v1, 0x7c00, v1
	s_delay_alu instid0(VALU_DEP_1)
	v_and_or_b32 v9, 0x1f0, v2, v1
	s_waitcnt lgkmcnt(0)
	s_add_u32 s4, s4, s6
	s_addc_u32 s3, s5, s7
	s_add_i32 s5, s13, 1
	s_mov_b32 s7, -1
	s_lshr_b32 s6, s5, 31
	s_mov_b32 s19, s7
	s_add_i32 s5, s5, s6
	s_mov_b32 s16, s8
	s_lshl_b32 s6, s5, 1
	s_and_b32 s5, s3, 0xffff
	s_and_b32 s6, s6, -4
	s_movk_i32 s3, 0x200
	s_clause 0x1
	buffer_load_b128 v[11:14], v9, s[4:7], 0 offen glc slc
	buffer_load_b128 v[23:26], v9, s[4:7], s3 offen glc slc
	s_and_b32 s17, s9, 0xffff
	s_mov_b32 s18, s6
	s_clause 0x1
	buffer_load_b128 v[5:8], v9, s[16:19], 0 offen
	buffer_load_b128 v[1:4], v9, s[16:19], s3 offen
	s_mov_b32 s4, exec_lo
	s_waitcnt vmcnt(3)
	v_lshrrev_b32_e32 v10, 16, v11
	v_cvt_f32_f16_e32 v22, v11
	v_cvt_f32_f16_e32 v20, v13
	v_lshrrev_b32_e32 v17, 16, v14
	s_waitcnt vmcnt(2)
	v_lshrrev_b32_e32 v21, 16, v23
	v_cvt_f32_f16_e32 v10, v10
	v_lshrrev_b32_e32 v29, 16, v24
	v_lshrrev_b32_e32 v30, 16, v25
	;; [unrolled: 1-line block ×3, first 2 shown]
	v_cvt_f32_f16_e32 v19, v12
	v_mul_f32_e32 v15, v10, v10
	v_cvt_f32_f16_e32 v18, v14
	v_cvt_f32_f16_e32 v21, v21
	s_delay_alu instid0(VALU_DEP_3) | instskip(NEXT) | instid1(VALU_DEP_1)
	v_fma_mix_f32 v15, v11, v11, v15 op_sel_hi:[1,1,0]
	v_fma_mix_f32 v15, v12, v12, v15 op_sel_hi:[1,1,0]
	s_delay_alu instid0(VALU_DEP_1) | instskip(NEXT) | instid1(VALU_DEP_1)
	v_fma_mix_f32 v15, v12, v12, v15 op_sel:[1,1,0] op_sel_hi:[1,1,0]
	v_fma_mix_f32 v15, v13, v13, v15 op_sel_hi:[1,1,0]
	s_delay_alu instid0(VALU_DEP_1) | instskip(NEXT) | instid1(VALU_DEP_1)
	v_fma_mix_f32 v15, v13, v13, v15 op_sel:[1,1,0] op_sel_hi:[1,1,0]
	v_fma_mix_f32 v15, v14, v14, v15 op_sel_hi:[1,1,0]
	s_delay_alu instid0(VALU_DEP_1) | instskip(SKIP_1) | instid1(VALU_DEP_2)
	v_fma_mix_f32 v15, v14, v14, v15 op_sel:[1,1,0] op_sel_hi:[1,1,0]
	v_cvt_f32_f16_e32 v14, v23
	v_fma_mix_f32 v15, v23, v23, v15 op_sel_hi:[1,1,0]
	s_delay_alu instid0(VALU_DEP_1) | instskip(SKIP_2) | instid1(VALU_DEP_3)
	v_fma_mix_f32 v15, v23, v23, v15 op_sel:[1,1,0] op_sel_hi:[1,1,0]
	v_cvt_f32_f16_e32 v23, v17
	v_cvt_f32_f16_e32 v17, v29
	v_fma_mix_f32 v15, v24, v24, v15 op_sel_hi:[1,1,0]
	s_delay_alu instid0(VALU_DEP_1) | instskip(NEXT) | instid1(VALU_DEP_1)
	v_fma_mix_f32 v15, v24, v24, v15 op_sel:[1,1,0] op_sel_hi:[1,1,0]
	v_fma_mix_f32 v15, v25, v25, v15 op_sel_hi:[1,1,0]
	s_delay_alu instid0(VALU_DEP_1) | instskip(NEXT) | instid1(VALU_DEP_1)
	v_fma_mix_f32 v15, v25, v25, v15 op_sel:[1,1,0] op_sel_hi:[1,1,0]
	;; [unrolled: 3-line block ×3, first 2 shown]
	v_mov_b32_dpp v16, v15 quad_perm:[1,0,3,2] row_mask:0xf bank_mask:0xf
	s_delay_alu instid0(VALU_DEP_1) | instskip(SKIP_3) | instid1(VALU_DEP_4)
	v_add_f32_e32 v11, v15, v16
	v_lshrrev_b32_e32 v16, 16, v13
	v_lshrrev_b32_e32 v15, 16, v12
	v_cvt_f32_f16_e32 v12, v24
	v_mov_b32_dpp v13, v11 quad_perm:[2,3,0,1] row_mask:0xf bank_mask:0xf
	v_and_b32_e32 v28, 31, v0
	v_cvt_f32_f16_e32 v24, v16
	v_cvt_f32_f16_e32 v16, v30
	s_delay_alu instid0(VALU_DEP_4)
	v_add_f32_e32 v27, v11, v13
	v_cvt_f32_f16_e32 v11, v26
	v_cvt_f32_f16_e32 v13, v25
	;; [unrolled: 1-line block ×4, first 2 shown]
	v_mov_b32_dpp v31, v27 row_xmask:7 row_mask:0xf bank_mask:0xf
	s_delay_alu instid0(VALU_DEP_1) | instskip(NEXT) | instid1(VALU_DEP_1)
	v_add_f32_e32 v26, v27, v31
	v_mov_b32_dpp v27, v26 row_xmask:15 row_mask:0xf bank_mask:0xf
	v_cmpx_eq_u32_e32 31, v28
	s_cbranch_execz .LBB149_3
; %bb.2:
	s_delay_alu instid0(VALU_DEP_2) | instskip(SKIP_2) | instid1(VALU_DEP_2)
	v_add_f32_e32 v26, v26, v27
	s_mov_b32 s5, 0x76543210
	v_lshrrev_b32_e32 v27, 3, v0
	v_permlanex16_b32 v28, v26, s5, 0xfedcba98 op_sel:[1,1]
	s_delay_alu instid0(VALU_DEP_1)
	v_dual_add_f32 v26, v26, v28 :: v_dual_and_b32 v27, 0x7c, v27
	ds_store_b32 v27, v26
.LBB149_3:
	s_or_b32 exec_lo, exec_lo, s4
	v_and_b32_e32 v0, 7, v0
	s_waitcnt vmcnt(0) lgkmcnt(0)
	s_barrier
	buffer_gl0_inv
	v_cvt_f32_i32_e32 v27, s13
	v_lshlrev_b32_e32 v0, 2, v0
	s_clause 0x1
	s_load_b32 s4, s[0:1], 0x4c
	s_load_b64 s[0:1], s[0:1], 0x0
	ds_load_b32 v0, v0
	s_waitcnt lgkmcnt(0)
	s_ashr_i32 s5, s4, 31
	s_mul_hi_u32 s8, s4, s2
	s_mul_i32 s5, s5, s2
	s_mul_i32 s4, s4, s2
	v_mov_b32_dpp v26, v0 quad_perm:[1,0,3,2] row_mask:0xf bank_mask:0xf
	s_add_i32 s5, s8, s5
	s_delay_alu instid0(SALU_CYCLE_1) | instskip(NEXT) | instid1(SALU_CYCLE_1)
	s_lshl_b64 s[4:5], s[4:5], 1
	s_add_u32 s4, s0, s4
	s_delay_alu instid0(VALU_DEP_1) | instskip(SKIP_1) | instid1(SALU_CYCLE_1)
	v_add_f32_e32 v0, v0, v26
	s_addc_u32 s0, s1, s5
	s_and_b32 s5, s0, 0xffff
	s_delay_alu instid0(VALU_DEP_1) | instskip(NEXT) | instid1(VALU_DEP_1)
	v_mov_b32_dpp v26, v0 quad_perm:[2,3,0,1] row_mask:0xf bank_mask:0xf
	v_add_f32_e32 v0, v0, v26
	s_delay_alu instid0(VALU_DEP_1) | instskip(NEXT) | instid1(VALU_DEP_1)
	v_mov_b32_dpp v26, v0 row_xmask:7 row_mask:0xf bank_mask:0xf
	v_add_f32_e32 v0, v0, v26
	s_delay_alu instid0(VALU_DEP_1) | instskip(SKIP_1) | instid1(VALU_DEP_2)
	v_div_scale_f32 v26, null, v27, v27, v0
	v_div_scale_f32 v30, vcc_lo, v0, v27, v0
	v_rcp_f32_e32 v28, v26
	s_waitcnt_depctr 0xfff
	v_fma_f32 v29, -v26, v28, 1.0
	s_delay_alu instid0(VALU_DEP_1) | instskip(NEXT) | instid1(VALU_DEP_1)
	v_fmac_f32_e32 v28, v29, v28
	v_mul_f32_e32 v29, v30, v28
	s_delay_alu instid0(VALU_DEP_1) | instskip(NEXT) | instid1(VALU_DEP_1)
	v_fma_f32 v31, -v26, v29, v30
	v_fmac_f32_e32 v29, v31, v28
	s_delay_alu instid0(VALU_DEP_1) | instskip(NEXT) | instid1(VALU_DEP_1)
	v_fma_f32 v26, -v26, v29, v30
	v_div_fmas_f32 v26, v26, v28, v29
	s_delay_alu instid0(VALU_DEP_1) | instskip(NEXT) | instid1(VALU_DEP_1)
	v_div_fixup_f32 v0, v26, v27, v0
	v_cvt_f64_f32_e32 v[26:27], v0
	s_delay_alu instid0(VALU_DEP_1) | instskip(NEXT) | instid1(VALU_DEP_1)
	v_add_f64 v[26:27], v[26:27], s[10:11]
	v_cvt_f32_f64_e32 v0, v[26:27]
	s_delay_alu instid0(VALU_DEP_1) | instskip(SKIP_1) | instid1(VALU_DEP_2)
	v_mul_f32_e32 v26, 0x4b800000, v0
	v_cmp_gt_f32_e32 vcc_lo, 0x800000, v0
	v_cndmask_b32_e32 v0, v0, v26, vcc_lo
	s_delay_alu instid0(VALU_DEP_1) | instskip(SKIP_2) | instid1(VALU_DEP_1)
	v_rsq_f32_e32 v0, v0
	s_waitcnt_depctr 0xfff
	v_mul_f32_e32 v26, 0x45800000, v0
	v_cndmask_b32_e32 v0, v0, v26, vcc_lo
	s_delay_alu instid0(VALU_DEP_1)
	v_mul_f32_e32 v21, v0, v21
	v_mul_f32_e32 v26, v0, v10
	;; [unrolled: 1-line block ×16, first 2 shown]
	v_fma_mixlo_f16 v10, v10, v5, 0 op_sel_hi:[0,1,0]
	v_fma_mixlo_f16 v11, v19, v6, 0 op_sel_hi:[0,1,0]
	;; [unrolled: 1-line block ×8, first 2 shown]
	v_fma_mixhi_f16 v13, v23, v8, 0 op_sel:[0,1,0] op_sel_hi:[0,1,0]
	v_fma_mixhi_f16 v12, v24, v7, 0 op_sel:[0,1,0] op_sel_hi:[0,1,0]
	;; [unrolled: 1-line block ×8, first 2 shown]
	buffer_store_b128 v[10:13], v9, s[4:7], 0 offen
	;;#ASMSTART
	s_nop 0
	;;#ASMEND
	buffer_store_b128 v[14:17], v9, s[4:7], s3 offen
	;;#ASMSTART
	s_nop 0
	;;#ASMEND
.LBB149_4:
	s_nop 0
	s_sendmsg sendmsg(MSG_DEALLOC_VGPRS)
	s_endpgm
	.section	.rodata,"a",@progbits
	.p2align	6, 0x0
	.amdhsa_kernel _ZN5aiter24add_rmsnorm_quant_kernelIDF16_DF16_Li256ELi16ELb0ELb0ELb1ELi1EEEvPT0_PT_PfS4_S4_S4_diiiiiiib
		.amdhsa_group_segment_fixed_size 32
		.amdhsa_private_segment_fixed_size 0
		.amdhsa_kernarg_size 88
		.amdhsa_user_sgpr_count 15
		.amdhsa_user_sgpr_dispatch_ptr 0
		.amdhsa_user_sgpr_queue_ptr 0
		.amdhsa_user_sgpr_kernarg_segment_ptr 1
		.amdhsa_user_sgpr_dispatch_id 0
		.amdhsa_user_sgpr_private_segment_size 0
		.amdhsa_wavefront_size32 1
		.amdhsa_uses_dynamic_stack 0
		.amdhsa_enable_private_segment 0
		.amdhsa_system_sgpr_workgroup_id_x 1
		.amdhsa_system_sgpr_workgroup_id_y 0
		.amdhsa_system_sgpr_workgroup_id_z 0
		.amdhsa_system_sgpr_workgroup_info 0
		.amdhsa_system_vgpr_workitem_id 0
		.amdhsa_next_free_vgpr 33
		.amdhsa_next_free_sgpr 20
		.amdhsa_reserve_vcc 1
		.amdhsa_float_round_mode_32 0
		.amdhsa_float_round_mode_16_64 0
		.amdhsa_float_denorm_mode_32 3
		.amdhsa_float_denorm_mode_16_64 3
		.amdhsa_dx10_clamp 1
		.amdhsa_ieee_mode 1
		.amdhsa_fp16_overflow 0
		.amdhsa_workgroup_processor_mode 1
		.amdhsa_memory_ordered 1
		.amdhsa_forward_progress 0
		.amdhsa_shared_vgpr_count 0
		.amdhsa_exception_fp_ieee_invalid_op 0
		.amdhsa_exception_fp_denorm_src 0
		.amdhsa_exception_fp_ieee_div_zero 0
		.amdhsa_exception_fp_ieee_overflow 0
		.amdhsa_exception_fp_ieee_underflow 0
		.amdhsa_exception_fp_ieee_inexact 0
		.amdhsa_exception_int_div_zero 0
	.end_amdhsa_kernel
	.section	.text._ZN5aiter24add_rmsnorm_quant_kernelIDF16_DF16_Li256ELi16ELb0ELb0ELb1ELi1EEEvPT0_PT_PfS4_S4_S4_diiiiiiib,"axG",@progbits,_ZN5aiter24add_rmsnorm_quant_kernelIDF16_DF16_Li256ELi16ELb0ELb0ELb1ELi1EEEvPT0_PT_PfS4_S4_S4_diiiiiiib,comdat
.Lfunc_end149:
	.size	_ZN5aiter24add_rmsnorm_quant_kernelIDF16_DF16_Li256ELi16ELb0ELb0ELb1ELi1EEEvPT0_PT_PfS4_S4_S4_diiiiiiib, .Lfunc_end149-_ZN5aiter24add_rmsnorm_quant_kernelIDF16_DF16_Li256ELi16ELb0ELb0ELb1ELi1EEEvPT0_PT_PfS4_S4_S4_diiiiiiib
                                        ; -- End function
	.section	.AMDGPU.csdata,"",@progbits
; Kernel info:
; codeLenInByte = 1204
; NumSgprs: 22
; NumVgprs: 33
; ScratchSize: 0
; MemoryBound: 0
; FloatMode: 240
; IeeeMode: 1
; LDSByteSize: 32 bytes/workgroup (compile time only)
; SGPRBlocks: 2
; VGPRBlocks: 4
; NumSGPRsForWavesPerEU: 22
; NumVGPRsForWavesPerEU: 33
; Occupancy: 16
; WaveLimiterHint : 1
; COMPUTE_PGM_RSRC2:SCRATCH_EN: 0
; COMPUTE_PGM_RSRC2:USER_SGPR: 15
; COMPUTE_PGM_RSRC2:TRAP_HANDLER: 0
; COMPUTE_PGM_RSRC2:TGID_X_EN: 1
; COMPUTE_PGM_RSRC2:TGID_Y_EN: 0
; COMPUTE_PGM_RSRC2:TGID_Z_EN: 0
; COMPUTE_PGM_RSRC2:TIDIG_COMP_CNT: 0
	.section	.text._ZN5aiter24add_rmsnorm_quant_kernelIttLi256ELi16ELb0ELb0ELb1ELi1EEEvPT0_PT_PfS4_S4_S4_diiiiiiib,"axG",@progbits,_ZN5aiter24add_rmsnorm_quant_kernelIttLi256ELi16ELb0ELb0ELb1ELi1EEEvPT0_PT_PfS4_S4_S4_diiiiiiib,comdat
	.protected	_ZN5aiter24add_rmsnorm_quant_kernelIttLi256ELi16ELb0ELb0ELb1ELi1EEEvPT0_PT_PfS4_S4_S4_diiiiiiib ; -- Begin function _ZN5aiter24add_rmsnorm_quant_kernelIttLi256ELi16ELb0ELb0ELb1ELi1EEEvPT0_PT_PfS4_S4_S4_diiiiiiib
	.globl	_ZN5aiter24add_rmsnorm_quant_kernelIttLi256ELi16ELb0ELb0ELb1ELi1EEEvPT0_PT_PfS4_S4_S4_diiiiiiib
	.p2align	8
	.type	_ZN5aiter24add_rmsnorm_quant_kernelIttLi256ELi16ELb0ELb0ELb1ELi1EEEvPT0_PT_PfS4_S4_S4_diiiiiiib,@function
_ZN5aiter24add_rmsnorm_quant_kernelIttLi256ELi16ELb0ELb0ELb1ELi1EEEvPT0_PT_PfS4_S4_S4_diiiiiiib: ; @_ZN5aiter24add_rmsnorm_quant_kernelIttLi256ELi16ELb0ELb0ELb1ELi1EEEvPT0_PT_PfS4_S4_S4_diiiiiiib
; %bb.0:
	s_mov_b32 s2, s15
	s_load_b128 s[12:15], s[0:1], 0x38
	s_mov_b32 s3, 0
	s_waitcnt lgkmcnt(0)
	s_ashr_i32 s5, s12, 31
	s_mov_b32 s4, s12
	s_delay_alu instid0(SALU_CYCLE_1) | instskip(NEXT) | instid1(VALU_DEP_1)
	v_cmp_ge_i64_e64 s3, s[2:3], s[4:5]
	s_and_b32 vcc_lo, exec_lo, s3
	s_cbranch_vccnz .LBB150_4
; %bb.1:
	s_clause 0x1
	s_load_b64 s[4:5], s[0:1], 0x18
	s_load_b128 s[8:11], s[0:1], 0x28
	s_ashr_i32 s3, s14, 31
	s_mul_hi_u32 s7, s14, s2
	s_mul_i32 s3, s3, s2
	v_lshlrev_b32_e32 v1, 5, v0
	s_mul_i32 s6, s14, s2
	s_add_i32 s7, s7, s3
	v_lshlrev_b32_e32 v2, 4, v0
	s_lshl_b64 s[6:7], s[6:7], 1
	v_and_b32_e32 v1, 0x7c00, v1
	v_and_b32_e32 v28, 31, v0
	s_delay_alu instid0(VALU_DEP_2)
	v_and_or_b32 v9, 0x1f0, v2, v1
	s_waitcnt lgkmcnt(0)
	s_add_u32 s4, s4, s6
	s_addc_u32 s3, s5, s7
	s_add_i32 s5, s13, 1
	s_mov_b32 s7, -1
	s_lshr_b32 s6, s5, 31
	s_mov_b32 s19, s7
	s_add_i32 s5, s5, s6
	s_mov_b32 s16, s8
	s_lshl_b32 s6, s5, 1
	s_and_b32 s5, s3, 0xffff
	s_and_b32 s6, s6, -4
	s_movk_i32 s3, 0x200
	s_clause 0x1
	buffer_load_b128 v[12:15], v9, s[4:7], 0 offen glc slc
	buffer_load_b128 v[21:24], v9, s[4:7], s3 offen glc slc
	s_and_b32 s17, s9, 0xffff
	s_mov_b32 s18, s6
	s_clause 0x1
	buffer_load_b128 v[5:8], v9, s[16:19], 0 offen
	buffer_load_b128 v[1:4], v9, s[16:19], s3 offen
	s_mov_b32 s4, exec_lo
	s_waitcnt vmcnt(3)
	v_lshrrev_b32_e32 v10, 16, v12
	v_and_b32_e32 v11, 0xffff, v12
	v_and_b32_e32 v12, 0xffff, v13
	v_lshrrev_b32_e32 v13, 16, v13
	v_and_b32_e32 v16, 0xffff, v14
	v_cvt_f32_u32_e32 v10, v10
	v_cvt_f32_u32_e32 v11, v11
	;; [unrolled: 1-line block ×4, first 2 shown]
	v_lshrrev_b32_e32 v17, 16, v14
	v_mul_f32_e32 v26, v10, v10
	v_cvt_f32_u32_e32 v14, v16
	v_and_b32_e32 v18, 0xffff, v15
	v_lshrrev_b32_e32 v15, 16, v15
	v_cvt_f32_u32_e32 v16, v17
	v_fmac_f32_e32 v26, v11, v11
	s_waitcnt vmcnt(2)
	v_lshrrev_b32_e32 v19, 16, v21
	v_cvt_f32_u32_e32 v18, v18
	v_cvt_f32_u32_e32 v20, v15
	v_dual_fmac_f32 v26, v12, v12 :: v_dual_and_b32 v17, 0xffff, v21
	v_lshrrev_b32_e32 v27, 16, v24
	v_and_b32_e32 v25, 0xffff, v23
	v_lshrrev_b32_e32 v23, 16, v23
	s_delay_alu instid0(VALU_DEP_4)
	v_cvt_f32_u32_e32 v15, v17
	v_fmac_f32_e32 v26, v13, v13
	v_cvt_f32_u32_e32 v17, v19
	v_and_b32_e32 v21, 0xffff, v22
	v_lshrrev_b32_e32 v22, 16, v22
	v_cvt_f32_u32_e32 v23, v23
	v_fmac_f32_e32 v26, v14, v14
	s_delay_alu instid0(VALU_DEP_4) | instskip(NEXT) | instid1(VALU_DEP_4)
	v_cvt_f32_u32_e32 v19, v21
	v_cvt_f32_u32_e32 v21, v22
	;; [unrolled: 1-line block ×3, first 2 shown]
	s_delay_alu instid0(VALU_DEP_4) | instskip(NEXT) | instid1(VALU_DEP_1)
	v_fmac_f32_e32 v26, v16, v16
	v_dual_fmac_f32 v26, v18, v18 :: v_dual_and_b32 v25, 0xffff, v24
	s_delay_alu instid0(VALU_DEP_1) | instskip(SKIP_1) | instid1(VALU_DEP_3)
	v_cvt_f32_u32_e32 v24, v25
	v_cvt_f32_u32_e32 v25, v27
	v_fmac_f32_e32 v26, v20, v20
	s_delay_alu instid0(VALU_DEP_1) | instskip(NEXT) | instid1(VALU_DEP_1)
	v_fmac_f32_e32 v26, v15, v15
	v_fmac_f32_e32 v26, v17, v17
	s_delay_alu instid0(VALU_DEP_1) | instskip(NEXT) | instid1(VALU_DEP_1)
	v_fmac_f32_e32 v26, v19, v19
	;; [unrolled: 3-line block ×4, first 2 shown]
	v_fmac_f32_e32 v26, v25, v25
	s_delay_alu instid0(VALU_DEP_1) | instskip(NEXT) | instid1(VALU_DEP_1)
	v_mov_b32_dpp v27, v26 quad_perm:[1,0,3,2] row_mask:0xf bank_mask:0xf
	v_add_f32_e32 v26, v26, v27
	s_delay_alu instid0(VALU_DEP_1) | instskip(NEXT) | instid1(VALU_DEP_1)
	v_mov_b32_dpp v27, v26 quad_perm:[2,3,0,1] row_mask:0xf bank_mask:0xf
	v_add_f32_e32 v26, v26, v27
	s_delay_alu instid0(VALU_DEP_1) | instskip(NEXT) | instid1(VALU_DEP_1)
	v_mov_b32_dpp v27, v26 row_xmask:7 row_mask:0xf bank_mask:0xf
	v_add_f32_e32 v26, v26, v27
	s_delay_alu instid0(VALU_DEP_1)
	v_mov_b32_dpp v27, v26 row_xmask:15 row_mask:0xf bank_mask:0xf
	v_cmpx_eq_u32_e32 31, v28
	s_cbranch_execz .LBB150_3
; %bb.2:
	s_delay_alu instid0(VALU_DEP_2) | instskip(SKIP_2) | instid1(VALU_DEP_2)
	v_add_f32_e32 v26, v26, v27
	s_mov_b32 s5, 0x76543210
	v_lshrrev_b32_e32 v27, 3, v0
	v_permlanex16_b32 v28, v26, s5, 0xfedcba98 op_sel:[1,1]
	s_delay_alu instid0(VALU_DEP_1)
	v_dual_add_f32 v26, v26, v28 :: v_dual_and_b32 v27, 0x7c, v27
	ds_store_b32 v27, v26
.LBB150_3:
	s_or_b32 exec_lo, exec_lo, s4
	v_and_b32_e32 v0, 7, v0
	s_waitcnt vmcnt(0) lgkmcnt(0)
	s_barrier
	buffer_gl0_inv
	v_cvt_f32_i32_e32 v27, s13
	v_lshlrev_b32_e32 v0, 2, v0
	v_lshrrev_b32_e32 v32, 16, v3
	v_lshrrev_b32_e32 v33, 16, v4
	ds_load_b32 v0, v0
	s_clause 0x1
	s_load_b64 s[4:5], s[0:1], 0x0
	s_load_b32 s0, s[0:1], 0x4c
	v_cvt_f32_u32_e32 v32, v32
	v_cvt_f32_u32_e32 v33, v33
	s_waitcnt lgkmcnt(0)
	v_mov_b32_dpp v26, v0 quad_perm:[1,0,3,2] row_mask:0xf bank_mask:0xf
	s_ashr_i32 s1, s0, 31
	s_mul_hi_u32 s8, s0, s2
	s_mul_i32 s1, s1, s2
	s_mul_i32 s0, s0, s2
	v_add_f32_e32 v0, v0, v26
	s_add_i32 s1, s8, s1
	s_delay_alu instid0(SALU_CYCLE_1) | instskip(NEXT) | instid1(SALU_CYCLE_1)
	s_lshl_b64 s[0:1], s[0:1], 1
	s_add_u32 s4, s4, s0
	s_delay_alu instid0(VALU_DEP_1) | instskip(SKIP_1) | instid1(SALU_CYCLE_1)
	v_mov_b32_dpp v26, v0 quad_perm:[2,3,0,1] row_mask:0xf bank_mask:0xf
	s_addc_u32 s0, s5, s1
	s_and_b32 s5, s0, 0xffff
	s_delay_alu instid0(VALU_DEP_1) | instskip(NEXT) | instid1(VALU_DEP_1)
	v_add_f32_e32 v0, v0, v26
	v_mov_b32_dpp v26, v0 row_xmask:7 row_mask:0xf bank_mask:0xf
	s_delay_alu instid0(VALU_DEP_1) | instskip(NEXT) | instid1(VALU_DEP_1)
	v_add_f32_e32 v0, v0, v26
	v_div_scale_f32 v26, null, v27, v27, v0
	v_div_scale_f32 v30, vcc_lo, v0, v27, v0
	s_delay_alu instid0(VALU_DEP_2) | instskip(SKIP_2) | instid1(VALU_DEP_1)
	v_rcp_f32_e32 v28, v26
	s_waitcnt_depctr 0xfff
	v_fma_f32 v29, -v26, v28, 1.0
	v_fmac_f32_e32 v28, v29, v28
	s_delay_alu instid0(VALU_DEP_1) | instskip(NEXT) | instid1(VALU_DEP_1)
	v_mul_f32_e32 v29, v30, v28
	v_fma_f32 v31, -v26, v29, v30
	s_delay_alu instid0(VALU_DEP_1) | instskip(SKIP_1) | instid1(VALU_DEP_2)
	v_fmac_f32_e32 v29, v31, v28
	v_lshrrev_b32_e32 v31, 16, v2
	v_fma_f32 v26, -v26, v29, v30
	v_lshrrev_b32_e32 v30, 16, v1
	s_delay_alu instid0(VALU_DEP_3) | instskip(NEXT) | instid1(VALU_DEP_3)
	v_cvt_f32_u32_e32 v31, v31
	v_div_fmas_f32 v26, v26, v28, v29
	v_lshrrev_b32_e32 v28, 16, v7
	v_and_b32_e32 v7, 0xffff, v7
	v_lshrrev_b32_e32 v29, 16, v8
	v_cvt_f32_u32_e32 v30, v30
	v_div_fixup_f32 v0, v26, v27, v0
	v_cvt_f32_u32_e32 v28, v28
	v_cvt_f32_u32_e32 v7, v7
	v_cvt_f32_u32_e32 v29, v29
	s_delay_alu instid0(VALU_DEP_4) | instskip(NEXT) | instid1(VALU_DEP_1)
	v_cvt_f64_f32_e32 v[26:27], v0
	v_add_f64 v[26:27], v[26:27], s[10:11]
	s_delay_alu instid0(VALU_DEP_1) | instskip(SKIP_3) | instid1(VALU_DEP_3)
	v_cvt_f32_f64_e32 v0, v[26:27]
	v_lshrrev_b32_e32 v26, 16, v5
	v_and_b32_e32 v5, 0xffff, v5
	v_lshrrev_b32_e32 v27, 16, v6
	v_cvt_f32_u32_e32 v26, v26
	s_delay_alu instid0(VALU_DEP_3) | instskip(NEXT) | instid1(VALU_DEP_3)
	v_cvt_f32_u32_e32 v5, v5
	v_cvt_f32_u32_e32 v27, v27
	v_mul_f32_e32 v34, 0x4b800000, v0
	v_cmp_gt_f32_e32 vcc_lo, 0x800000, v0
	s_delay_alu instid0(VALU_DEP_2) | instskip(NEXT) | instid1(VALU_DEP_1)
	v_dual_cndmask_b32 v0, v0, v34 :: v_dual_and_b32 v1, 0xffff, v1
	v_cvt_f32_u32_e32 v1, v1
	s_delay_alu instid0(VALU_DEP_2) | instskip(SKIP_2) | instid1(VALU_DEP_1)
	v_rsq_f32_e32 v0, v0
	s_waitcnt_depctr 0xfff
	v_mul_f32_e32 v34, 0x45800000, v0
	v_dual_cndmask_b32 v0, v0, v34 :: v_dual_and_b32 v3, 0xffff, v3
	v_and_b32_e32 v6, 0xffff, v6
	v_and_b32_e32 v8, 0xffff, v8
	;; [unrolled: 1-line block ×3, first 2 shown]
	s_delay_alu instid0(VALU_DEP_4) | instskip(SKIP_3) | instid1(VALU_DEP_4)
	v_dual_mul_f32 v23, v0, v23 :: v_dual_and_b32 v4, 0xffff, v4
	v_mul_f32_e32 v10, v0, v10
	v_cvt_f32_u32_e32 v3, v3
	v_mul_f32_e32 v14, v0, v14
	v_cvt_f32_u32_e32 v4, v4
	v_mul_f32_e32 v20, v0, v20
	v_mul_f32_e32 v13, v0, v13
	v_cvt_f32_u32_e32 v6, v6
	v_mul_f32_e32 v12, v0, v12
	;; [unrolled: 3-line block ×3, first 2 shown]
	v_cvt_f32_u32_e32 v2, v2
	v_mul_f32_e32 v24, v0, v24
	v_mul_f32_e32 v22, v0, v22
	;; [unrolled: 1-line block ×5, first 2 shown]
	v_dual_mul_f32 v17, v0, v17 :: v_dual_mul_f32 v10, v10, v26
	v_mul_f32_e32 v16, v0, v16
	v_dual_mul_f32 v0, v0, v15 :: v_dual_mul_f32 v5, v11, v5
	s_delay_alu instid0(VALU_DEP_3) | instskip(SKIP_1) | instid1(VALU_DEP_4)
	v_mul_f32_e32 v15, v17, v30
	v_dual_mul_f32 v6, v12, v6 :: v_dual_mul_f32 v11, v13, v27
	v_mul_f32_e32 v12, v16, v28
	v_dual_mul_f32 v16, v19, v2 :: v_dual_mul_f32 v17, v21, v31
	v_mul_f32_e32 v19, v23, v32
	v_mul_f32_e32 v7, v14, v7
	v_dual_mul_f32 v8, v18, v8 :: v_dual_mul_f32 v13, v20, v29
	v_mul_f32_e32 v14, v0, v1
	v_mul_f32_e32 v18, v22, v3
	;; [unrolled: 1-line block ×4, first 2 shown]
	v_perm_b32 v3, v13, v8, 0x7060302
	v_perm_b32 v2, v12, v7, 0x7060302
	;; [unrolled: 1-line block ×8, first 2 shown]
	buffer_store_b128 v[0:3], v9, s[4:7], 0 offen
	;;#ASMSTART
	s_nop 0
	;;#ASMEND
	buffer_store_b128 v[4:7], v9, s[4:7], s3 offen
	;;#ASMSTART
	s_nop 0
	;;#ASMEND
.LBB150_4:
	s_nop 0
	s_sendmsg sendmsg(MSG_DEALLOC_VGPRS)
	s_endpgm
	.section	.rodata,"a",@progbits
	.p2align	6, 0x0
	.amdhsa_kernel _ZN5aiter24add_rmsnorm_quant_kernelIttLi256ELi16ELb0ELb0ELb1ELi1EEEvPT0_PT_PfS4_S4_S4_diiiiiiib
		.amdhsa_group_segment_fixed_size 32
		.amdhsa_private_segment_fixed_size 0
		.amdhsa_kernarg_size 88
		.amdhsa_user_sgpr_count 15
		.amdhsa_user_sgpr_dispatch_ptr 0
		.amdhsa_user_sgpr_queue_ptr 0
		.amdhsa_user_sgpr_kernarg_segment_ptr 1
		.amdhsa_user_sgpr_dispatch_id 0
		.amdhsa_user_sgpr_private_segment_size 0
		.amdhsa_wavefront_size32 1
		.amdhsa_uses_dynamic_stack 0
		.amdhsa_enable_private_segment 0
		.amdhsa_system_sgpr_workgroup_id_x 1
		.amdhsa_system_sgpr_workgroup_id_y 0
		.amdhsa_system_sgpr_workgroup_id_z 0
		.amdhsa_system_sgpr_workgroup_info 0
		.amdhsa_system_vgpr_workitem_id 0
		.amdhsa_next_free_vgpr 35
		.amdhsa_next_free_sgpr 20
		.amdhsa_reserve_vcc 1
		.amdhsa_float_round_mode_32 0
		.amdhsa_float_round_mode_16_64 0
		.amdhsa_float_denorm_mode_32 3
		.amdhsa_float_denorm_mode_16_64 3
		.amdhsa_dx10_clamp 1
		.amdhsa_ieee_mode 1
		.amdhsa_fp16_overflow 0
		.amdhsa_workgroup_processor_mode 1
		.amdhsa_memory_ordered 1
		.amdhsa_forward_progress 0
		.amdhsa_shared_vgpr_count 0
		.amdhsa_exception_fp_ieee_invalid_op 0
		.amdhsa_exception_fp_denorm_src 0
		.amdhsa_exception_fp_ieee_div_zero 0
		.amdhsa_exception_fp_ieee_overflow 0
		.amdhsa_exception_fp_ieee_underflow 0
		.amdhsa_exception_fp_ieee_inexact 0
		.amdhsa_exception_int_div_zero 0
	.end_amdhsa_kernel
	.section	.text._ZN5aiter24add_rmsnorm_quant_kernelIttLi256ELi16ELb0ELb0ELb1ELi1EEEvPT0_PT_PfS4_S4_S4_diiiiiiib,"axG",@progbits,_ZN5aiter24add_rmsnorm_quant_kernelIttLi256ELi16ELb0ELb0ELb1ELi1EEEvPT0_PT_PfS4_S4_S4_diiiiiiib,comdat
.Lfunc_end150:
	.size	_ZN5aiter24add_rmsnorm_quant_kernelIttLi256ELi16ELb0ELb0ELb1ELi1EEEvPT0_PT_PfS4_S4_S4_diiiiiiib, .Lfunc_end150-_ZN5aiter24add_rmsnorm_quant_kernelIttLi256ELi16ELb0ELb0ELb1ELi1EEEvPT0_PT_PfS4_S4_S4_diiiiiiib
                                        ; -- End function
	.section	.AMDGPU.csdata,"",@progbits
; Kernel info:
; codeLenInByte = 1412
; NumSgprs: 22
; NumVgprs: 35
; ScratchSize: 0
; MemoryBound: 0
; FloatMode: 240
; IeeeMode: 1
; LDSByteSize: 32 bytes/workgroup (compile time only)
; SGPRBlocks: 2
; VGPRBlocks: 4
; NumSGPRsForWavesPerEU: 22
; NumVGPRsForWavesPerEU: 35
; Occupancy: 16
; WaveLimiterHint : 1
; COMPUTE_PGM_RSRC2:SCRATCH_EN: 0
; COMPUTE_PGM_RSRC2:USER_SGPR: 15
; COMPUTE_PGM_RSRC2:TRAP_HANDLER: 0
; COMPUTE_PGM_RSRC2:TGID_X_EN: 1
; COMPUTE_PGM_RSRC2:TGID_Y_EN: 0
; COMPUTE_PGM_RSRC2:TGID_Z_EN: 0
; COMPUTE_PGM_RSRC2:TIDIG_COMP_CNT: 0
	.section	.text._ZN5aiter24add_rmsnorm_quant_kernelIDF16_DF16_Li256ELi16ELb0ELb0ELb0ELi1EEEvPT0_PT_PfS4_S4_S4_diiiiiiib,"axG",@progbits,_ZN5aiter24add_rmsnorm_quant_kernelIDF16_DF16_Li256ELi16ELb0ELb0ELb0ELi1EEEvPT0_PT_PfS4_S4_S4_diiiiiiib,comdat
	.protected	_ZN5aiter24add_rmsnorm_quant_kernelIDF16_DF16_Li256ELi16ELb0ELb0ELb0ELi1EEEvPT0_PT_PfS4_S4_S4_diiiiiiib ; -- Begin function _ZN5aiter24add_rmsnorm_quant_kernelIDF16_DF16_Li256ELi16ELb0ELb0ELb0ELi1EEEvPT0_PT_PfS4_S4_S4_diiiiiiib
	.globl	_ZN5aiter24add_rmsnorm_quant_kernelIDF16_DF16_Li256ELi16ELb0ELb0ELb0ELi1EEEvPT0_PT_PfS4_S4_S4_diiiiiiib
	.p2align	8
	.type	_ZN5aiter24add_rmsnorm_quant_kernelIDF16_DF16_Li256ELi16ELb0ELb0ELb0ELi1EEEvPT0_PT_PfS4_S4_S4_diiiiiiib,@function
_ZN5aiter24add_rmsnorm_quant_kernelIDF16_DF16_Li256ELi16ELb0ELb0ELb0ELi1EEEvPT0_PT_PfS4_S4_S4_diiiiiiib: ; @_ZN5aiter24add_rmsnorm_quant_kernelIDF16_DF16_Li256ELi16ELb0ELb0ELb0ELi1EEEvPT0_PT_PfS4_S4_S4_diiiiiiib
; %bb.0:
	s_load_b128 s[8:11], s[0:1], 0x38
	s_mov_b32 s2, s15
	s_mov_b32 s3, 0
	s_waitcnt lgkmcnt(0)
	s_ashr_i32 s5, s8, 31
	s_mov_b32 s4, s8
	s_delay_alu instid0(SALU_CYCLE_1) | instskip(NEXT) | instid1(VALU_DEP_1)
	v_cmp_ge_i64_e64 s3, s[2:3], s[4:5]
	s_and_b32 vcc_lo, exec_lo, s3
	s_cbranch_vccnz .LBB151_4
; %bb.1:
	s_clause 0x1
	s_load_b64 s[4:5], s[0:1], 0x18
	s_load_b128 s[12:15], s[0:1], 0x28
	s_ashr_i32 s3, s10, 31
	s_mul_hi_u32 s7, s10, s2
	s_mul_i32 s3, s3, s2
	s_mul_i32 s6, s10, s2
	s_add_i32 s7, s7, s3
	v_lshlrev_b32_e32 v9, 5, v0
	s_lshl_b64 s[6:7], s[6:7], 1
	v_and_b32_e32 v28, 31, v0
	s_waitcnt lgkmcnt(0)
	s_add_u32 s4, s4, s6
	s_addc_u32 s3, s5, s7
	s_add_i32 s5, s9, 1
	s_mov_b32 s7, -1
	s_lshr_b32 s6, s5, 31
	s_mov_b32 s19, s7
	s_add_i32 s5, s5, s6
	s_mov_b32 s16, s12
	s_lshl_b32 s6, s5, 1
	s_and_b32 s5, s3, 0xffff
	s_and_b32 s6, s6, -4
	s_clause 0x1
	buffer_load_b128 v[11:14], v9, s[4:7], 0 offen
	buffer_load_b128 v[23:26], v9, s[4:7], 16 offen
	s_and_b32 s17, s13, 0xffff
	s_mov_b32 s18, s6
	s_mov_b32 s3, exec_lo
	s_waitcnt vmcnt(1)
	v_lshrrev_b32_e32 v10, 16, v11
	v_cvt_f32_f16_e32 v22, v11
	v_cvt_f32_f16_e32 v20, v13
	s_waitcnt vmcnt(0)
	v_lshrrev_b32_e32 v32, 16, v26
	v_lshrrev_b32_e32 v17, 16, v14
	v_cvt_f32_f16_e32 v10, v10
	v_lshrrev_b32_e32 v21, 16, v23
	v_lshrrev_b32_e32 v29, 16, v24
	;; [unrolled: 1-line block ×3, first 2 shown]
	v_cvt_f32_f16_e32 v19, v12
	v_mul_f32_e32 v15, v10, v10
	v_cvt_f32_f16_e32 v18, v14
	v_cvt_f32_f16_e32 v21, v21
	s_delay_alu instid0(VALU_DEP_3) | instskip(NEXT) | instid1(VALU_DEP_1)
	v_fma_mix_f32 v15, v11, v11, v15 op_sel_hi:[1,1,0]
	v_fma_mix_f32 v15, v12, v12, v15 op_sel_hi:[1,1,0]
	s_delay_alu instid0(VALU_DEP_1) | instskip(NEXT) | instid1(VALU_DEP_1)
	v_fma_mix_f32 v15, v12, v12, v15 op_sel:[1,1,0] op_sel_hi:[1,1,0]
	v_fma_mix_f32 v15, v13, v13, v15 op_sel_hi:[1,1,0]
	s_delay_alu instid0(VALU_DEP_1) | instskip(NEXT) | instid1(VALU_DEP_1)
	v_fma_mix_f32 v15, v13, v13, v15 op_sel:[1,1,0] op_sel_hi:[1,1,0]
	v_fma_mix_f32 v15, v14, v14, v15 op_sel_hi:[1,1,0]
	s_delay_alu instid0(VALU_DEP_1) | instskip(SKIP_1) | instid1(VALU_DEP_2)
	v_fma_mix_f32 v15, v14, v14, v15 op_sel:[1,1,0] op_sel_hi:[1,1,0]
	v_cvt_f32_f16_e32 v14, v23
	v_fma_mix_f32 v15, v23, v23, v15 op_sel_hi:[1,1,0]
	s_delay_alu instid0(VALU_DEP_1) | instskip(SKIP_2) | instid1(VALU_DEP_3)
	v_fma_mix_f32 v15, v23, v23, v15 op_sel:[1,1,0] op_sel_hi:[1,1,0]
	v_cvt_f32_f16_e32 v23, v17
	v_cvt_f32_f16_e32 v17, v29
	v_fma_mix_f32 v15, v24, v24, v15 op_sel_hi:[1,1,0]
	s_delay_alu instid0(VALU_DEP_1) | instskip(NEXT) | instid1(VALU_DEP_1)
	v_fma_mix_f32 v15, v24, v24, v15 op_sel:[1,1,0] op_sel_hi:[1,1,0]
	v_fma_mix_f32 v15, v25, v25, v15 op_sel_hi:[1,1,0]
	s_delay_alu instid0(VALU_DEP_1) | instskip(NEXT) | instid1(VALU_DEP_1)
	v_fma_mix_f32 v15, v25, v25, v15 op_sel:[1,1,0] op_sel_hi:[1,1,0]
	;; [unrolled: 3-line block ×3, first 2 shown]
	v_mov_b32_dpp v16, v15 quad_perm:[1,0,3,2] row_mask:0xf bank_mask:0xf
	s_delay_alu instid0(VALU_DEP_1) | instskip(SKIP_3) | instid1(VALU_DEP_4)
	v_add_f32_e32 v11, v15, v16
	v_lshrrev_b32_e32 v16, 16, v13
	v_lshrrev_b32_e32 v15, 16, v12
	v_cvt_f32_f16_e32 v12, v24
	v_mov_b32_dpp v13, v11 quad_perm:[2,3,0,1] row_mask:0xf bank_mask:0xf
	s_delay_alu instid0(VALU_DEP_4) | instskip(SKIP_1) | instid1(VALU_DEP_3)
	v_cvt_f32_f16_e32 v24, v16
	v_cvt_f32_f16_e32 v16, v30
	v_add_f32_e32 v27, v11, v13
	v_cvt_f32_f16_e32 v11, v26
	v_cvt_f32_f16_e32 v13, v25
	;; [unrolled: 1-line block ×4, first 2 shown]
	v_mov_b32_dpp v31, v27 row_xmask:7 row_mask:0xf bank_mask:0xf
	s_delay_alu instid0(VALU_DEP_1)
	v_add_f32_e32 v26, v27, v31
	s_clause 0x1
	buffer_load_b128 v[5:8], v9, s[16:19], 0 offen
	buffer_load_b128 v[1:4], v9, s[16:19], 16 offen
	v_mov_b32_dpp v27, v26 row_xmask:15 row_mask:0xf bank_mask:0xf
	v_cmpx_eq_u32_e32 31, v28
	s_cbranch_execz .LBB151_3
; %bb.2:
	s_delay_alu instid0(VALU_DEP_2) | instskip(SKIP_2) | instid1(VALU_DEP_2)
	v_add_f32_e32 v26, v26, v27
	s_mov_b32 s4, 0x76543210
	v_lshrrev_b32_e32 v27, 3, v0
	v_permlanex16_b32 v28, v26, s4, 0xfedcba98 op_sel:[1,1]
	s_delay_alu instid0(VALU_DEP_1)
	v_dual_add_f32 v26, v26, v28 :: v_dual_and_b32 v27, 0x7c, v27
	ds_store_b32 v27, v26
.LBB151_3:
	s_or_b32 exec_lo, exec_lo, s3
	v_and_b32_e32 v0, 7, v0
	s_waitcnt vmcnt(0) lgkmcnt(0)
	s_barrier
	buffer_gl0_inv
	v_cvt_f32_i32_e32 v27, s9
	v_lshlrev_b32_e32 v0, 2, v0
	s_clause 0x1
	s_load_b32 s3, s[0:1], 0x4c
	s_load_b64 s[0:1], s[0:1], 0x0
	ds_load_b32 v0, v0
	s_waitcnt lgkmcnt(0)
	s_ashr_i32 s4, s3, 31
	s_mul_hi_u32 s5, s3, s2
	s_mul_i32 s4, s4, s2
	s_mul_i32 s2, s3, s2
	v_mov_b32_dpp v26, v0 quad_perm:[1,0,3,2] row_mask:0xf bank_mask:0xf
	s_add_i32 s3, s5, s4
	s_delay_alu instid0(SALU_CYCLE_1) | instskip(NEXT) | instid1(SALU_CYCLE_1)
	s_lshl_b64 s[2:3], s[2:3], 1
	s_add_u32 s4, s0, s2
	s_delay_alu instid0(VALU_DEP_1) | instskip(SKIP_1) | instid1(SALU_CYCLE_1)
	v_add_f32_e32 v0, v0, v26
	s_addc_u32 s0, s1, s3
	s_and_b32 s5, s0, 0xffff
	s_delay_alu instid0(VALU_DEP_1) | instskip(NEXT) | instid1(VALU_DEP_1)
	v_mov_b32_dpp v26, v0 quad_perm:[2,3,0,1] row_mask:0xf bank_mask:0xf
	v_add_f32_e32 v0, v0, v26
	s_delay_alu instid0(VALU_DEP_1) | instskip(NEXT) | instid1(VALU_DEP_1)
	v_mov_b32_dpp v26, v0 row_xmask:7 row_mask:0xf bank_mask:0xf
	v_add_f32_e32 v0, v0, v26
	s_delay_alu instid0(VALU_DEP_1) | instskip(SKIP_1) | instid1(VALU_DEP_2)
	v_div_scale_f32 v26, null, v27, v27, v0
	v_div_scale_f32 v30, vcc_lo, v0, v27, v0
	v_rcp_f32_e32 v28, v26
	s_waitcnt_depctr 0xfff
	v_fma_f32 v29, -v26, v28, 1.0
	s_delay_alu instid0(VALU_DEP_1) | instskip(NEXT) | instid1(VALU_DEP_1)
	v_fmac_f32_e32 v28, v29, v28
	v_mul_f32_e32 v29, v30, v28
	s_delay_alu instid0(VALU_DEP_1) | instskip(NEXT) | instid1(VALU_DEP_1)
	v_fma_f32 v31, -v26, v29, v30
	v_fmac_f32_e32 v29, v31, v28
	s_delay_alu instid0(VALU_DEP_1) | instskip(NEXT) | instid1(VALU_DEP_1)
	v_fma_f32 v26, -v26, v29, v30
	v_div_fmas_f32 v26, v26, v28, v29
	s_delay_alu instid0(VALU_DEP_1) | instskip(NEXT) | instid1(VALU_DEP_1)
	v_div_fixup_f32 v0, v26, v27, v0
	v_cvt_f64_f32_e32 v[26:27], v0
	s_delay_alu instid0(VALU_DEP_1) | instskip(NEXT) | instid1(VALU_DEP_1)
	v_add_f64 v[26:27], v[26:27], s[14:15]
	v_cvt_f32_f64_e32 v0, v[26:27]
	s_delay_alu instid0(VALU_DEP_1) | instskip(SKIP_1) | instid1(VALU_DEP_2)
	v_mul_f32_e32 v26, 0x4b800000, v0
	v_cmp_gt_f32_e32 vcc_lo, 0x800000, v0
	v_cndmask_b32_e32 v0, v0, v26, vcc_lo
	s_delay_alu instid0(VALU_DEP_1) | instskip(SKIP_2) | instid1(VALU_DEP_1)
	v_rsq_f32_e32 v0, v0
	s_waitcnt_depctr 0xfff
	v_mul_f32_e32 v26, 0x45800000, v0
	v_cndmask_b32_e32 v0, v0, v26, vcc_lo
	s_delay_alu instid0(VALU_DEP_1)
	v_mul_f32_e32 v21, v0, v21
	v_mul_f32_e32 v26, v0, v10
	v_mul_f32_e32 v10, v0, v22
	v_mul_f32_e32 v22, v0, v25
	v_mul_f32_e32 v19, v0, v19
	v_mul_f32_e32 v24, v0, v24
	v_mul_f32_e32 v20, v0, v20
	v_mul_f32_e32 v23, v0, v23
	v_mul_f32_e32 v18, v0, v18
	v_mul_f32_e32 v14, v0, v14
	v_mul_f32_e32 v25, v0, v17
	v_mul_f32_e32 v17, v0, v12
	v_mul_f32_e32 v27, v0, v16
	v_mul_f32_e32 v16, v0, v13
	v_mul_f32_e32 v28, v0, v15
	v_mul_f32_e32 v0, v0, v11
	v_fma_mixlo_f16 v10, v10, v5, 0 op_sel_hi:[0,1,0]
	v_fma_mixlo_f16 v11, v19, v6, 0 op_sel_hi:[0,1,0]
	;; [unrolled: 1-line block ×8, first 2 shown]
	v_fma_mixhi_f16 v13, v23, v8, 0 op_sel:[0,1,0] op_sel_hi:[0,1,0]
	v_fma_mixhi_f16 v12, v24, v7, 0 op_sel:[0,1,0] op_sel_hi:[0,1,0]
	;; [unrolled: 1-line block ×8, first 2 shown]
	buffer_store_b128 v[10:13], v9, s[4:7], 0 offen
	;;#ASMSTART
	s_nop 0
	;;#ASMEND
	buffer_store_b128 v[14:17], v9, s[4:7], 16 offen
	;;#ASMSTART
	s_nop 0
	;;#ASMEND
.LBB151_4:
	s_nop 0
	s_sendmsg sendmsg(MSG_DEALLOC_VGPRS)
	s_endpgm
	.section	.rodata,"a",@progbits
	.p2align	6, 0x0
	.amdhsa_kernel _ZN5aiter24add_rmsnorm_quant_kernelIDF16_DF16_Li256ELi16ELb0ELb0ELb0ELi1EEEvPT0_PT_PfS4_S4_S4_diiiiiiib
		.amdhsa_group_segment_fixed_size 32
		.amdhsa_private_segment_fixed_size 0
		.amdhsa_kernarg_size 88
		.amdhsa_user_sgpr_count 15
		.amdhsa_user_sgpr_dispatch_ptr 0
		.amdhsa_user_sgpr_queue_ptr 0
		.amdhsa_user_sgpr_kernarg_segment_ptr 1
		.amdhsa_user_sgpr_dispatch_id 0
		.amdhsa_user_sgpr_private_segment_size 0
		.amdhsa_wavefront_size32 1
		.amdhsa_uses_dynamic_stack 0
		.amdhsa_enable_private_segment 0
		.amdhsa_system_sgpr_workgroup_id_x 1
		.amdhsa_system_sgpr_workgroup_id_y 0
		.amdhsa_system_sgpr_workgroup_id_z 0
		.amdhsa_system_sgpr_workgroup_info 0
		.amdhsa_system_vgpr_workitem_id 0
		.amdhsa_next_free_vgpr 33
		.amdhsa_next_free_sgpr 20
		.amdhsa_reserve_vcc 1
		.amdhsa_float_round_mode_32 0
		.amdhsa_float_round_mode_16_64 0
		.amdhsa_float_denorm_mode_32 3
		.amdhsa_float_denorm_mode_16_64 3
		.amdhsa_dx10_clamp 1
		.amdhsa_ieee_mode 1
		.amdhsa_fp16_overflow 0
		.amdhsa_workgroup_processor_mode 1
		.amdhsa_memory_ordered 1
		.amdhsa_forward_progress 0
		.amdhsa_shared_vgpr_count 0
		.amdhsa_exception_fp_ieee_invalid_op 0
		.amdhsa_exception_fp_denorm_src 0
		.amdhsa_exception_fp_ieee_div_zero 0
		.amdhsa_exception_fp_ieee_overflow 0
		.amdhsa_exception_fp_ieee_underflow 0
		.amdhsa_exception_fp_ieee_inexact 0
		.amdhsa_exception_int_div_zero 0
	.end_amdhsa_kernel
	.section	.text._ZN5aiter24add_rmsnorm_quant_kernelIDF16_DF16_Li256ELi16ELb0ELb0ELb0ELi1EEEvPT0_PT_PfS4_S4_S4_diiiiiiib,"axG",@progbits,_ZN5aiter24add_rmsnorm_quant_kernelIDF16_DF16_Li256ELi16ELb0ELb0ELb0ELi1EEEvPT0_PT_PfS4_S4_S4_diiiiiiib,comdat
.Lfunc_end151:
	.size	_ZN5aiter24add_rmsnorm_quant_kernelIDF16_DF16_Li256ELi16ELb0ELb0ELb0ELi1EEEvPT0_PT_PfS4_S4_S4_diiiiiiib, .Lfunc_end151-_ZN5aiter24add_rmsnorm_quant_kernelIDF16_DF16_Li256ELi16ELb0ELb0ELb0ELi1EEEvPT0_PT_PfS4_S4_S4_diiiiiiib
                                        ; -- End function
	.section	.AMDGPU.csdata,"",@progbits
; Kernel info:
; codeLenInByte = 1172
; NumSgprs: 22
; NumVgprs: 33
; ScratchSize: 0
; MemoryBound: 0
; FloatMode: 240
; IeeeMode: 1
; LDSByteSize: 32 bytes/workgroup (compile time only)
; SGPRBlocks: 2
; VGPRBlocks: 4
; NumSGPRsForWavesPerEU: 22
; NumVGPRsForWavesPerEU: 33
; Occupancy: 16
; WaveLimiterHint : 1
; COMPUTE_PGM_RSRC2:SCRATCH_EN: 0
; COMPUTE_PGM_RSRC2:USER_SGPR: 15
; COMPUTE_PGM_RSRC2:TRAP_HANDLER: 0
; COMPUTE_PGM_RSRC2:TGID_X_EN: 1
; COMPUTE_PGM_RSRC2:TGID_Y_EN: 0
; COMPUTE_PGM_RSRC2:TGID_Z_EN: 0
; COMPUTE_PGM_RSRC2:TIDIG_COMP_CNT: 0
	.section	.text._ZN5aiter24add_rmsnorm_quant_kernelIttLi256ELi16ELb0ELb0ELb0ELi1EEEvPT0_PT_PfS4_S4_S4_diiiiiiib,"axG",@progbits,_ZN5aiter24add_rmsnorm_quant_kernelIttLi256ELi16ELb0ELb0ELb0ELi1EEEvPT0_PT_PfS4_S4_S4_diiiiiiib,comdat
	.protected	_ZN5aiter24add_rmsnorm_quant_kernelIttLi256ELi16ELb0ELb0ELb0ELi1EEEvPT0_PT_PfS4_S4_S4_diiiiiiib ; -- Begin function _ZN5aiter24add_rmsnorm_quant_kernelIttLi256ELi16ELb0ELb0ELb0ELi1EEEvPT0_PT_PfS4_S4_S4_diiiiiiib
	.globl	_ZN5aiter24add_rmsnorm_quant_kernelIttLi256ELi16ELb0ELb0ELb0ELi1EEEvPT0_PT_PfS4_S4_S4_diiiiiiib
	.p2align	8
	.type	_ZN5aiter24add_rmsnorm_quant_kernelIttLi256ELi16ELb0ELb0ELb0ELi1EEEvPT0_PT_PfS4_S4_S4_diiiiiiib,@function
_ZN5aiter24add_rmsnorm_quant_kernelIttLi256ELi16ELb0ELb0ELb0ELi1EEEvPT0_PT_PfS4_S4_S4_diiiiiiib: ; @_ZN5aiter24add_rmsnorm_quant_kernelIttLi256ELi16ELb0ELb0ELb0ELi1EEEvPT0_PT_PfS4_S4_S4_diiiiiiib
; %bb.0:
	s_load_b128 s[8:11], s[0:1], 0x38
	s_mov_b32 s2, s15
	s_mov_b32 s3, 0
	s_waitcnt lgkmcnt(0)
	s_ashr_i32 s5, s8, 31
	s_mov_b32 s4, s8
	s_delay_alu instid0(SALU_CYCLE_1) | instskip(NEXT) | instid1(VALU_DEP_1)
	v_cmp_ge_i64_e64 s3, s[2:3], s[4:5]
	s_and_b32 vcc_lo, exec_lo, s3
	s_cbranch_vccnz .LBB152_4
; %bb.1:
	s_clause 0x1
	s_load_b64 s[4:5], s[0:1], 0x18
	s_load_b128 s[12:15], s[0:1], 0x28
	s_ashr_i32 s3, s10, 31
	s_mul_hi_u32 s7, s10, s2
	s_mul_i32 s3, s3, s2
	s_mul_i32 s6, s10, s2
	s_add_i32 s7, s7, s3
	v_lshlrev_b32_e32 v9, 5, v0
	s_lshl_b64 s[6:7], s[6:7], 1
	v_and_b32_e32 v28, 31, v0
	s_waitcnt lgkmcnt(0)
	s_add_u32 s4, s4, s6
	s_addc_u32 s3, s5, s7
	s_add_i32 s5, s9, 1
	s_mov_b32 s7, -1
	s_lshr_b32 s6, s5, 31
	s_mov_b32 s19, s7
	s_add_i32 s5, s5, s6
	s_mov_b32 s16, s12
	s_lshl_b32 s6, s5, 1
	s_and_b32 s5, s3, 0xffff
	s_and_b32 s6, s6, -4
	s_clause 0x1
	buffer_load_b128 v[12:15], v9, s[4:7], 0 offen
	buffer_load_b128 v[21:24], v9, s[4:7], 16 offen
	s_and_b32 s17, s13, 0xffff
	s_mov_b32 s18, s6
	s_mov_b32 s3, exec_lo
	s_waitcnt vmcnt(1)
	v_lshrrev_b32_e32 v10, 16, v12
	v_and_b32_e32 v11, 0xffff, v12
	v_and_b32_e32 v12, 0xffff, v13
	v_lshrrev_b32_e32 v13, 16, v13
	v_and_b32_e32 v16, 0xffff, v14
	v_cvt_f32_u32_e32 v10, v10
	v_cvt_f32_u32_e32 v11, v11
	;; [unrolled: 1-line block ×3, first 2 shown]
	v_lshrrev_b32_e32 v17, 16, v14
	v_cvt_f32_u32_e32 v13, v13
	v_mul_f32_e32 v26, v10, v10
	s_clause 0x1
	buffer_load_b128 v[5:8], v9, s[16:19], 0 offen
	buffer_load_b128 v[1:4], v9, s[16:19], 16 offen
	v_cvt_f32_u32_e32 v14, v16
	v_cvt_f32_u32_e32 v16, v17
	s_waitcnt vmcnt(2)
	v_dual_fmac_f32 v26, v11, v11 :: v_dual_and_b32 v17, 0xffff, v21
	v_lshrrev_b32_e32 v19, 16, v21
	v_and_b32_e32 v18, 0xffff, v15
	v_lshrrev_b32_e32 v15, 16, v15
	s_delay_alu instid0(VALU_DEP_4) | instskip(SKIP_1) | instid1(VALU_DEP_4)
	v_dual_fmac_f32 v26, v12, v12 :: v_dual_and_b32 v21, 0xffff, v22
	v_lshrrev_b32_e32 v22, 16, v22
	v_cvt_f32_u32_e32 v18, v18
	s_delay_alu instid0(VALU_DEP_4)
	v_cvt_f32_u32_e32 v20, v15
	v_cvt_f32_u32_e32 v15, v17
	v_fmac_f32_e32 v26, v13, v13
	v_cvt_f32_u32_e32 v17, v19
	v_cvt_f32_u32_e32 v19, v21
	;; [unrolled: 1-line block ×3, first 2 shown]
	s_delay_alu instid0(VALU_DEP_4) | instskip(SKIP_2) | instid1(VALU_DEP_3)
	v_dual_fmac_f32 v26, v14, v14 :: v_dual_and_b32 v25, 0xffff, v23
	v_lshrrev_b32_e32 v23, 16, v23
	v_lshrrev_b32_e32 v27, 16, v24
	v_cvt_f32_u32_e32 v22, v25
	s_delay_alu instid0(VALU_DEP_4) | instskip(NEXT) | instid1(VALU_DEP_4)
	v_fmac_f32_e32 v26, v16, v16
	v_cvt_f32_u32_e32 v23, v23
	s_delay_alu instid0(VALU_DEP_2) | instskip(NEXT) | instid1(VALU_DEP_1)
	v_dual_fmac_f32 v26, v18, v18 :: v_dual_and_b32 v25, 0xffff, v24
	v_cvt_f32_u32_e32 v24, v25
	v_cvt_f32_u32_e32 v25, v27
	s_delay_alu instid0(VALU_DEP_3) | instskip(NEXT) | instid1(VALU_DEP_1)
	v_fmac_f32_e32 v26, v20, v20
	v_fmac_f32_e32 v26, v15, v15
	s_delay_alu instid0(VALU_DEP_1) | instskip(NEXT) | instid1(VALU_DEP_1)
	v_fmac_f32_e32 v26, v17, v17
	v_fmac_f32_e32 v26, v19, v19
	s_delay_alu instid0(VALU_DEP_1) | instskip(NEXT) | instid1(VALU_DEP_1)
	;; [unrolled: 3-line block ×4, first 2 shown]
	v_fmac_f32_e32 v26, v25, v25
	v_mov_b32_dpp v27, v26 quad_perm:[1,0,3,2] row_mask:0xf bank_mask:0xf
	s_delay_alu instid0(VALU_DEP_1) | instskip(NEXT) | instid1(VALU_DEP_1)
	v_add_f32_e32 v26, v26, v27
	v_mov_b32_dpp v27, v26 quad_perm:[2,3,0,1] row_mask:0xf bank_mask:0xf
	s_delay_alu instid0(VALU_DEP_1) | instskip(NEXT) | instid1(VALU_DEP_1)
	v_add_f32_e32 v26, v26, v27
	v_mov_b32_dpp v27, v26 row_xmask:7 row_mask:0xf bank_mask:0xf
	s_delay_alu instid0(VALU_DEP_1) | instskip(NEXT) | instid1(VALU_DEP_1)
	v_add_f32_e32 v26, v26, v27
	v_mov_b32_dpp v27, v26 row_xmask:15 row_mask:0xf bank_mask:0xf
	v_cmpx_eq_u32_e32 31, v28
	s_cbranch_execz .LBB152_3
; %bb.2:
	s_delay_alu instid0(VALU_DEP_2) | instskip(SKIP_2) | instid1(VALU_DEP_2)
	v_add_f32_e32 v26, v26, v27
	s_mov_b32 s4, 0x76543210
	v_lshrrev_b32_e32 v27, 3, v0
	v_permlanex16_b32 v28, v26, s4, 0xfedcba98 op_sel:[1,1]
	s_delay_alu instid0(VALU_DEP_1)
	v_dual_add_f32 v26, v26, v28 :: v_dual_and_b32 v27, 0x7c, v27
	ds_store_b32 v27, v26
.LBB152_3:
	s_or_b32 exec_lo, exec_lo, s3
	v_and_b32_e32 v0, 7, v0
	s_waitcnt vmcnt(0) lgkmcnt(0)
	s_barrier
	buffer_gl0_inv
	v_cvt_f32_i32_e32 v27, s9
	v_lshlrev_b32_e32 v0, 2, v0
	v_lshrrev_b32_e32 v32, 16, v3
	v_lshrrev_b32_e32 v33, 16, v4
	ds_load_b32 v0, v0
	s_clause 0x1
	s_load_b64 s[4:5], s[0:1], 0x0
	s_load_b32 s0, s[0:1], 0x4c
	v_cvt_f32_u32_e32 v32, v32
	v_cvt_f32_u32_e32 v33, v33
	s_waitcnt lgkmcnt(0)
	v_mov_b32_dpp v26, v0 quad_perm:[1,0,3,2] row_mask:0xf bank_mask:0xf
	s_ashr_i32 s1, s0, 31
	s_mul_hi_u32 s3, s0, s2
	s_mul_i32 s1, s1, s2
	s_mul_i32 s0, s0, s2
	v_add_f32_e32 v0, v0, v26
	s_add_i32 s1, s3, s1
	s_delay_alu instid0(SALU_CYCLE_1) | instskip(NEXT) | instid1(SALU_CYCLE_1)
	s_lshl_b64 s[0:1], s[0:1], 1
	s_add_u32 s4, s4, s0
	s_delay_alu instid0(VALU_DEP_1) | instskip(SKIP_1) | instid1(SALU_CYCLE_1)
	v_mov_b32_dpp v26, v0 quad_perm:[2,3,0,1] row_mask:0xf bank_mask:0xf
	s_addc_u32 s0, s5, s1
	s_and_b32 s5, s0, 0xffff
	s_delay_alu instid0(VALU_DEP_1) | instskip(NEXT) | instid1(VALU_DEP_1)
	v_add_f32_e32 v0, v0, v26
	v_mov_b32_dpp v26, v0 row_xmask:7 row_mask:0xf bank_mask:0xf
	s_delay_alu instid0(VALU_DEP_1) | instskip(NEXT) | instid1(VALU_DEP_1)
	v_add_f32_e32 v0, v0, v26
	v_div_scale_f32 v26, null, v27, v27, v0
	v_div_scale_f32 v30, vcc_lo, v0, v27, v0
	s_delay_alu instid0(VALU_DEP_2) | instskip(SKIP_2) | instid1(VALU_DEP_1)
	v_rcp_f32_e32 v28, v26
	s_waitcnt_depctr 0xfff
	v_fma_f32 v29, -v26, v28, 1.0
	v_fmac_f32_e32 v28, v29, v28
	s_delay_alu instid0(VALU_DEP_1) | instskip(NEXT) | instid1(VALU_DEP_1)
	v_mul_f32_e32 v29, v30, v28
	v_fma_f32 v31, -v26, v29, v30
	s_delay_alu instid0(VALU_DEP_1) | instskip(SKIP_1) | instid1(VALU_DEP_2)
	v_fmac_f32_e32 v29, v31, v28
	v_lshrrev_b32_e32 v31, 16, v2
	v_fma_f32 v26, -v26, v29, v30
	v_lshrrev_b32_e32 v30, 16, v1
	s_delay_alu instid0(VALU_DEP_3) | instskip(NEXT) | instid1(VALU_DEP_3)
	v_cvt_f32_u32_e32 v31, v31
	v_div_fmas_f32 v26, v26, v28, v29
	v_lshrrev_b32_e32 v28, 16, v7
	v_and_b32_e32 v7, 0xffff, v7
	v_lshrrev_b32_e32 v29, 16, v8
	v_cvt_f32_u32_e32 v30, v30
	v_div_fixup_f32 v0, v26, v27, v0
	v_cvt_f32_u32_e32 v28, v28
	v_cvt_f32_u32_e32 v7, v7
	;; [unrolled: 1-line block ×3, first 2 shown]
	s_delay_alu instid0(VALU_DEP_4) | instskip(NEXT) | instid1(VALU_DEP_1)
	v_cvt_f64_f32_e32 v[26:27], v0
	v_add_f64 v[26:27], v[26:27], s[14:15]
	s_delay_alu instid0(VALU_DEP_1) | instskip(SKIP_3) | instid1(VALU_DEP_3)
	v_cvt_f32_f64_e32 v0, v[26:27]
	v_lshrrev_b32_e32 v26, 16, v5
	v_and_b32_e32 v5, 0xffff, v5
	v_lshrrev_b32_e32 v27, 16, v6
	v_cvt_f32_u32_e32 v26, v26
	s_delay_alu instid0(VALU_DEP_3) | instskip(NEXT) | instid1(VALU_DEP_3)
	v_cvt_f32_u32_e32 v5, v5
	v_cvt_f32_u32_e32 v27, v27
	v_mul_f32_e32 v34, 0x4b800000, v0
	v_cmp_gt_f32_e32 vcc_lo, 0x800000, v0
	s_delay_alu instid0(VALU_DEP_2) | instskip(NEXT) | instid1(VALU_DEP_1)
	v_dual_cndmask_b32 v0, v0, v34 :: v_dual_and_b32 v1, 0xffff, v1
	v_cvt_f32_u32_e32 v1, v1
	s_delay_alu instid0(VALU_DEP_2) | instskip(SKIP_2) | instid1(VALU_DEP_1)
	v_rsq_f32_e32 v0, v0
	s_waitcnt_depctr 0xfff
	v_mul_f32_e32 v34, 0x45800000, v0
	v_dual_cndmask_b32 v0, v0, v34 :: v_dual_and_b32 v3, 0xffff, v3
	v_and_b32_e32 v6, 0xffff, v6
	v_and_b32_e32 v8, 0xffff, v8
	;; [unrolled: 1-line block ×3, first 2 shown]
	s_delay_alu instid0(VALU_DEP_4) | instskip(SKIP_3) | instid1(VALU_DEP_4)
	v_dual_mul_f32 v23, v0, v23 :: v_dual_and_b32 v4, 0xffff, v4
	v_mul_f32_e32 v10, v0, v10
	v_cvt_f32_u32_e32 v3, v3
	v_mul_f32_e32 v14, v0, v14
	v_cvt_f32_u32_e32 v4, v4
	v_mul_f32_e32 v20, v0, v20
	v_mul_f32_e32 v13, v0, v13
	v_cvt_f32_u32_e32 v6, v6
	v_mul_f32_e32 v12, v0, v12
	;; [unrolled: 3-line block ×3, first 2 shown]
	v_cvt_f32_u32_e32 v2, v2
	v_mul_f32_e32 v24, v0, v24
	v_mul_f32_e32 v22, v0, v22
	;; [unrolled: 1-line block ×5, first 2 shown]
	v_dual_mul_f32 v17, v0, v17 :: v_dual_mul_f32 v10, v10, v26
	v_mul_f32_e32 v16, v0, v16
	v_dual_mul_f32 v0, v0, v15 :: v_dual_mul_f32 v5, v11, v5
	s_delay_alu instid0(VALU_DEP_3) | instskip(SKIP_1) | instid1(VALU_DEP_4)
	v_mul_f32_e32 v15, v17, v30
	v_dual_mul_f32 v6, v12, v6 :: v_dual_mul_f32 v11, v13, v27
	v_mul_f32_e32 v12, v16, v28
	v_dual_mul_f32 v16, v19, v2 :: v_dual_mul_f32 v17, v21, v31
	v_mul_f32_e32 v19, v23, v32
	v_mul_f32_e32 v7, v14, v7
	v_dual_mul_f32 v8, v18, v8 :: v_dual_mul_f32 v13, v20, v29
	v_mul_f32_e32 v14, v0, v1
	v_mul_f32_e32 v18, v22, v3
	;; [unrolled: 1-line block ×4, first 2 shown]
	v_perm_b32 v3, v13, v8, 0x7060302
	v_perm_b32 v2, v12, v7, 0x7060302
	;; [unrolled: 1-line block ×8, first 2 shown]
	buffer_store_b128 v[0:3], v9, s[4:7], 0 offen
	;;#ASMSTART
	s_nop 0
	;;#ASMEND
	buffer_store_b128 v[4:7], v9, s[4:7], 16 offen
	;;#ASMSTART
	s_nop 0
	;;#ASMEND
.LBB152_4:
	s_nop 0
	s_sendmsg sendmsg(MSG_DEALLOC_VGPRS)
	s_endpgm
	.section	.rodata,"a",@progbits
	.p2align	6, 0x0
	.amdhsa_kernel _ZN5aiter24add_rmsnorm_quant_kernelIttLi256ELi16ELb0ELb0ELb0ELi1EEEvPT0_PT_PfS4_S4_S4_diiiiiiib
		.amdhsa_group_segment_fixed_size 32
		.amdhsa_private_segment_fixed_size 0
		.amdhsa_kernarg_size 88
		.amdhsa_user_sgpr_count 15
		.amdhsa_user_sgpr_dispatch_ptr 0
		.amdhsa_user_sgpr_queue_ptr 0
		.amdhsa_user_sgpr_kernarg_segment_ptr 1
		.amdhsa_user_sgpr_dispatch_id 0
		.amdhsa_user_sgpr_private_segment_size 0
		.amdhsa_wavefront_size32 1
		.amdhsa_uses_dynamic_stack 0
		.amdhsa_enable_private_segment 0
		.amdhsa_system_sgpr_workgroup_id_x 1
		.amdhsa_system_sgpr_workgroup_id_y 0
		.amdhsa_system_sgpr_workgroup_id_z 0
		.amdhsa_system_sgpr_workgroup_info 0
		.amdhsa_system_vgpr_workitem_id 0
		.amdhsa_next_free_vgpr 35
		.amdhsa_next_free_sgpr 20
		.amdhsa_reserve_vcc 1
		.amdhsa_float_round_mode_32 0
		.amdhsa_float_round_mode_16_64 0
		.amdhsa_float_denorm_mode_32 3
		.amdhsa_float_denorm_mode_16_64 3
		.amdhsa_dx10_clamp 1
		.amdhsa_ieee_mode 1
		.amdhsa_fp16_overflow 0
		.amdhsa_workgroup_processor_mode 1
		.amdhsa_memory_ordered 1
		.amdhsa_forward_progress 0
		.amdhsa_shared_vgpr_count 0
		.amdhsa_exception_fp_ieee_invalid_op 0
		.amdhsa_exception_fp_denorm_src 0
		.amdhsa_exception_fp_ieee_div_zero 0
		.amdhsa_exception_fp_ieee_overflow 0
		.amdhsa_exception_fp_ieee_underflow 0
		.amdhsa_exception_fp_ieee_inexact 0
		.amdhsa_exception_int_div_zero 0
	.end_amdhsa_kernel
	.section	.text._ZN5aiter24add_rmsnorm_quant_kernelIttLi256ELi16ELb0ELb0ELb0ELi1EEEvPT0_PT_PfS4_S4_S4_diiiiiiib,"axG",@progbits,_ZN5aiter24add_rmsnorm_quant_kernelIttLi256ELi16ELb0ELb0ELb0ELi1EEEvPT0_PT_PfS4_S4_S4_diiiiiiib,comdat
.Lfunc_end152:
	.size	_ZN5aiter24add_rmsnorm_quant_kernelIttLi256ELi16ELb0ELb0ELb0ELi1EEEvPT0_PT_PfS4_S4_S4_diiiiiiib, .Lfunc_end152-_ZN5aiter24add_rmsnorm_quant_kernelIttLi256ELi16ELb0ELb0ELb0ELi1EEEvPT0_PT_PfS4_S4_S4_diiiiiiib
                                        ; -- End function
	.section	.AMDGPU.csdata,"",@progbits
; Kernel info:
; codeLenInByte = 1384
; NumSgprs: 22
; NumVgprs: 35
; ScratchSize: 0
; MemoryBound: 0
; FloatMode: 240
; IeeeMode: 1
; LDSByteSize: 32 bytes/workgroup (compile time only)
; SGPRBlocks: 2
; VGPRBlocks: 4
; NumSGPRsForWavesPerEU: 22
; NumVGPRsForWavesPerEU: 35
; Occupancy: 16
; WaveLimiterHint : 1
; COMPUTE_PGM_RSRC2:SCRATCH_EN: 0
; COMPUTE_PGM_RSRC2:USER_SGPR: 15
; COMPUTE_PGM_RSRC2:TRAP_HANDLER: 0
; COMPUTE_PGM_RSRC2:TGID_X_EN: 1
; COMPUTE_PGM_RSRC2:TGID_Y_EN: 0
; COMPUTE_PGM_RSRC2:TGID_Z_EN: 0
; COMPUTE_PGM_RSRC2:TIDIG_COMP_CNT: 0
	.section	.text._ZN5aiter24add_rmsnorm_quant_kernelIDF16_DF16_Li256ELi24ELb0ELb0ELb1ELi1EEEvPT0_PT_PfS4_S4_S4_diiiiiiib,"axG",@progbits,_ZN5aiter24add_rmsnorm_quant_kernelIDF16_DF16_Li256ELi24ELb0ELb0ELb1ELi1EEEvPT0_PT_PfS4_S4_S4_diiiiiiib,comdat
	.protected	_ZN5aiter24add_rmsnorm_quant_kernelIDF16_DF16_Li256ELi24ELb0ELb0ELb1ELi1EEEvPT0_PT_PfS4_S4_S4_diiiiiiib ; -- Begin function _ZN5aiter24add_rmsnorm_quant_kernelIDF16_DF16_Li256ELi24ELb0ELb0ELb1ELi1EEEvPT0_PT_PfS4_S4_S4_diiiiiiib
	.globl	_ZN5aiter24add_rmsnorm_quant_kernelIDF16_DF16_Li256ELi24ELb0ELb0ELb1ELi1EEEvPT0_PT_PfS4_S4_S4_diiiiiiib
	.p2align	8
	.type	_ZN5aiter24add_rmsnorm_quant_kernelIDF16_DF16_Li256ELi24ELb0ELb0ELb1ELi1EEEvPT0_PT_PfS4_S4_S4_diiiiiiib,@function
_ZN5aiter24add_rmsnorm_quant_kernelIDF16_DF16_Li256ELi24ELb0ELb0ELb1ELi1EEEvPT0_PT_PfS4_S4_S4_diiiiiiib: ; @_ZN5aiter24add_rmsnorm_quant_kernelIDF16_DF16_Li256ELi24ELb0ELb0ELb1ELi1EEEvPT0_PT_PfS4_S4_S4_diiiiiiib
; %bb.0:
	s_load_b128 s[8:11], s[0:1], 0x38
	s_mov_b32 s2, s15
	s_mov_b32 s3, 0
	s_waitcnt lgkmcnt(0)
	s_ashr_i32 s5, s8, 31
	s_mov_b32 s4, s8
	s_delay_alu instid0(SALU_CYCLE_1) | instskip(NEXT) | instid1(VALU_DEP_1)
	v_cmp_ge_i64_e64 s3, s[2:3], s[4:5]
	s_and_b32 vcc_lo, exec_lo, s3
	s_cbranch_vccnz .LBB153_4
; %bb.1:
	s_clause 0x1
	s_load_b64 s[4:5], s[0:1], 0x18
	s_load_b128 s[12:15], s[0:1], 0x28
	v_and_b32_e32 v1, 0x3e0, v0
	s_ashr_i32 s3, s10, 31
	s_mul_hi_u32 s7, s10, s2
	s_mul_i32 s3, s3, s2
	v_lshlrev_b32_e32 v2, 3, v0
	v_mul_u32_u24_e32 v1, 24, v1
	s_mul_i32 s6, s10, s2
	s_add_i32 s7, s7, s3
	s_movk_i32 s8, 0x200
	s_lshl_b64 s[6:7], s[6:7], 1
	v_and_or_b32 v1, 0xf8, v2, v1
	v_and_b32_e32 v40, 31, v0
	s_delay_alu instid0(VALU_DEP_2)
	v_lshlrev_b32_e32 v13, 1, v1
	s_waitcnt lgkmcnt(0)
	s_add_u32 s4, s4, s6
	s_addc_u32 s3, s5, s7
	s_add_i32 s5, s9, 1
	s_mov_b32 s7, -1
	s_lshr_b32 s6, s5, 31
	s_mov_b32 s19, s7
	s_add_i32 s5, s5, s6
	s_mov_b32 s16, s12
	s_lshl_b32 s6, s5, 1
	s_and_b32 s5, s3, 0xffff
	s_and_b32 s6, s6, -4
	s_movk_i32 s3, 0x400
	s_clause 0x2
	buffer_load_b128 v[15:18], v13, s[4:7], 0 offen glc slc
	buffer_load_b128 v[35:38], v13, s[4:7], s3 offen glc slc
	;; [unrolled: 1-line block ×3, first 2 shown]
	s_and_b32 s17, s13, 0xffff
	s_mov_b32 s18, s6
	s_mov_b32 s4, exec_lo
	s_waitcnt vmcnt(2)
	v_lshrrev_b32_e32 v14, 16, v15
	v_cvt_f32_f16_e32 v30, v15
	v_cvt_f32_f16_e32 v28, v16
	v_lshrrev_b32_e32 v20, 16, v16
	s_waitcnt vmcnt(0)
	v_cvt_f32_f16_e32 v23, v31
	v_cvt_f32_f16_e32 v14, v14
	v_lshrrev_b32_e32 v26, 16, v31
	v_cvt_f32_f16_e32 v21, v32
	v_cvt_f32_f16_e32 v22, v33
	v_lshrrev_b32_e32 v39, 16, v34
	v_mul_f32_e32 v19, v14, v14
	v_cvt_f32_f16_e32 v29, v17
	v_lshrrev_b32_e32 v24, 16, v17
	v_lshrrev_b32_e32 v43, 16, v37
	;; [unrolled: 1-line block ×3, first 2 shown]
	v_fma_mix_f32 v19, v15, v15, v19 op_sel_hi:[1,1,0]
	v_lshrrev_b32_e32 v25, 16, v18
	v_lshrrev_b32_e32 v41, 16, v35
	;; [unrolled: 1-line block ×3, first 2 shown]
	v_cvt_f32_f16_e32 v27, v18
	v_fma_mix_f32 v19, v16, v16, v19 op_sel_hi:[1,1,0]
	s_delay_alu instid0(VALU_DEP_1) | instskip(NEXT) | instid1(VALU_DEP_1)
	v_fma_mix_f32 v19, v16, v16, v19 op_sel:[1,1,0] op_sel_hi:[1,1,0]
	v_fma_mix_f32 v19, v17, v17, v19 op_sel_hi:[1,1,0]
	s_delay_alu instid0(VALU_DEP_1) | instskip(SKIP_1) | instid1(VALU_DEP_2)
	v_fma_mix_f32 v19, v17, v17, v19 op_sel:[1,1,0] op_sel_hi:[1,1,0]
	v_cvt_f32_f16_e32 v17, v37
	v_fma_mix_f32 v19, v18, v18, v19 op_sel_hi:[1,1,0]
	s_delay_alu instid0(VALU_DEP_1) | instskip(SKIP_1) | instid1(VALU_DEP_2)
	v_fma_mix_f32 v19, v18, v18, v19 op_sel:[1,1,0] op_sel_hi:[1,1,0]
	v_cvt_f32_f16_e32 v18, v35
	v_fma_mix_f32 v19, v31, v31, v19 op_sel_hi:[1,1,0]
	s_delay_alu instid0(VALU_DEP_1) | instskip(SKIP_1) | instid1(VALU_DEP_2)
	v_fma_mix_f32 v19, v31, v31, v19 op_sel:[1,1,0] op_sel_hi:[1,1,0]
	v_lshrrev_b32_e32 v31, 16, v32
	v_fma_mix_f32 v19, v32, v32, v19 op_sel_hi:[1,1,0]
	s_delay_alu instid0(VALU_DEP_1) | instskip(SKIP_1) | instid1(VALU_DEP_2)
	v_fma_mix_f32 v19, v32, v32, v19 op_sel:[1,1,0] op_sel_hi:[1,1,0]
	v_lshrrev_b32_e32 v32, 16, v33
	v_fma_mix_f32 v19, v33, v33, v19 op_sel_hi:[1,1,0]
	s_delay_alu instid0(VALU_DEP_2) | instskip(NEXT) | instid1(VALU_DEP_2)
	v_cvt_f32_f16_e32 v32, v32
	v_fma_mix_f32 v19, v33, v33, v19 op_sel:[1,1,0] op_sel_hi:[1,1,0]
	s_delay_alu instid0(VALU_DEP_1) | instskip(NEXT) | instid1(VALU_DEP_1)
	v_fma_mix_f32 v19, v34, v34, v19 op_sel_hi:[1,1,0]
	v_fma_mix_f32 v19, v34, v34, v19 op_sel:[1,1,0] op_sel_hi:[1,1,0]
	s_delay_alu instid0(VALU_DEP_1) | instskip(NEXT) | instid1(VALU_DEP_1)
	v_fma_mix_f32 v19, v35, v35, v19 op_sel_hi:[1,1,0]
	v_fma_mix_f32 v19, v35, v35, v19 op_sel:[1,1,0] op_sel_hi:[1,1,0]
	v_cvt_f32_f16_e32 v35, v25
	v_cvt_f32_f16_e32 v25, v42
	s_delay_alu instid0(VALU_DEP_3) | instskip(NEXT) | instid1(VALU_DEP_1)
	v_fma_mix_f32 v19, v36, v36, v19 op_sel_hi:[1,1,0]
	v_fma_mix_f32 v19, v36, v36, v19 op_sel:[1,1,0] op_sel_hi:[1,1,0]
	s_delay_alu instid0(VALU_DEP_1) | instskip(NEXT) | instid1(VALU_DEP_1)
	v_fma_mix_f32 v19, v37, v37, v19 op_sel_hi:[1,1,0]
	v_fma_mix_f32 v19, v37, v37, v19 op_sel:[1,1,0] op_sel_hi:[1,1,0]
	v_cvt_f32_f16_e32 v37, v20
	s_delay_alu instid0(VALU_DEP_2) | instskip(SKIP_1) | instid1(VALU_DEP_2)
	v_fma_mix_f32 v15, v38, v38, v19 op_sel_hi:[1,1,0]
	v_cvt_f32_f16_e32 v19, v34
	v_fma_mix_f32 v15, v38, v38, v15 op_sel:[1,1,0] op_sel_hi:[1,1,0]
	s_delay_alu instid0(VALU_DEP_1) | instskip(NEXT) | instid1(VALU_DEP_1)
	v_mov_b32_dpp v16, v15 quad_perm:[1,0,3,2] row_mask:0xf bank_mask:0xf
	v_add_f32_e32 v33, v15, v16
	v_cvt_f32_f16_e32 v15, v38
	v_cvt_f32_f16_e32 v16, v36
	;; [unrolled: 1-line block ×4, first 2 shown]
	v_mov_b32_dpp v34, v33 quad_perm:[2,3,0,1] row_mask:0xf bank_mask:0xf
	s_delay_alu instid0(VALU_DEP_1)
	v_add_f32_e32 v44, v33, v34
	v_cvt_f32_f16_e32 v34, v26
	v_cvt_f32_f16_e32 v33, v31
	;; [unrolled: 1-line block ×4, first 2 shown]
	v_mov_b32_dpp v20, v44 row_xmask:7 row_mask:0xf bank_mask:0xf
	s_delay_alu instid0(VALU_DEP_1)
	v_add_f32_e32 v38, v44, v20
	s_clause 0x2
	buffer_load_b128 v[9:12], v13, s[16:19], 0 offen
	buffer_load_b128 v[5:8], v13, s[16:19], s8 offen
	;; [unrolled: 1-line block ×3, first 2 shown]
	v_cvt_f32_f16_e32 v20, v45
	v_mov_b32_dpp v39, v38 row_xmask:15 row_mask:0xf bank_mask:0xf
	v_cmpx_eq_u32_e32 31, v40
	s_cbranch_execz .LBB153_3
; %bb.2:
	s_delay_alu instid0(VALU_DEP_2) | instskip(SKIP_2) | instid1(VALU_DEP_2)
	v_add_f32_e32 v38, v38, v39
	s_mov_b32 s5, 0x76543210
	v_lshrrev_b32_e32 v39, 3, v0
	v_permlanex16_b32 v40, v38, s5, 0xfedcba98 op_sel:[1,1]
	s_delay_alu instid0(VALU_DEP_1)
	v_dual_add_f32 v38, v38, v40 :: v_dual_and_b32 v39, 0x7c, v39
	ds_store_b32 v39, v38
.LBB153_3:
	s_or_b32 exec_lo, exec_lo, s4
	v_and_b32_e32 v0, 7, v0
	s_waitcnt vmcnt(0) lgkmcnt(0)
	s_barrier
	buffer_gl0_inv
	v_cvt_f32_i32_e32 v39, s9
	v_lshlrev_b32_e32 v0, 2, v0
	s_clause 0x1
	s_load_b32 s4, s[0:1], 0x4c
	s_load_b64 s[0:1], s[0:1], 0x0
	ds_load_b32 v0, v0
	s_waitcnt lgkmcnt(0)
	s_ashr_i32 s5, s4, 31
	s_mul_hi_u32 s9, s4, s2
	s_mul_i32 s5, s5, s2
	s_mul_i32 s4, s4, s2
	v_mov_b32_dpp v38, v0 quad_perm:[1,0,3,2] row_mask:0xf bank_mask:0xf
	s_add_i32 s5, s9, s5
	s_delay_alu instid0(SALU_CYCLE_1) | instskip(NEXT) | instid1(SALU_CYCLE_1)
	s_lshl_b64 s[4:5], s[4:5], 1
	s_add_u32 s4, s0, s4
	s_delay_alu instid0(VALU_DEP_1) | instskip(SKIP_1) | instid1(SALU_CYCLE_1)
	v_add_f32_e32 v0, v0, v38
	s_addc_u32 s0, s1, s5
	s_and_b32 s5, s0, 0xffff
	s_delay_alu instid0(VALU_DEP_1) | instskip(NEXT) | instid1(VALU_DEP_1)
	v_mov_b32_dpp v38, v0 quad_perm:[2,3,0,1] row_mask:0xf bank_mask:0xf
	v_add_f32_e32 v0, v0, v38
	s_delay_alu instid0(VALU_DEP_1) | instskip(NEXT) | instid1(VALU_DEP_1)
	v_mov_b32_dpp v38, v0 row_xmask:7 row_mask:0xf bank_mask:0xf
	v_add_f32_e32 v0, v0, v38
	s_delay_alu instid0(VALU_DEP_1) | instskip(SKIP_1) | instid1(VALU_DEP_2)
	v_div_scale_f32 v38, null, v39, v39, v0
	v_div_scale_f32 v42, vcc_lo, v0, v39, v0
	v_rcp_f32_e32 v40, v38
	s_waitcnt_depctr 0xfff
	v_fma_f32 v41, -v38, v40, 1.0
	s_delay_alu instid0(VALU_DEP_1) | instskip(NEXT) | instid1(VALU_DEP_1)
	v_fmac_f32_e32 v40, v41, v40
	v_mul_f32_e32 v41, v42, v40
	s_delay_alu instid0(VALU_DEP_1) | instskip(NEXT) | instid1(VALU_DEP_1)
	v_fma_f32 v43, -v38, v41, v42
	v_fmac_f32_e32 v41, v43, v40
	s_delay_alu instid0(VALU_DEP_1) | instskip(NEXT) | instid1(VALU_DEP_1)
	v_fma_f32 v38, -v38, v41, v42
	v_div_fmas_f32 v38, v38, v40, v41
	s_delay_alu instid0(VALU_DEP_1) | instskip(NEXT) | instid1(VALU_DEP_1)
	v_div_fixup_f32 v0, v38, v39, v0
	v_cvt_f64_f32_e32 v[38:39], v0
	s_delay_alu instid0(VALU_DEP_1) | instskip(NEXT) | instid1(VALU_DEP_1)
	v_add_f64 v[38:39], v[38:39], s[14:15]
	v_cvt_f32_f64_e32 v0, v[38:39]
	s_delay_alu instid0(VALU_DEP_1) | instskip(SKIP_1) | instid1(VALU_DEP_2)
	v_mul_f32_e32 v38, 0x4b800000, v0
	v_cmp_gt_f32_e32 vcc_lo, 0x800000, v0
	v_cndmask_b32_e32 v0, v0, v38, vcc_lo
	s_delay_alu instid0(VALU_DEP_1) | instskip(SKIP_2) | instid1(VALU_DEP_1)
	v_rsq_f32_e32 v0, v0
	s_waitcnt_depctr 0xfff
	v_mul_f32_e32 v38, 0x45800000, v0
	v_cndmask_b32_e32 v0, v0, v38, vcc_lo
	s_delay_alu instid0(VALU_DEP_1)
	v_mul_f32_e32 v27, v0, v27
	v_mul_f32_e32 v38, v0, v14
	;; [unrolled: 1-line block ×24, first 2 shown]
	v_fma_mixlo_f16 v14, v14, v9, 0 op_sel_hi:[0,1,0]
	v_fma_mixlo_f16 v15, v28, v10, 0 op_sel_hi:[0,1,0]
	;; [unrolled: 1-line block ×12, first 2 shown]
	v_fma_mixhi_f16 v17, v35, v12, 0 op_sel:[0,1,0] op_sel_hi:[0,1,0]
	v_fma_mixhi_f16 v16, v36, v11, 0 op_sel:[0,1,0] op_sel_hi:[0,1,0]
	;; [unrolled: 1-line block ×12, first 2 shown]
	buffer_store_b128 v[14:17], v13, s[4:7], 0 offen
	;;#ASMSTART
	s_nop 0
	;;#ASMEND
	buffer_store_b128 v[18:21], v13, s[4:7], s8 offen
	;;#ASMSTART
	s_nop 0
	;;#ASMEND
	;; [unrolled: 4-line block ×3, first 2 shown]
.LBB153_4:
	s_nop 0
	s_sendmsg sendmsg(MSG_DEALLOC_VGPRS)
	s_endpgm
	.section	.rodata,"a",@progbits
	.p2align	6, 0x0
	.amdhsa_kernel _ZN5aiter24add_rmsnorm_quant_kernelIDF16_DF16_Li256ELi24ELb0ELb0ELb1ELi1EEEvPT0_PT_PfS4_S4_S4_diiiiiiib
		.amdhsa_group_segment_fixed_size 32
		.amdhsa_private_segment_fixed_size 0
		.amdhsa_kernarg_size 88
		.amdhsa_user_sgpr_count 15
		.amdhsa_user_sgpr_dispatch_ptr 0
		.amdhsa_user_sgpr_queue_ptr 0
		.amdhsa_user_sgpr_kernarg_segment_ptr 1
		.amdhsa_user_sgpr_dispatch_id 0
		.amdhsa_user_sgpr_private_segment_size 0
		.amdhsa_wavefront_size32 1
		.amdhsa_uses_dynamic_stack 0
		.amdhsa_enable_private_segment 0
		.amdhsa_system_sgpr_workgroup_id_x 1
		.amdhsa_system_sgpr_workgroup_id_y 0
		.amdhsa_system_sgpr_workgroup_id_z 0
		.amdhsa_system_sgpr_workgroup_info 0
		.amdhsa_system_vgpr_workitem_id 0
		.amdhsa_next_free_vgpr 46
		.amdhsa_next_free_sgpr 20
		.amdhsa_reserve_vcc 1
		.amdhsa_float_round_mode_32 0
		.amdhsa_float_round_mode_16_64 0
		.amdhsa_float_denorm_mode_32 3
		.amdhsa_float_denorm_mode_16_64 3
		.amdhsa_dx10_clamp 1
		.amdhsa_ieee_mode 1
		.amdhsa_fp16_overflow 0
		.amdhsa_workgroup_processor_mode 1
		.amdhsa_memory_ordered 1
		.amdhsa_forward_progress 0
		.amdhsa_shared_vgpr_count 0
		.amdhsa_exception_fp_ieee_invalid_op 0
		.amdhsa_exception_fp_denorm_src 0
		.amdhsa_exception_fp_ieee_div_zero 0
		.amdhsa_exception_fp_ieee_overflow 0
		.amdhsa_exception_fp_ieee_underflow 0
		.amdhsa_exception_fp_ieee_inexact 0
		.amdhsa_exception_int_div_zero 0
	.end_amdhsa_kernel
	.section	.text._ZN5aiter24add_rmsnorm_quant_kernelIDF16_DF16_Li256ELi24ELb0ELb0ELb1ELi1EEEvPT0_PT_PfS4_S4_S4_diiiiiiib,"axG",@progbits,_ZN5aiter24add_rmsnorm_quant_kernelIDF16_DF16_Li256ELi24ELb0ELb0ELb1ELi1EEEvPT0_PT_PfS4_S4_S4_diiiiiiib,comdat
.Lfunc_end153:
	.size	_ZN5aiter24add_rmsnorm_quant_kernelIDF16_DF16_Li256ELi24ELb0ELb0ELb1ELi1EEEvPT0_PT_PfS4_S4_S4_diiiiiiib, .Lfunc_end153-_ZN5aiter24add_rmsnorm_quant_kernelIDF16_DF16_Li256ELi24ELb0ELb0ELb1ELi1EEEvPT0_PT_PfS4_S4_S4_diiiiiiib
                                        ; -- End function
	.section	.AMDGPU.csdata,"",@progbits
; Kernel info:
; codeLenInByte = 1476
; NumSgprs: 22
; NumVgprs: 46
; ScratchSize: 0
; MemoryBound: 0
; FloatMode: 240
; IeeeMode: 1
; LDSByteSize: 32 bytes/workgroup (compile time only)
; SGPRBlocks: 2
; VGPRBlocks: 5
; NumSGPRsForWavesPerEU: 22
; NumVGPRsForWavesPerEU: 46
; Occupancy: 16
; WaveLimiterHint : 1
; COMPUTE_PGM_RSRC2:SCRATCH_EN: 0
; COMPUTE_PGM_RSRC2:USER_SGPR: 15
; COMPUTE_PGM_RSRC2:TRAP_HANDLER: 0
; COMPUTE_PGM_RSRC2:TGID_X_EN: 1
; COMPUTE_PGM_RSRC2:TGID_Y_EN: 0
; COMPUTE_PGM_RSRC2:TGID_Z_EN: 0
; COMPUTE_PGM_RSRC2:TIDIG_COMP_CNT: 0
	.section	.text._ZN5aiter24add_rmsnorm_quant_kernelIttLi256ELi24ELb0ELb0ELb1ELi1EEEvPT0_PT_PfS4_S4_S4_diiiiiiib,"axG",@progbits,_ZN5aiter24add_rmsnorm_quant_kernelIttLi256ELi24ELb0ELb0ELb1ELi1EEEvPT0_PT_PfS4_S4_S4_diiiiiiib,comdat
	.protected	_ZN5aiter24add_rmsnorm_quant_kernelIttLi256ELi24ELb0ELb0ELb1ELi1EEEvPT0_PT_PfS4_S4_S4_diiiiiiib ; -- Begin function _ZN5aiter24add_rmsnorm_quant_kernelIttLi256ELi24ELb0ELb0ELb1ELi1EEEvPT0_PT_PfS4_S4_S4_diiiiiiib
	.globl	_ZN5aiter24add_rmsnorm_quant_kernelIttLi256ELi24ELb0ELb0ELb1ELi1EEEvPT0_PT_PfS4_S4_S4_diiiiiiib
	.p2align	8
	.type	_ZN5aiter24add_rmsnorm_quant_kernelIttLi256ELi24ELb0ELb0ELb1ELi1EEEvPT0_PT_PfS4_S4_S4_diiiiiiib,@function
_ZN5aiter24add_rmsnorm_quant_kernelIttLi256ELi24ELb0ELb0ELb1ELi1EEEvPT0_PT_PfS4_S4_S4_diiiiiiib: ; @_ZN5aiter24add_rmsnorm_quant_kernelIttLi256ELi24ELb0ELb0ELb1ELi1EEEvPT0_PT_PfS4_S4_S4_diiiiiiib
; %bb.0:
	s_load_b128 s[8:11], s[0:1], 0x38
	s_mov_b32 s2, s15
	s_mov_b32 s3, 0
	s_waitcnt lgkmcnt(0)
	s_ashr_i32 s5, s8, 31
	s_mov_b32 s4, s8
	s_delay_alu instid0(SALU_CYCLE_1) | instskip(NEXT) | instid1(VALU_DEP_1)
	v_cmp_ge_i64_e64 s3, s[2:3], s[4:5]
	s_and_b32 vcc_lo, exec_lo, s3
	s_cbranch_vccnz .LBB154_4
; %bb.1:
	s_clause 0x1
	s_load_b64 s[4:5], s[0:1], 0x18
	s_load_b128 s[12:15], s[0:1], 0x28
	v_and_b32_e32 v1, 0x3e0, v0
	s_ashr_i32 s3, s10, 31
	s_mul_hi_u32 s7, s10, s2
	s_mul_i32 s3, s3, s2
	v_lshlrev_b32_e32 v2, 3, v0
	v_mul_u32_u24_e32 v1, 24, v1
	s_mul_i32 s6, s10, s2
	s_add_i32 s7, s7, s3
	s_movk_i32 s8, 0x200
	s_lshl_b64 s[6:7], s[6:7], 1
	v_and_or_b32 v1, 0xf8, v2, v1
	v_and_b32_e32 v40, 31, v0
	s_delay_alu instid0(VALU_DEP_2)
	v_lshlrev_b32_e32 v13, 1, v1
	s_waitcnt lgkmcnt(0)
	s_add_u32 s4, s4, s6
	s_addc_u32 s3, s5, s7
	s_add_i32 s5, s9, 1
	s_mov_b32 s7, -1
	s_lshr_b32 s6, s5, 31
	s_mov_b32 s19, s7
	s_add_i32 s5, s5, s6
	s_mov_b32 s16, s12
	s_lshl_b32 s6, s5, 1
	s_and_b32 s5, s3, 0xffff
	s_and_b32 s6, s6, -4
	s_movk_i32 s3, 0x400
	s_clause 0x1
	buffer_load_b128 v[16:19], v13, s[4:7], 0 offen glc slc
	buffer_load_b128 v[33:36], v13, s[4:7], s3 offen glc slc
	s_and_b32 s17, s13, 0xffff
	s_mov_b32 s18, s6
	s_waitcnt vmcnt(1)
	v_lshrrev_b32_e32 v14, 16, v16
	v_and_b32_e32 v15, 0xffff, v16
	v_and_b32_e32 v16, 0xffff, v17
	v_lshrrev_b32_e32 v17, 16, v17
	v_and_b32_e32 v20, 0xffff, v18
	v_cvt_f32_u32_e32 v14, v14
	v_cvt_f32_u32_e32 v15, v15
	;; [unrolled: 1-line block ×4, first 2 shown]
	v_lshrrev_b32_e32 v21, 16, v18
	v_mul_f32_e32 v38, v14, v14
	v_cvt_f32_u32_e32 v18, v20
	v_and_b32_e32 v22, 0xffff, v19
	v_lshrrev_b32_e32 v19, 16, v19
	v_cvt_f32_u32_e32 v20, v21
	v_fmac_f32_e32 v38, v15, v15
	buffer_load_b128 v[26:29], v13, s[4:7], s8 offen glc slc
	s_clause 0x2
	buffer_load_b128 v[9:12], v13, s[16:19], 0 offen
	buffer_load_b128 v[5:8], v13, s[16:19], s8 offen
	;; [unrolled: 1-line block ×3, first 2 shown]
	v_cvt_f32_u32_e32 v22, v22
	v_cvt_f32_u32_e32 v24, v19
	v_fmac_f32_e32 v38, v16, v16
	s_waitcnt vmcnt(4)
	v_lshrrev_b32_e32 v39, 16, v36
	s_mov_b32 s4, exec_lo
	v_and_b32_e32 v31, 0xffff, v34
	v_and_b32_e32 v37, 0xffff, v36
	s_delay_alu instid0(VALU_DEP_2) | instskip(NEXT) | instid1(VALU_DEP_2)
	v_cvt_f32_u32_e32 v31, v31
	v_cvt_f32_u32_e32 v36, v37
	;; [unrolled: 1-line block ×3, first 2 shown]
	s_waitcnt vmcnt(3)
	v_dual_fmac_f32 v38, v17, v17 :: v_dual_and_b32 v21, 0xffff, v26
	v_lshrrev_b32_e32 v23, 16, v26
	v_and_b32_e32 v25, 0xffff, v27
	v_lshrrev_b32_e32 v26, 16, v27
	s_delay_alu instid0(VALU_DEP_4)
	v_cvt_f32_u32_e32 v19, v21
	v_fmac_f32_e32 v38, v18, v18
	v_cvt_f32_u32_e32 v21, v23
	v_cvt_f32_u32_e32 v23, v25
	v_and_b32_e32 v27, 0xffff, v28
	v_cvt_f32_u32_e32 v25, v26
	v_fmac_f32_e32 v38, v20, v20
	v_lshrrev_b32_e32 v28, 16, v28
	s_delay_alu instid0(VALU_DEP_4) | instskip(NEXT) | instid1(VALU_DEP_3)
	v_cvt_f32_u32_e32 v26, v27
	v_dual_fmac_f32 v38, v22, v22 :: v_dual_and_b32 v27, 0xffff, v29
	s_delay_alu instid0(VALU_DEP_3) | instskip(SKIP_1) | instid1(VALU_DEP_3)
	v_cvt_f32_u32_e32 v28, v28
	v_lshrrev_b32_e32 v29, 16, v29
	v_cvt_f32_u32_e32 v30, v27
	s_delay_alu instid0(VALU_DEP_4) | instskip(NEXT) | instid1(VALU_DEP_3)
	v_dual_fmac_f32 v38, v24, v24 :: v_dual_and_b32 v27, 0xffff, v33
	v_cvt_f32_u32_e32 v32, v29
	v_lshrrev_b32_e32 v29, 16, v33
	v_lshrrev_b32_e32 v33, 16, v34
	s_delay_alu instid0(VALU_DEP_4)
	v_cvt_f32_u32_e32 v27, v27
	v_fmac_f32_e32 v38, v19, v19
	v_and_b32_e32 v34, 0xffff, v35
	v_cvt_f32_u32_e32 v29, v29
	v_cvt_f32_u32_e32 v33, v33
	v_lshrrev_b32_e32 v35, 16, v35
	v_fmac_f32_e32 v38, v21, v21
	v_cvt_f32_u32_e32 v34, v34
	s_delay_alu instid0(VALU_DEP_3) | instskip(NEXT) | instid1(VALU_DEP_3)
	v_cvt_f32_u32_e32 v35, v35
	v_fmac_f32_e32 v38, v23, v23
	s_delay_alu instid0(VALU_DEP_1) | instskip(NEXT) | instid1(VALU_DEP_1)
	v_fmac_f32_e32 v38, v25, v25
	v_fmac_f32_e32 v38, v26, v26
	s_delay_alu instid0(VALU_DEP_1) | instskip(NEXT) | instid1(VALU_DEP_1)
	v_fmac_f32_e32 v38, v28, v28
	;; [unrolled: 3-line block ×7, first 2 shown]
	v_mov_b32_dpp v39, v38 quad_perm:[1,0,3,2] row_mask:0xf bank_mask:0xf
	s_delay_alu instid0(VALU_DEP_1) | instskip(NEXT) | instid1(VALU_DEP_1)
	v_add_f32_e32 v38, v38, v39
	v_mov_b32_dpp v39, v38 quad_perm:[2,3,0,1] row_mask:0xf bank_mask:0xf
	s_delay_alu instid0(VALU_DEP_1) | instskip(NEXT) | instid1(VALU_DEP_1)
	v_add_f32_e32 v38, v38, v39
	v_mov_b32_dpp v39, v38 row_xmask:7 row_mask:0xf bank_mask:0xf
	s_delay_alu instid0(VALU_DEP_1) | instskip(NEXT) | instid1(VALU_DEP_1)
	v_add_f32_e32 v38, v38, v39
	v_mov_b32_dpp v39, v38 row_xmask:15 row_mask:0xf bank_mask:0xf
	v_cmpx_eq_u32_e32 31, v40
	s_cbranch_execz .LBB154_3
; %bb.2:
	s_delay_alu instid0(VALU_DEP_2) | instskip(SKIP_2) | instid1(VALU_DEP_2)
	v_add_f32_e32 v38, v38, v39
	s_mov_b32 s5, 0x76543210
	v_lshrrev_b32_e32 v39, 3, v0
	v_permlanex16_b32 v40, v38, s5, 0xfedcba98 op_sel:[1,1]
	s_delay_alu instid0(VALU_DEP_1)
	v_dual_add_f32 v38, v38, v40 :: v_dual_and_b32 v39, 0x7c, v39
	ds_store_b32 v39, v38
.LBB154_3:
	s_or_b32 exec_lo, exec_lo, s4
	v_and_b32_e32 v0, 7, v0
	s_waitcnt vmcnt(0) lgkmcnt(0)
	s_barrier
	buffer_gl0_inv
	v_cvt_f32_i32_e32 v39, s9
	v_lshlrev_b32_e32 v0, 2, v0
	v_lshrrev_b32_e32 v44, 16, v7
	v_lshrrev_b32_e32 v45, 16, v8
	;; [unrolled: 1-line block ×4, first 2 shown]
	ds_load_b32 v0, v0
	s_clause 0x1
	s_load_b64 s[4:5], s[0:1], 0x0
	s_load_b32 s0, s[0:1], 0x4c
	v_lshrrev_b32_e32 v47, 16, v2
	v_lshrrev_b32_e32 v49, 16, v4
	v_cvt_f32_u32_e32 v48, v48
	v_cvt_f32_u32_e32 v44, v44
	v_cvt_f32_u32_e32 v45, v45
	v_cvt_f32_u32_e32 v46, v46
	v_cvt_f32_u32_e32 v47, v47
	v_cvt_f32_u32_e32 v49, v49
	s_waitcnt lgkmcnt(0)
	v_mov_b32_dpp v38, v0 quad_perm:[1,0,3,2] row_mask:0xf bank_mask:0xf
	s_ashr_i32 s1, s0, 31
	s_mul_hi_u32 s9, s0, s2
	s_mul_i32 s1, s1, s2
	s_mul_i32 s0, s0, s2
	v_add_f32_e32 v0, v0, v38
	s_add_i32 s1, s9, s1
	s_delay_alu instid0(SALU_CYCLE_1) | instskip(NEXT) | instid1(SALU_CYCLE_1)
	s_lshl_b64 s[0:1], s[0:1], 1
	s_add_u32 s4, s4, s0
	s_delay_alu instid0(VALU_DEP_1) | instskip(SKIP_1) | instid1(SALU_CYCLE_1)
	v_mov_b32_dpp v38, v0 quad_perm:[2,3,0,1] row_mask:0xf bank_mask:0xf
	s_addc_u32 s0, s5, s1
	s_and_b32 s5, s0, 0xffff
	s_delay_alu instid0(VALU_DEP_1) | instskip(NEXT) | instid1(VALU_DEP_1)
	v_add_f32_e32 v0, v0, v38
	v_mov_b32_dpp v38, v0 row_xmask:7 row_mask:0xf bank_mask:0xf
	s_delay_alu instid0(VALU_DEP_1) | instskip(NEXT) | instid1(VALU_DEP_1)
	v_add_f32_e32 v0, v0, v38
	v_div_scale_f32 v38, null, v39, v39, v0
	v_div_scale_f32 v42, vcc_lo, v0, v39, v0
	s_delay_alu instid0(VALU_DEP_2) | instskip(SKIP_2) | instid1(VALU_DEP_1)
	v_rcp_f32_e32 v40, v38
	s_waitcnt_depctr 0xfff
	v_fma_f32 v41, -v38, v40, 1.0
	v_fmac_f32_e32 v40, v41, v40
	s_delay_alu instid0(VALU_DEP_1) | instskip(NEXT) | instid1(VALU_DEP_1)
	v_mul_f32_e32 v41, v42, v40
	v_fma_f32 v43, -v38, v41, v42
	s_delay_alu instid0(VALU_DEP_1) | instskip(SKIP_1) | instid1(VALU_DEP_2)
	v_fmac_f32_e32 v41, v43, v40
	v_lshrrev_b32_e32 v43, 16, v6
	v_fma_f32 v38, -v38, v41, v42
	v_lshrrev_b32_e32 v42, 16, v5
	s_delay_alu instid0(VALU_DEP_3) | instskip(NEXT) | instid1(VALU_DEP_3)
	v_cvt_f32_u32_e32 v43, v43
	v_div_fmas_f32 v38, v38, v40, v41
	v_lshrrev_b32_e32 v40, 16, v11
	v_and_b32_e32 v11, 0xffff, v11
	v_lshrrev_b32_e32 v41, 16, v12
	v_cvt_f32_u32_e32 v42, v42
	v_div_fixup_f32 v0, v38, v39, v0
	v_cvt_f32_u32_e32 v40, v40
	v_cvt_f32_u32_e32 v11, v11
	;; [unrolled: 1-line block ×3, first 2 shown]
	s_delay_alu instid0(VALU_DEP_4) | instskip(NEXT) | instid1(VALU_DEP_1)
	v_cvt_f64_f32_e32 v[38:39], v0
	v_add_f64 v[38:39], v[38:39], s[14:15]
	s_delay_alu instid0(VALU_DEP_1) | instskip(SKIP_3) | instid1(VALU_DEP_3)
	v_cvt_f32_f64_e32 v0, v[38:39]
	v_lshrrev_b32_e32 v39, 16, v10
	v_lshrrev_b32_e32 v38, 16, v9
	v_and_b32_e32 v9, 0xffff, v9
	v_cvt_f32_u32_e32 v39, v39
	s_delay_alu instid0(VALU_DEP_3) | instskip(NEXT) | instid1(VALU_DEP_3)
	v_cvt_f32_u32_e32 v38, v38
	v_cvt_f32_u32_e32 v9, v9
	v_mul_f32_e32 v50, 0x4b800000, v0
	v_cmp_gt_f32_e32 vcc_lo, 0x800000, v0
	s_delay_alu instid0(VALU_DEP_2) | instskip(NEXT) | instid1(VALU_DEP_1)
	v_dual_cndmask_b32 v0, v0, v50 :: v_dual_and_b32 v5, 0xffff, v5
	v_cvt_f32_u32_e32 v5, v5
	s_delay_alu instid0(VALU_DEP_2) | instskip(SKIP_2) | instid1(VALU_DEP_1)
	v_rsq_f32_e32 v0, v0
	s_waitcnt_depctr 0xfff
	v_mul_f32_e32 v50, 0x45800000, v0
	v_dual_cndmask_b32 v0, v0, v50 :: v_dual_and_b32 v7, 0xffff, v7
	v_and_b32_e32 v10, 0xffff, v10
	v_and_b32_e32 v8, 0xffff, v8
	;; [unrolled: 1-line block ×3, first 2 shown]
	s_delay_alu instid0(VALU_DEP_4)
	v_dual_mul_f32 v25, v0, v25 :: v_dual_and_b32 v6, 0xffff, v6
	v_dual_mul_f32 v24, v0, v24 :: v_dual_and_b32 v1, 0xffff, v1
	;; [unrolled: 1-line block ×5, first 2 shown]
	v_mul_f32_e32 v17, v0, v17
	v_cvt_f32_u32_e32 v10, v10
	v_mul_f32_e32 v16, v0, v16
	v_mul_f32_e32 v23, v0, v23
	v_cvt_f32_u32_e32 v8, v8
	v_mul_f32_e32 v35, v0, v35
	v_mul_f32_e32 v30, v0, v30
	;; [unrolled: 1-line block ×4, first 2 shown]
	v_cvt_f32_u32_e32 v6, v6
	v_cvt_f32_u32_e32 v7, v7
	;; [unrolled: 1-line block ×3, first 2 shown]
	v_mul_f32_e32 v11, v18, v11
	v_cvt_f32_u32_e32 v2, v2
	v_cvt_f32_u32_e32 v3, v3
	;; [unrolled: 1-line block ×3, first 2 shown]
	v_mul_f32_e32 v15, v0, v15
	v_cvt_f32_u32_e32 v12, v12
	v_mul_f32_e32 v32, v0, v32
	v_mul_f32_e32 v37, v0, v37
	v_mul_f32_e32 v26, v0, v26
	v_mul_f32_e32 v36, v0, v36
	v_mul_f32_e32 v34, v0, v34
	v_mul_f32_e32 v33, v0, v33
	v_mul_f32_e32 v14, v0, v14
	v_dual_mul_f32 v31, v0, v31 :: v_dual_mul_f32 v12, v22, v12
	v_mul_f32_e32 v29, v0, v29
	v_dual_mul_f32 v18, v19, v5 :: v_dual_mul_f32 v19, v21, v42
	v_mul_f32_e32 v10, v16, v10
	v_mul_f32_e32 v16, v20, v40
	;; [unrolled: 1-line block ×4, first 2 shown]
	v_dual_mul_f32 v0, v0, v27 :: v_dual_mul_f32 v9, v15, v9
	v_mul_f32_e32 v15, v17, v39
	v_mul_f32_e32 v5, v23, v6
	;; [unrolled: 1-line block ×4, first 2 shown]
	v_dual_mul_f32 v22, v0, v1 :: v_dual_mul_f32 v25, v33, v47
	v_dual_mul_f32 v14, v14, v38 :: v_dual_mul_f32 v27, v35, v48
	;; [unrolled: 1-line block ×5, first 2 shown]
	v_mul_f32_e32 v24, v31, v2
	v_mul_f32_e32 v26, v34, v3
	s_delay_alu instid0(VALU_DEP_4)
	v_perm_b32 v3, v17, v12, 0x7060302
	v_perm_b32 v2, v16, v11, 0x7060302
	;; [unrolled: 1-line block ×12, first 2 shown]
	buffer_store_b128 v[0:3], v13, s[4:7], 0 offen
	;;#ASMSTART
	s_nop 0
	;;#ASMEND
	buffer_store_b128 v[4:7], v13, s[4:7], s8 offen
	;;#ASMSTART
	s_nop 0
	;;#ASMEND
	buffer_store_b128 v[8:11], v13, s[4:7], s3 offen
	;;#ASMSTART
	s_nop 0
	;;#ASMEND
.LBB154_4:
	s_nop 0
	s_sendmsg sendmsg(MSG_DEALLOC_VGPRS)
	s_endpgm
	.section	.rodata,"a",@progbits
	.p2align	6, 0x0
	.amdhsa_kernel _ZN5aiter24add_rmsnorm_quant_kernelIttLi256ELi24ELb0ELb0ELb1ELi1EEEvPT0_PT_PfS4_S4_S4_diiiiiiib
		.amdhsa_group_segment_fixed_size 32
		.amdhsa_private_segment_fixed_size 0
		.amdhsa_kernarg_size 88
		.amdhsa_user_sgpr_count 15
		.amdhsa_user_sgpr_dispatch_ptr 0
		.amdhsa_user_sgpr_queue_ptr 0
		.amdhsa_user_sgpr_kernarg_segment_ptr 1
		.amdhsa_user_sgpr_dispatch_id 0
		.amdhsa_user_sgpr_private_segment_size 0
		.amdhsa_wavefront_size32 1
		.amdhsa_uses_dynamic_stack 0
		.amdhsa_enable_private_segment 0
		.amdhsa_system_sgpr_workgroup_id_x 1
		.amdhsa_system_sgpr_workgroup_id_y 0
		.amdhsa_system_sgpr_workgroup_id_z 0
		.amdhsa_system_sgpr_workgroup_info 0
		.amdhsa_system_vgpr_workitem_id 0
		.amdhsa_next_free_vgpr 51
		.amdhsa_next_free_sgpr 20
		.amdhsa_reserve_vcc 1
		.amdhsa_float_round_mode_32 0
		.amdhsa_float_round_mode_16_64 0
		.amdhsa_float_denorm_mode_32 3
		.amdhsa_float_denorm_mode_16_64 3
		.amdhsa_dx10_clamp 1
		.amdhsa_ieee_mode 1
		.amdhsa_fp16_overflow 0
		.amdhsa_workgroup_processor_mode 1
		.amdhsa_memory_ordered 1
		.amdhsa_forward_progress 0
		.amdhsa_shared_vgpr_count 0
		.amdhsa_exception_fp_ieee_invalid_op 0
		.amdhsa_exception_fp_denorm_src 0
		.amdhsa_exception_fp_ieee_div_zero 0
		.amdhsa_exception_fp_ieee_overflow 0
		.amdhsa_exception_fp_ieee_underflow 0
		.amdhsa_exception_fp_ieee_inexact 0
		.amdhsa_exception_int_div_zero 0
	.end_amdhsa_kernel
	.section	.text._ZN5aiter24add_rmsnorm_quant_kernelIttLi256ELi24ELb0ELb0ELb1ELi1EEEvPT0_PT_PfS4_S4_S4_diiiiiiib,"axG",@progbits,_ZN5aiter24add_rmsnorm_quant_kernelIttLi256ELi24ELb0ELb0ELb1ELi1EEEvPT0_PT_PfS4_S4_S4_diiiiiiib,comdat
.Lfunc_end154:
	.size	_ZN5aiter24add_rmsnorm_quant_kernelIttLi256ELi24ELb0ELb0ELb1ELi1EEEvPT0_PT_PfS4_S4_S4_diiiiiiib, .Lfunc_end154-_ZN5aiter24add_rmsnorm_quant_kernelIttLi256ELi24ELb0ELb0ELb1ELi1EEEvPT0_PT_PfS4_S4_S4_diiiiiiib
                                        ; -- End function
	.section	.AMDGPU.csdata,"",@progbits
; Kernel info:
; codeLenInByte = 1792
; NumSgprs: 22
; NumVgprs: 51
; ScratchSize: 0
; MemoryBound: 0
; FloatMode: 240
; IeeeMode: 1
; LDSByteSize: 32 bytes/workgroup (compile time only)
; SGPRBlocks: 2
; VGPRBlocks: 6
; NumSGPRsForWavesPerEU: 22
; NumVGPRsForWavesPerEU: 51
; Occupancy: 16
; WaveLimiterHint : 1
; COMPUTE_PGM_RSRC2:SCRATCH_EN: 0
; COMPUTE_PGM_RSRC2:USER_SGPR: 15
; COMPUTE_PGM_RSRC2:TRAP_HANDLER: 0
; COMPUTE_PGM_RSRC2:TGID_X_EN: 1
; COMPUTE_PGM_RSRC2:TGID_Y_EN: 0
; COMPUTE_PGM_RSRC2:TGID_Z_EN: 0
; COMPUTE_PGM_RSRC2:TIDIG_COMP_CNT: 0
	.section	.text._ZN5aiter24add_rmsnorm_quant_kernelIDF16_DF16_Li256ELi24ELb0ELb0ELb0ELi1EEEvPT0_PT_PfS4_S4_S4_diiiiiiib,"axG",@progbits,_ZN5aiter24add_rmsnorm_quant_kernelIDF16_DF16_Li256ELi24ELb0ELb0ELb0ELi1EEEvPT0_PT_PfS4_S4_S4_diiiiiiib,comdat
	.protected	_ZN5aiter24add_rmsnorm_quant_kernelIDF16_DF16_Li256ELi24ELb0ELb0ELb0ELi1EEEvPT0_PT_PfS4_S4_S4_diiiiiiib ; -- Begin function _ZN5aiter24add_rmsnorm_quant_kernelIDF16_DF16_Li256ELi24ELb0ELb0ELb0ELi1EEEvPT0_PT_PfS4_S4_S4_diiiiiiib
	.globl	_ZN5aiter24add_rmsnorm_quant_kernelIDF16_DF16_Li256ELi24ELb0ELb0ELb0ELi1EEEvPT0_PT_PfS4_S4_S4_diiiiiiib
	.p2align	8
	.type	_ZN5aiter24add_rmsnorm_quant_kernelIDF16_DF16_Li256ELi24ELb0ELb0ELb0ELi1EEEvPT0_PT_PfS4_S4_S4_diiiiiiib,@function
_ZN5aiter24add_rmsnorm_quant_kernelIDF16_DF16_Li256ELi24ELb0ELb0ELb0ELi1EEEvPT0_PT_PfS4_S4_S4_diiiiiiib: ; @_ZN5aiter24add_rmsnorm_quant_kernelIDF16_DF16_Li256ELi24ELb0ELb0ELb0ELi1EEEvPT0_PT_PfS4_S4_S4_diiiiiiib
; %bb.0:
	s_load_b128 s[8:11], s[0:1], 0x38
	s_mov_b32 s2, s15
	s_mov_b32 s3, 0
	s_waitcnt lgkmcnt(0)
	s_ashr_i32 s5, s8, 31
	s_mov_b32 s4, s8
	s_delay_alu instid0(SALU_CYCLE_1) | instskip(NEXT) | instid1(VALU_DEP_1)
	v_cmp_ge_i64_e64 s3, s[2:3], s[4:5]
	s_and_b32 vcc_lo, exec_lo, s3
	s_cbranch_vccnz .LBB155_4
; %bb.1:
	s_clause 0x1
	s_load_b64 s[4:5], s[0:1], 0x18
	s_load_b128 s[12:15], s[0:1], 0x28
	s_ashr_i32 s3, s10, 31
	s_mul_hi_u32 s7, s10, s2
	s_mul_i32 s3, s3, s2
	s_mul_i32 s6, s10, s2
	s_add_i32 s7, s7, s3
	v_mul_u32_u24_e32 v13, 48, v0
	s_lshl_b64 s[6:7], s[6:7], 1
	v_and_b32_e32 v40, 31, v0
	s_waitcnt lgkmcnt(0)
	s_add_u32 s4, s4, s6
	s_addc_u32 s3, s5, s7
	s_add_i32 s5, s9, 1
	s_mov_b32 s7, -1
	s_lshr_b32 s6, s5, 31
	s_mov_b32 s19, s7
	s_add_i32 s5, s5, s6
	s_mov_b32 s16, s12
	s_lshl_b32 s6, s5, 1
	s_and_b32 s5, s3, 0xffff
	s_and_b32 s6, s6, -4
	s_clause 0x2
	buffer_load_b128 v[15:18], v13, s[4:7], 0 offen
	buffer_load_b128 v[31:34], v13, s[4:7], 16 offen
	;; [unrolled: 1-line block ×3, first 2 shown]
	s_and_b32 s17, s13, 0xffff
	s_mov_b32 s18, s6
	s_clause 0x2
	buffer_load_b128 v[9:12], v13, s[16:19], 0 offen
	buffer_load_b128 v[5:8], v13, s[16:19], 16 offen
	;; [unrolled: 1-line block ×3, first 2 shown]
	s_mov_b32 s3, exec_lo
	s_waitcnt vmcnt(5)
	v_lshrrev_b32_e32 v14, 16, v15
	v_cvt_f32_f16_e32 v30, v15
	v_cvt_f32_f16_e32 v28, v16
	v_lshrrev_b32_e32 v20, 16, v16
	s_waitcnt vmcnt(4)
	v_cvt_f32_f16_e32 v23, v31
	v_cvt_f32_f16_e32 v14, v14
	v_lshrrev_b32_e32 v26, 16, v31
	v_cvt_f32_f16_e32 v21, v32
	v_cvt_f32_f16_e32 v22, v33
	v_lshrrev_b32_e32 v39, 16, v34
	v_mul_f32_e32 v19, v14, v14
	v_cvt_f32_f16_e32 v29, v17
	v_lshrrev_b32_e32 v24, 16, v17
	s_waitcnt vmcnt(3)
	v_lshrrev_b32_e32 v43, 16, v37
	v_lshrrev_b32_e32 v25, 16, v18
	v_fma_mix_f32 v19, v15, v15, v19 op_sel_hi:[1,1,0]
	v_lshrrev_b32_e32 v41, 16, v35
	v_lshrrev_b32_e32 v42, 16, v36
	;; [unrolled: 1-line block ×3, first 2 shown]
	v_cvt_f32_f16_e32 v27, v18
	v_fma_mix_f32 v19, v16, v16, v19 op_sel_hi:[1,1,0]
	s_delay_alu instid0(VALU_DEP_1) | instskip(NEXT) | instid1(VALU_DEP_1)
	v_fma_mix_f32 v19, v16, v16, v19 op_sel:[1,1,0] op_sel_hi:[1,1,0]
	v_fma_mix_f32 v19, v17, v17, v19 op_sel_hi:[1,1,0]
	s_delay_alu instid0(VALU_DEP_1) | instskip(SKIP_1) | instid1(VALU_DEP_2)
	v_fma_mix_f32 v19, v17, v17, v19 op_sel:[1,1,0] op_sel_hi:[1,1,0]
	v_cvt_f32_f16_e32 v17, v37
	v_fma_mix_f32 v19, v18, v18, v19 op_sel_hi:[1,1,0]
	s_delay_alu instid0(VALU_DEP_1) | instskip(SKIP_1) | instid1(VALU_DEP_2)
	v_fma_mix_f32 v19, v18, v18, v19 op_sel:[1,1,0] op_sel_hi:[1,1,0]
	v_cvt_f32_f16_e32 v18, v35
	v_fma_mix_f32 v19, v31, v31, v19 op_sel_hi:[1,1,0]
	s_delay_alu instid0(VALU_DEP_1) | instskip(SKIP_1) | instid1(VALU_DEP_2)
	v_fma_mix_f32 v19, v31, v31, v19 op_sel:[1,1,0] op_sel_hi:[1,1,0]
	v_lshrrev_b32_e32 v31, 16, v32
	v_fma_mix_f32 v19, v32, v32, v19 op_sel_hi:[1,1,0]
	s_delay_alu instid0(VALU_DEP_1) | instskip(SKIP_1) | instid1(VALU_DEP_2)
	v_fma_mix_f32 v19, v32, v32, v19 op_sel:[1,1,0] op_sel_hi:[1,1,0]
	v_lshrrev_b32_e32 v32, 16, v33
	v_fma_mix_f32 v19, v33, v33, v19 op_sel_hi:[1,1,0]
	s_delay_alu instid0(VALU_DEP_2) | instskip(NEXT) | instid1(VALU_DEP_2)
	v_cvt_f32_f16_e32 v32, v32
	v_fma_mix_f32 v19, v33, v33, v19 op_sel:[1,1,0] op_sel_hi:[1,1,0]
	s_delay_alu instid0(VALU_DEP_1) | instskip(NEXT) | instid1(VALU_DEP_1)
	v_fma_mix_f32 v19, v34, v34, v19 op_sel_hi:[1,1,0]
	v_fma_mix_f32 v19, v34, v34, v19 op_sel:[1,1,0] op_sel_hi:[1,1,0]
	s_delay_alu instid0(VALU_DEP_1) | instskip(NEXT) | instid1(VALU_DEP_1)
	v_fma_mix_f32 v19, v35, v35, v19 op_sel_hi:[1,1,0]
	v_fma_mix_f32 v19, v35, v35, v19 op_sel:[1,1,0] op_sel_hi:[1,1,0]
	v_cvt_f32_f16_e32 v35, v25
	v_cvt_f32_f16_e32 v25, v42
	s_delay_alu instid0(VALU_DEP_3) | instskip(NEXT) | instid1(VALU_DEP_1)
	v_fma_mix_f32 v19, v36, v36, v19 op_sel_hi:[1,1,0]
	v_fma_mix_f32 v19, v36, v36, v19 op_sel:[1,1,0] op_sel_hi:[1,1,0]
	s_delay_alu instid0(VALU_DEP_1) | instskip(NEXT) | instid1(VALU_DEP_1)
	v_fma_mix_f32 v19, v37, v37, v19 op_sel_hi:[1,1,0]
	v_fma_mix_f32 v19, v37, v37, v19 op_sel:[1,1,0] op_sel_hi:[1,1,0]
	v_cvt_f32_f16_e32 v37, v20
	s_delay_alu instid0(VALU_DEP_2) | instskip(SKIP_1) | instid1(VALU_DEP_2)
	v_fma_mix_f32 v15, v38, v38, v19 op_sel_hi:[1,1,0]
	v_cvt_f32_f16_e32 v19, v34
	v_fma_mix_f32 v15, v38, v38, v15 op_sel:[1,1,0] op_sel_hi:[1,1,0]
	s_delay_alu instid0(VALU_DEP_1) | instskip(NEXT) | instid1(VALU_DEP_1)
	v_mov_b32_dpp v16, v15 quad_perm:[1,0,3,2] row_mask:0xf bank_mask:0xf
	v_add_f32_e32 v33, v15, v16
	v_cvt_f32_f16_e32 v15, v38
	v_cvt_f32_f16_e32 v16, v36
	;; [unrolled: 1-line block ×4, first 2 shown]
	v_mov_b32_dpp v34, v33 quad_perm:[2,3,0,1] row_mask:0xf bank_mask:0xf
	s_delay_alu instid0(VALU_DEP_1)
	v_add_f32_e32 v44, v33, v34
	v_cvt_f32_f16_e32 v34, v26
	v_cvt_f32_f16_e32 v33, v31
	v_cvt_f32_f16_e32 v31, v39
	v_cvt_f32_f16_e32 v26, v41
	v_mov_b32_dpp v20, v44 row_xmask:7 row_mask:0xf bank_mask:0xf
	s_delay_alu instid0(VALU_DEP_1) | instskip(SKIP_1) | instid1(VALU_DEP_2)
	v_add_f32_e32 v38, v44, v20
	v_cvt_f32_f16_e32 v20, v45
	v_mov_b32_dpp v39, v38 row_xmask:15 row_mask:0xf bank_mask:0xf
	v_cmpx_eq_u32_e32 31, v40
	s_cbranch_execz .LBB155_3
; %bb.2:
	s_delay_alu instid0(VALU_DEP_2) | instskip(SKIP_2) | instid1(VALU_DEP_2)
	v_add_f32_e32 v38, v38, v39
	s_mov_b32 s4, 0x76543210
	v_lshrrev_b32_e32 v39, 3, v0
	v_permlanex16_b32 v40, v38, s4, 0xfedcba98 op_sel:[1,1]
	s_delay_alu instid0(VALU_DEP_1)
	v_dual_add_f32 v38, v38, v40 :: v_dual_and_b32 v39, 0x7c, v39
	ds_store_b32 v39, v38
.LBB155_3:
	s_or_b32 exec_lo, exec_lo, s3
	v_and_b32_e32 v0, 7, v0
	s_waitcnt vmcnt(0) lgkmcnt(0)
	s_barrier
	buffer_gl0_inv
	v_cvt_f32_i32_e32 v39, s9
	v_lshlrev_b32_e32 v0, 2, v0
	s_clause 0x1
	s_load_b32 s3, s[0:1], 0x4c
	s_load_b64 s[0:1], s[0:1], 0x0
	ds_load_b32 v0, v0
	s_waitcnt lgkmcnt(0)
	s_ashr_i32 s4, s3, 31
	s_mul_hi_u32 s5, s3, s2
	s_mul_i32 s4, s4, s2
	s_mul_i32 s2, s3, s2
	v_mov_b32_dpp v38, v0 quad_perm:[1,0,3,2] row_mask:0xf bank_mask:0xf
	s_add_i32 s3, s5, s4
	s_delay_alu instid0(SALU_CYCLE_1) | instskip(NEXT) | instid1(SALU_CYCLE_1)
	s_lshl_b64 s[2:3], s[2:3], 1
	s_add_u32 s4, s0, s2
	s_delay_alu instid0(VALU_DEP_1) | instskip(SKIP_1) | instid1(SALU_CYCLE_1)
	v_add_f32_e32 v0, v0, v38
	s_addc_u32 s0, s1, s3
	s_and_b32 s5, s0, 0xffff
	s_delay_alu instid0(VALU_DEP_1) | instskip(NEXT) | instid1(VALU_DEP_1)
	v_mov_b32_dpp v38, v0 quad_perm:[2,3,0,1] row_mask:0xf bank_mask:0xf
	v_add_f32_e32 v0, v0, v38
	s_delay_alu instid0(VALU_DEP_1) | instskip(NEXT) | instid1(VALU_DEP_1)
	v_mov_b32_dpp v38, v0 row_xmask:7 row_mask:0xf bank_mask:0xf
	v_add_f32_e32 v0, v0, v38
	s_delay_alu instid0(VALU_DEP_1) | instskip(SKIP_1) | instid1(VALU_DEP_2)
	v_div_scale_f32 v38, null, v39, v39, v0
	v_div_scale_f32 v42, vcc_lo, v0, v39, v0
	v_rcp_f32_e32 v40, v38
	s_waitcnt_depctr 0xfff
	v_fma_f32 v41, -v38, v40, 1.0
	s_delay_alu instid0(VALU_DEP_1) | instskip(NEXT) | instid1(VALU_DEP_1)
	v_fmac_f32_e32 v40, v41, v40
	v_mul_f32_e32 v41, v42, v40
	s_delay_alu instid0(VALU_DEP_1) | instskip(NEXT) | instid1(VALU_DEP_1)
	v_fma_f32 v43, -v38, v41, v42
	v_fmac_f32_e32 v41, v43, v40
	s_delay_alu instid0(VALU_DEP_1) | instskip(NEXT) | instid1(VALU_DEP_1)
	v_fma_f32 v38, -v38, v41, v42
	v_div_fmas_f32 v38, v38, v40, v41
	s_delay_alu instid0(VALU_DEP_1) | instskip(NEXT) | instid1(VALU_DEP_1)
	v_div_fixup_f32 v0, v38, v39, v0
	v_cvt_f64_f32_e32 v[38:39], v0
	s_delay_alu instid0(VALU_DEP_1) | instskip(NEXT) | instid1(VALU_DEP_1)
	v_add_f64 v[38:39], v[38:39], s[14:15]
	v_cvt_f32_f64_e32 v0, v[38:39]
	s_delay_alu instid0(VALU_DEP_1) | instskip(SKIP_1) | instid1(VALU_DEP_2)
	v_mul_f32_e32 v38, 0x4b800000, v0
	v_cmp_gt_f32_e32 vcc_lo, 0x800000, v0
	v_cndmask_b32_e32 v0, v0, v38, vcc_lo
	s_delay_alu instid0(VALU_DEP_1) | instskip(SKIP_2) | instid1(VALU_DEP_1)
	v_rsq_f32_e32 v0, v0
	s_waitcnt_depctr 0xfff
	v_mul_f32_e32 v38, 0x45800000, v0
	v_cndmask_b32_e32 v0, v0, v38, vcc_lo
	s_delay_alu instid0(VALU_DEP_1)
	v_mul_f32_e32 v27, v0, v27
	v_mul_f32_e32 v38, v0, v14
	;; [unrolled: 1-line block ×24, first 2 shown]
	v_fma_mixlo_f16 v14, v14, v9, 0 op_sel_hi:[0,1,0]
	v_fma_mixlo_f16 v15, v28, v10, 0 op_sel_hi:[0,1,0]
	;; [unrolled: 1-line block ×12, first 2 shown]
	v_fma_mixhi_f16 v17, v35, v12, 0 op_sel:[0,1,0] op_sel_hi:[0,1,0]
	v_fma_mixhi_f16 v16, v36, v11, 0 op_sel:[0,1,0] op_sel_hi:[0,1,0]
	;; [unrolled: 1-line block ×12, first 2 shown]
	buffer_store_b128 v[14:17], v13, s[4:7], 0 offen
	;;#ASMSTART
	s_nop 0
	;;#ASMEND
	buffer_store_b128 v[18:21], v13, s[4:7], 16 offen
	;;#ASMSTART
	s_nop 0
	;;#ASMEND
	;; [unrolled: 4-line block ×3, first 2 shown]
.LBB155_4:
	s_nop 0
	s_sendmsg sendmsg(MSG_DEALLOC_VGPRS)
	s_endpgm
	.section	.rodata,"a",@progbits
	.p2align	6, 0x0
	.amdhsa_kernel _ZN5aiter24add_rmsnorm_quant_kernelIDF16_DF16_Li256ELi24ELb0ELb0ELb0ELi1EEEvPT0_PT_PfS4_S4_S4_diiiiiiib
		.amdhsa_group_segment_fixed_size 32
		.amdhsa_private_segment_fixed_size 0
		.amdhsa_kernarg_size 88
		.amdhsa_user_sgpr_count 15
		.amdhsa_user_sgpr_dispatch_ptr 0
		.amdhsa_user_sgpr_queue_ptr 0
		.amdhsa_user_sgpr_kernarg_segment_ptr 1
		.amdhsa_user_sgpr_dispatch_id 0
		.amdhsa_user_sgpr_private_segment_size 0
		.amdhsa_wavefront_size32 1
		.amdhsa_uses_dynamic_stack 0
		.amdhsa_enable_private_segment 0
		.amdhsa_system_sgpr_workgroup_id_x 1
		.amdhsa_system_sgpr_workgroup_id_y 0
		.amdhsa_system_sgpr_workgroup_id_z 0
		.amdhsa_system_sgpr_workgroup_info 0
		.amdhsa_system_vgpr_workitem_id 0
		.amdhsa_next_free_vgpr 46
		.amdhsa_next_free_sgpr 20
		.amdhsa_reserve_vcc 1
		.amdhsa_float_round_mode_32 0
		.amdhsa_float_round_mode_16_64 0
		.amdhsa_float_denorm_mode_32 3
		.amdhsa_float_denorm_mode_16_64 3
		.amdhsa_dx10_clamp 1
		.amdhsa_ieee_mode 1
		.amdhsa_fp16_overflow 0
		.amdhsa_workgroup_processor_mode 1
		.amdhsa_memory_ordered 1
		.amdhsa_forward_progress 0
		.amdhsa_shared_vgpr_count 0
		.amdhsa_exception_fp_ieee_invalid_op 0
		.amdhsa_exception_fp_denorm_src 0
		.amdhsa_exception_fp_ieee_div_zero 0
		.amdhsa_exception_fp_ieee_overflow 0
		.amdhsa_exception_fp_ieee_underflow 0
		.amdhsa_exception_fp_ieee_inexact 0
		.amdhsa_exception_int_div_zero 0
	.end_amdhsa_kernel
	.section	.text._ZN5aiter24add_rmsnorm_quant_kernelIDF16_DF16_Li256ELi24ELb0ELb0ELb0ELi1EEEvPT0_PT_PfS4_S4_S4_diiiiiiib,"axG",@progbits,_ZN5aiter24add_rmsnorm_quant_kernelIDF16_DF16_Li256ELi24ELb0ELb0ELb0ELi1EEEvPT0_PT_PfS4_S4_S4_diiiiiiib,comdat
.Lfunc_end155:
	.size	_ZN5aiter24add_rmsnorm_quant_kernelIDF16_DF16_Li256ELi24ELb0ELb0ELb0ELi1EEEvPT0_PT_PfS4_S4_S4_diiiiiiib, .Lfunc_end155-_ZN5aiter24add_rmsnorm_quant_kernelIDF16_DF16_Li256ELi24ELb0ELb0ELb0ELi1EEEvPT0_PT_PfS4_S4_S4_diiiiiiib
                                        ; -- End function
	.section	.AMDGPU.csdata,"",@progbits
; Kernel info:
; codeLenInByte = 1440
; NumSgprs: 22
; NumVgprs: 46
; ScratchSize: 0
; MemoryBound: 0
; FloatMode: 240
; IeeeMode: 1
; LDSByteSize: 32 bytes/workgroup (compile time only)
; SGPRBlocks: 2
; VGPRBlocks: 5
; NumSGPRsForWavesPerEU: 22
; NumVGPRsForWavesPerEU: 46
; Occupancy: 16
; WaveLimiterHint : 1
; COMPUTE_PGM_RSRC2:SCRATCH_EN: 0
; COMPUTE_PGM_RSRC2:USER_SGPR: 15
; COMPUTE_PGM_RSRC2:TRAP_HANDLER: 0
; COMPUTE_PGM_RSRC2:TGID_X_EN: 1
; COMPUTE_PGM_RSRC2:TGID_Y_EN: 0
; COMPUTE_PGM_RSRC2:TGID_Z_EN: 0
; COMPUTE_PGM_RSRC2:TIDIG_COMP_CNT: 0
	.section	.text._ZN5aiter24add_rmsnorm_quant_kernelIttLi256ELi24ELb0ELb0ELb0ELi1EEEvPT0_PT_PfS4_S4_S4_diiiiiiib,"axG",@progbits,_ZN5aiter24add_rmsnorm_quant_kernelIttLi256ELi24ELb0ELb0ELb0ELi1EEEvPT0_PT_PfS4_S4_S4_diiiiiiib,comdat
	.protected	_ZN5aiter24add_rmsnorm_quant_kernelIttLi256ELi24ELb0ELb0ELb0ELi1EEEvPT0_PT_PfS4_S4_S4_diiiiiiib ; -- Begin function _ZN5aiter24add_rmsnorm_quant_kernelIttLi256ELi24ELb0ELb0ELb0ELi1EEEvPT0_PT_PfS4_S4_S4_diiiiiiib
	.globl	_ZN5aiter24add_rmsnorm_quant_kernelIttLi256ELi24ELb0ELb0ELb0ELi1EEEvPT0_PT_PfS4_S4_S4_diiiiiiib
	.p2align	8
	.type	_ZN5aiter24add_rmsnorm_quant_kernelIttLi256ELi24ELb0ELb0ELb0ELi1EEEvPT0_PT_PfS4_S4_S4_diiiiiiib,@function
_ZN5aiter24add_rmsnorm_quant_kernelIttLi256ELi24ELb0ELb0ELb0ELi1EEEvPT0_PT_PfS4_S4_S4_diiiiiiib: ; @_ZN5aiter24add_rmsnorm_quant_kernelIttLi256ELi24ELb0ELb0ELb0ELi1EEEvPT0_PT_PfS4_S4_S4_diiiiiiib
; %bb.0:
	s_load_b128 s[8:11], s[0:1], 0x38
	s_mov_b32 s2, s15
	s_mov_b32 s3, 0
	s_waitcnt lgkmcnt(0)
	s_ashr_i32 s5, s8, 31
	s_mov_b32 s4, s8
	s_delay_alu instid0(SALU_CYCLE_1) | instskip(NEXT) | instid1(VALU_DEP_1)
	v_cmp_ge_i64_e64 s3, s[2:3], s[4:5]
	s_and_b32 vcc_lo, exec_lo, s3
	s_cbranch_vccnz .LBB156_4
; %bb.1:
	s_clause 0x1
	s_load_b64 s[4:5], s[0:1], 0x18
	s_load_b128 s[12:15], s[0:1], 0x28
	s_ashr_i32 s3, s10, 31
	s_mul_hi_u32 s7, s10, s2
	s_mul_i32 s3, s3, s2
	s_mul_i32 s6, s10, s2
	s_add_i32 s7, s7, s3
	v_mul_u32_u24_e32 v13, 48, v0
	s_lshl_b64 s[6:7], s[6:7], 1
	v_and_b32_e32 v40, 31, v0
	s_waitcnt lgkmcnt(0)
	s_add_u32 s4, s4, s6
	s_addc_u32 s3, s5, s7
	s_add_i32 s5, s9, 1
	s_mov_b32 s7, -1
	s_lshr_b32 s6, s5, 31
	s_mov_b32 s19, s7
	s_add_i32 s5, s5, s6
	s_mov_b32 s16, s12
	s_lshl_b32 s6, s5, 1
	s_and_b32 s5, s3, 0xffff
	s_and_b32 s6, s6, -4
	s_clause 0x2
	buffer_load_b128 v[16:19], v13, s[4:7], 0 offen
	buffer_load_b128 v[26:29], v13, s[4:7], 16 offen
	;; [unrolled: 1-line block ×3, first 2 shown]
	s_and_b32 s17, s13, 0xffff
	s_mov_b32 s18, s6
	s_clause 0x2
	buffer_load_b128 v[9:12], v13, s[16:19], 0 offen
	buffer_load_b128 v[5:8], v13, s[16:19], 16 offen
	;; [unrolled: 1-line block ×3, first 2 shown]
	s_mov_b32 s3, exec_lo
	s_waitcnt vmcnt(5)
	v_lshrrev_b32_e32 v14, 16, v16
	v_and_b32_e32 v20, 0xffff, v18
	v_lshrrev_b32_e32 v21, 16, v18
	v_and_b32_e32 v22, 0xffff, v19
	v_lshrrev_b32_e32 v19, 16, v19
	v_cvt_f32_u32_e32 v14, v14
	v_and_b32_e32 v15, 0xffff, v16
	v_and_b32_e32 v16, 0xffff, v17
	v_lshrrev_b32_e32 v17, 16, v17
	v_cvt_f32_u32_e32 v18, v20
	v_mul_f32_e32 v38, v14, v14
	v_cvt_f32_u32_e32 v15, v15
	v_cvt_f32_u32_e32 v16, v16
	v_cvt_f32_u32_e32 v17, v17
	v_cvt_f32_u32_e32 v20, v21
	s_waitcnt vmcnt(4)
	v_dual_fmac_f32 v38, v15, v15 :: v_dual_and_b32 v21, 0xffff, v26
	v_lshrrev_b32_e32 v23, 16, v26
	v_lshrrev_b32_e32 v26, 16, v27
	v_and_b32_e32 v25, 0xffff, v27
	v_cvt_f32_u32_e32 v22, v22
	v_fmac_f32_e32 v38, v16, v16
	v_cvt_f32_u32_e32 v24, v19
	v_cvt_f32_u32_e32 v19, v21
	v_and_b32_e32 v27, 0xffff, v28
	v_cvt_f32_u32_e32 v21, v23
	v_fmac_f32_e32 v38, v17, v17
	v_cvt_f32_u32_e32 v23, v25
	v_cvt_f32_u32_e32 v25, v26
	;; [unrolled: 1-line block ×3, first 2 shown]
	s_delay_alu instid0(VALU_DEP_4)
	v_dual_fmac_f32 v38, v18, v18 :: v_dual_and_b32 v27, 0xffff, v29
	v_lshrrev_b32_e32 v28, 16, v28
	v_lshrrev_b32_e32 v29, 16, v29
	s_waitcnt vmcnt(3)
	v_lshrrev_b32_e32 v39, 16, v36
	v_cvt_f32_u32_e32 v30, v27
	v_dual_fmac_f32 v38, v20, v20 :: v_dual_and_b32 v27, 0xffff, v33
	v_cvt_f32_u32_e32 v28, v28
	v_and_b32_e32 v37, 0xffff, v36
	v_cvt_f32_u32_e32 v32, v29
	s_delay_alu instid0(VALU_DEP_4)
	v_fmac_f32_e32 v38, v22, v22
	v_lshrrev_b32_e32 v29, 16, v33
	v_cvt_f32_u32_e32 v27, v27
	v_and_b32_e32 v31, 0xffff, v34
	v_lshrrev_b32_e32 v33, 16, v34
	v_fmac_f32_e32 v38, v24, v24
	v_cvt_f32_u32_e32 v29, v29
	v_and_b32_e32 v34, 0xffff, v35
	v_cvt_f32_u32_e32 v31, v31
	v_cvt_f32_u32_e32 v33, v33
	v_fmac_f32_e32 v38, v19, v19
	v_lshrrev_b32_e32 v35, 16, v35
	v_cvt_f32_u32_e32 v34, v34
	v_cvt_f32_u32_e32 v36, v37
	;; [unrolled: 1-line block ×3, first 2 shown]
	v_fmac_f32_e32 v38, v21, v21
	v_cvt_f32_u32_e32 v35, v35
	s_delay_alu instid0(VALU_DEP_2) | instskip(NEXT) | instid1(VALU_DEP_1)
	v_fmac_f32_e32 v38, v23, v23
	v_fmac_f32_e32 v38, v25, v25
	s_delay_alu instid0(VALU_DEP_1) | instskip(NEXT) | instid1(VALU_DEP_1)
	v_fmac_f32_e32 v38, v26, v26
	v_fmac_f32_e32 v38, v28, v28
	s_delay_alu instid0(VALU_DEP_1) | instskip(NEXT) | instid1(VALU_DEP_1)
	;; [unrolled: 3-line block ×7, first 2 shown]
	v_mov_b32_dpp v39, v38 quad_perm:[1,0,3,2] row_mask:0xf bank_mask:0xf
	v_add_f32_e32 v38, v38, v39
	s_delay_alu instid0(VALU_DEP_1) | instskip(NEXT) | instid1(VALU_DEP_1)
	v_mov_b32_dpp v39, v38 quad_perm:[2,3,0,1] row_mask:0xf bank_mask:0xf
	v_add_f32_e32 v38, v38, v39
	s_delay_alu instid0(VALU_DEP_1) | instskip(NEXT) | instid1(VALU_DEP_1)
	v_mov_b32_dpp v39, v38 row_xmask:7 row_mask:0xf bank_mask:0xf
	v_add_f32_e32 v38, v38, v39
	s_delay_alu instid0(VALU_DEP_1)
	v_mov_b32_dpp v39, v38 row_xmask:15 row_mask:0xf bank_mask:0xf
	v_cmpx_eq_u32_e32 31, v40
	s_cbranch_execz .LBB156_3
; %bb.2:
	s_delay_alu instid0(VALU_DEP_2) | instskip(SKIP_2) | instid1(VALU_DEP_2)
	v_add_f32_e32 v38, v38, v39
	s_mov_b32 s4, 0x76543210
	v_lshrrev_b32_e32 v39, 3, v0
	v_permlanex16_b32 v40, v38, s4, 0xfedcba98 op_sel:[1,1]
	s_delay_alu instid0(VALU_DEP_1)
	v_dual_add_f32 v38, v38, v40 :: v_dual_and_b32 v39, 0x7c, v39
	ds_store_b32 v39, v38
.LBB156_3:
	s_or_b32 exec_lo, exec_lo, s3
	v_and_b32_e32 v0, 7, v0
	s_waitcnt vmcnt(0) lgkmcnt(0)
	s_barrier
	buffer_gl0_inv
	v_cvt_f32_i32_e32 v39, s9
	v_lshlrev_b32_e32 v0, 2, v0
	v_lshrrev_b32_e32 v44, 16, v7
	v_lshrrev_b32_e32 v45, 16, v8
	;; [unrolled: 1-line block ×4, first 2 shown]
	ds_load_b32 v0, v0
	s_clause 0x1
	s_load_b64 s[4:5], s[0:1], 0x0
	s_load_b32 s0, s[0:1], 0x4c
	v_lshrrev_b32_e32 v47, 16, v2
	v_lshrrev_b32_e32 v49, 16, v4
	v_cvt_f32_u32_e32 v48, v48
	v_cvt_f32_u32_e32 v44, v44
	;; [unrolled: 1-line block ×6, first 2 shown]
	s_waitcnt lgkmcnt(0)
	v_mov_b32_dpp v38, v0 quad_perm:[1,0,3,2] row_mask:0xf bank_mask:0xf
	s_ashr_i32 s1, s0, 31
	s_mul_hi_u32 s3, s0, s2
	s_mul_i32 s1, s1, s2
	s_mul_i32 s0, s0, s2
	v_add_f32_e32 v0, v0, v38
	s_add_i32 s1, s3, s1
	s_delay_alu instid0(SALU_CYCLE_1) | instskip(NEXT) | instid1(SALU_CYCLE_1)
	s_lshl_b64 s[0:1], s[0:1], 1
	s_add_u32 s4, s4, s0
	s_delay_alu instid0(VALU_DEP_1) | instskip(SKIP_1) | instid1(SALU_CYCLE_1)
	v_mov_b32_dpp v38, v0 quad_perm:[2,3,0,1] row_mask:0xf bank_mask:0xf
	s_addc_u32 s0, s5, s1
	s_and_b32 s5, s0, 0xffff
	s_delay_alu instid0(VALU_DEP_1) | instskip(NEXT) | instid1(VALU_DEP_1)
	v_add_f32_e32 v0, v0, v38
	v_mov_b32_dpp v38, v0 row_xmask:7 row_mask:0xf bank_mask:0xf
	s_delay_alu instid0(VALU_DEP_1) | instskip(NEXT) | instid1(VALU_DEP_1)
	v_add_f32_e32 v0, v0, v38
	v_div_scale_f32 v38, null, v39, v39, v0
	v_div_scale_f32 v42, vcc_lo, v0, v39, v0
	s_delay_alu instid0(VALU_DEP_2) | instskip(SKIP_2) | instid1(VALU_DEP_1)
	v_rcp_f32_e32 v40, v38
	s_waitcnt_depctr 0xfff
	v_fma_f32 v41, -v38, v40, 1.0
	v_fmac_f32_e32 v40, v41, v40
	s_delay_alu instid0(VALU_DEP_1) | instskip(NEXT) | instid1(VALU_DEP_1)
	v_mul_f32_e32 v41, v42, v40
	v_fma_f32 v43, -v38, v41, v42
	s_delay_alu instid0(VALU_DEP_1) | instskip(SKIP_1) | instid1(VALU_DEP_2)
	v_fmac_f32_e32 v41, v43, v40
	v_lshrrev_b32_e32 v43, 16, v6
	v_fma_f32 v38, -v38, v41, v42
	v_lshrrev_b32_e32 v42, 16, v5
	s_delay_alu instid0(VALU_DEP_3) | instskip(NEXT) | instid1(VALU_DEP_3)
	v_cvt_f32_u32_e32 v43, v43
	v_div_fmas_f32 v38, v38, v40, v41
	v_lshrrev_b32_e32 v40, 16, v11
	v_and_b32_e32 v11, 0xffff, v11
	v_lshrrev_b32_e32 v41, 16, v12
	v_cvt_f32_u32_e32 v42, v42
	v_div_fixup_f32 v0, v38, v39, v0
	v_cvt_f32_u32_e32 v40, v40
	v_cvt_f32_u32_e32 v11, v11
	;; [unrolled: 1-line block ×3, first 2 shown]
	s_delay_alu instid0(VALU_DEP_4) | instskip(NEXT) | instid1(VALU_DEP_1)
	v_cvt_f64_f32_e32 v[38:39], v0
	v_add_f64 v[38:39], v[38:39], s[14:15]
	s_delay_alu instid0(VALU_DEP_1) | instskip(SKIP_3) | instid1(VALU_DEP_3)
	v_cvt_f32_f64_e32 v0, v[38:39]
	v_lshrrev_b32_e32 v39, 16, v10
	v_lshrrev_b32_e32 v38, 16, v9
	v_and_b32_e32 v9, 0xffff, v9
	v_cvt_f32_u32_e32 v39, v39
	s_delay_alu instid0(VALU_DEP_3) | instskip(NEXT) | instid1(VALU_DEP_3)
	v_cvt_f32_u32_e32 v38, v38
	v_cvt_f32_u32_e32 v9, v9
	v_mul_f32_e32 v50, 0x4b800000, v0
	v_cmp_gt_f32_e32 vcc_lo, 0x800000, v0
	s_delay_alu instid0(VALU_DEP_2) | instskip(NEXT) | instid1(VALU_DEP_1)
	v_dual_cndmask_b32 v0, v0, v50 :: v_dual_and_b32 v5, 0xffff, v5
	v_cvt_f32_u32_e32 v5, v5
	s_delay_alu instid0(VALU_DEP_2) | instskip(SKIP_2) | instid1(VALU_DEP_1)
	v_rsq_f32_e32 v0, v0
	s_waitcnt_depctr 0xfff
	v_mul_f32_e32 v50, 0x45800000, v0
	v_dual_cndmask_b32 v0, v0, v50 :: v_dual_and_b32 v7, 0xffff, v7
	v_and_b32_e32 v10, 0xffff, v10
	v_and_b32_e32 v8, 0xffff, v8
	;; [unrolled: 1-line block ×3, first 2 shown]
	s_delay_alu instid0(VALU_DEP_4)
	v_dual_mul_f32 v25, v0, v25 :: v_dual_and_b32 v6, 0xffff, v6
	v_dual_mul_f32 v24, v0, v24 :: v_dual_and_b32 v1, 0xffff, v1
	;; [unrolled: 1-line block ×5, first 2 shown]
	v_mul_f32_e32 v17, v0, v17
	v_cvt_f32_u32_e32 v10, v10
	v_mul_f32_e32 v16, v0, v16
	v_mul_f32_e32 v23, v0, v23
	v_cvt_f32_u32_e32 v8, v8
	v_mul_f32_e32 v35, v0, v35
	v_mul_f32_e32 v30, v0, v30
	;; [unrolled: 1-line block ×4, first 2 shown]
	v_cvt_f32_u32_e32 v6, v6
	v_cvt_f32_u32_e32 v7, v7
	;; [unrolled: 1-line block ×3, first 2 shown]
	v_mul_f32_e32 v11, v18, v11
	v_cvt_f32_u32_e32 v2, v2
	v_cvt_f32_u32_e32 v3, v3
	;; [unrolled: 1-line block ×3, first 2 shown]
	v_mul_f32_e32 v15, v0, v15
	v_cvt_f32_u32_e32 v12, v12
	v_mul_f32_e32 v32, v0, v32
	v_mul_f32_e32 v37, v0, v37
	v_mul_f32_e32 v26, v0, v26
	v_mul_f32_e32 v36, v0, v36
	v_mul_f32_e32 v34, v0, v34
	v_mul_f32_e32 v33, v0, v33
	v_mul_f32_e32 v14, v0, v14
	v_dual_mul_f32 v31, v0, v31 :: v_dual_mul_f32 v12, v22, v12
	v_mul_f32_e32 v29, v0, v29
	v_dual_mul_f32 v18, v19, v5 :: v_dual_mul_f32 v19, v21, v42
	v_mul_f32_e32 v10, v16, v10
	v_mul_f32_e32 v16, v20, v40
	;; [unrolled: 1-line block ×4, first 2 shown]
	v_dual_mul_f32 v0, v0, v27 :: v_dual_mul_f32 v9, v15, v9
	v_mul_f32_e32 v15, v17, v39
	v_mul_f32_e32 v5, v23, v6
	;; [unrolled: 1-line block ×4, first 2 shown]
	v_dual_mul_f32 v22, v0, v1 :: v_dual_mul_f32 v25, v33, v47
	v_dual_mul_f32 v14, v14, v38 :: v_dual_mul_f32 v27, v35, v48
	;; [unrolled: 1-line block ×5, first 2 shown]
	v_mul_f32_e32 v24, v31, v2
	v_mul_f32_e32 v26, v34, v3
	s_delay_alu instid0(VALU_DEP_4)
	v_perm_b32 v3, v17, v12, 0x7060302
	v_perm_b32 v2, v16, v11, 0x7060302
	;; [unrolled: 1-line block ×12, first 2 shown]
	buffer_store_b128 v[0:3], v13, s[4:7], 0 offen
	;;#ASMSTART
	s_nop 0
	;;#ASMEND
	buffer_store_b128 v[4:7], v13, s[4:7], 16 offen
	;;#ASMSTART
	s_nop 0
	;;#ASMEND
	;; [unrolled: 4-line block ×3, first 2 shown]
.LBB156_4:
	s_nop 0
	s_sendmsg sendmsg(MSG_DEALLOC_VGPRS)
	s_endpgm
	.section	.rodata,"a",@progbits
	.p2align	6, 0x0
	.amdhsa_kernel _ZN5aiter24add_rmsnorm_quant_kernelIttLi256ELi24ELb0ELb0ELb0ELi1EEEvPT0_PT_PfS4_S4_S4_diiiiiiib
		.amdhsa_group_segment_fixed_size 32
		.amdhsa_private_segment_fixed_size 0
		.amdhsa_kernarg_size 88
		.amdhsa_user_sgpr_count 15
		.amdhsa_user_sgpr_dispatch_ptr 0
		.amdhsa_user_sgpr_queue_ptr 0
		.amdhsa_user_sgpr_kernarg_segment_ptr 1
		.amdhsa_user_sgpr_dispatch_id 0
		.amdhsa_user_sgpr_private_segment_size 0
		.amdhsa_wavefront_size32 1
		.amdhsa_uses_dynamic_stack 0
		.amdhsa_enable_private_segment 0
		.amdhsa_system_sgpr_workgroup_id_x 1
		.amdhsa_system_sgpr_workgroup_id_y 0
		.amdhsa_system_sgpr_workgroup_id_z 0
		.amdhsa_system_sgpr_workgroup_info 0
		.amdhsa_system_vgpr_workitem_id 0
		.amdhsa_next_free_vgpr 51
		.amdhsa_next_free_sgpr 20
		.amdhsa_reserve_vcc 1
		.amdhsa_float_round_mode_32 0
		.amdhsa_float_round_mode_16_64 0
		.amdhsa_float_denorm_mode_32 3
		.amdhsa_float_denorm_mode_16_64 3
		.amdhsa_dx10_clamp 1
		.amdhsa_ieee_mode 1
		.amdhsa_fp16_overflow 0
		.amdhsa_workgroup_processor_mode 1
		.amdhsa_memory_ordered 1
		.amdhsa_forward_progress 0
		.amdhsa_shared_vgpr_count 0
		.amdhsa_exception_fp_ieee_invalid_op 0
		.amdhsa_exception_fp_denorm_src 0
		.amdhsa_exception_fp_ieee_div_zero 0
		.amdhsa_exception_fp_ieee_overflow 0
		.amdhsa_exception_fp_ieee_underflow 0
		.amdhsa_exception_fp_ieee_inexact 0
		.amdhsa_exception_int_div_zero 0
	.end_amdhsa_kernel
	.section	.text._ZN5aiter24add_rmsnorm_quant_kernelIttLi256ELi24ELb0ELb0ELb0ELi1EEEvPT0_PT_PfS4_S4_S4_diiiiiiib,"axG",@progbits,_ZN5aiter24add_rmsnorm_quant_kernelIttLi256ELi24ELb0ELb0ELb0ELi1EEEvPT0_PT_PfS4_S4_S4_diiiiiiib,comdat
.Lfunc_end156:
	.size	_ZN5aiter24add_rmsnorm_quant_kernelIttLi256ELi24ELb0ELb0ELb0ELi1EEEvPT0_PT_PfS4_S4_S4_diiiiiiib, .Lfunc_end156-_ZN5aiter24add_rmsnorm_quant_kernelIttLi256ELi24ELb0ELb0ELb0ELi1EEEvPT0_PT_PfS4_S4_S4_diiiiiiib
                                        ; -- End function
	.section	.AMDGPU.csdata,"",@progbits
; Kernel info:
; codeLenInByte = 1736
; NumSgprs: 22
; NumVgprs: 51
; ScratchSize: 0
; MemoryBound: 0
; FloatMode: 240
; IeeeMode: 1
; LDSByteSize: 32 bytes/workgroup (compile time only)
; SGPRBlocks: 2
; VGPRBlocks: 6
; NumSGPRsForWavesPerEU: 22
; NumVGPRsForWavesPerEU: 51
; Occupancy: 16
; WaveLimiterHint : 1
; COMPUTE_PGM_RSRC2:SCRATCH_EN: 0
; COMPUTE_PGM_RSRC2:USER_SGPR: 15
; COMPUTE_PGM_RSRC2:TRAP_HANDLER: 0
; COMPUTE_PGM_RSRC2:TGID_X_EN: 1
; COMPUTE_PGM_RSRC2:TGID_Y_EN: 0
; COMPUTE_PGM_RSRC2:TGID_Z_EN: 0
; COMPUTE_PGM_RSRC2:TIDIG_COMP_CNT: 0
	.section	.text._ZN5aiter24add_rmsnorm_quant_kernelIDF16_DF16_Li256ELi32ELb0ELb0ELb1ELi1EEEvPT0_PT_PfS4_S4_S4_diiiiiiib,"axG",@progbits,_ZN5aiter24add_rmsnorm_quant_kernelIDF16_DF16_Li256ELi32ELb0ELb0ELb1ELi1EEEvPT0_PT_PfS4_S4_S4_diiiiiiib,comdat
	.protected	_ZN5aiter24add_rmsnorm_quant_kernelIDF16_DF16_Li256ELi32ELb0ELb0ELb1ELi1EEEvPT0_PT_PfS4_S4_S4_diiiiiiib ; -- Begin function _ZN5aiter24add_rmsnorm_quant_kernelIDF16_DF16_Li256ELi32ELb0ELb0ELb1ELi1EEEvPT0_PT_PfS4_S4_S4_diiiiiiib
	.globl	_ZN5aiter24add_rmsnorm_quant_kernelIDF16_DF16_Li256ELi32ELb0ELb0ELb1ELi1EEEvPT0_PT_PfS4_S4_S4_diiiiiiib
	.p2align	8
	.type	_ZN5aiter24add_rmsnorm_quant_kernelIDF16_DF16_Li256ELi32ELb0ELb0ELb1ELi1EEEvPT0_PT_PfS4_S4_S4_diiiiiiib,@function
_ZN5aiter24add_rmsnorm_quant_kernelIDF16_DF16_Li256ELi32ELb0ELb0ELb1ELi1EEEvPT0_PT_PfS4_S4_S4_diiiiiiib: ; @_ZN5aiter24add_rmsnorm_quant_kernelIDF16_DF16_Li256ELi32ELb0ELb0ELb1ELi1EEEvPT0_PT_PfS4_S4_S4_diiiiiiib
; %bb.0:
	s_mov_b32 s2, s15
	s_load_b128 s[12:15], s[0:1], 0x38
	s_mov_b32 s3, 0
	s_waitcnt lgkmcnt(0)
	s_ashr_i32 s5, s12, 31
	s_mov_b32 s4, s12
	s_delay_alu instid0(SALU_CYCLE_1) | instskip(NEXT) | instid1(VALU_DEP_1)
	v_cmp_ge_i64_e64 s3, s[2:3], s[4:5]
	s_and_b32 vcc_lo, exec_lo, s3
	s_cbranch_vccnz .LBB157_4
; %bb.1:
	s_clause 0x1
	s_load_b64 s[4:5], s[0:1], 0x18
	s_load_b128 s[8:11], s[0:1], 0x28
	s_ashr_i32 s3, s14, 31
	s_mul_hi_u32 s7, s14, s2
	s_mul_i32 s3, s3, s2
	v_lshlrev_b32_e32 v1, 6, v0
	s_mul_i32 s6, s14, s2
	s_add_i32 s7, s7, s3
	v_lshlrev_b32_e32 v2, 4, v0
	s_lshl_b64 s[6:7], s[6:7], 1
	v_and_b32_e32 v1, 0xf800, v1
	s_movk_i32 s12, 0x200
	s_movk_i32 s14, 0x400
	s_delay_alu instid0(VALU_DEP_1)
	v_and_or_b32 v17, 0x1f0, v2, v1
	s_waitcnt lgkmcnt(0)
	s_add_u32 s4, s4, s6
	s_addc_u32 s3, s5, s7
	s_add_i32 s5, s13, 1
	s_mov_b32 s7, -1
	s_lshr_b32 s6, s5, 31
	s_mov_b32 s19, s7
	s_add_i32 s5, s5, s6
	s_mov_b32 s16, s8
	s_lshl_b32 s6, s5, 1
	s_and_b32 s5, s3, 0xffff
	s_and_b32 s6, s6, -4
	s_movk_i32 s3, 0x600
	s_clause 0x3
	buffer_load_b128 v[19:22], v17, s[4:7], 0 offen glc slc
	buffer_load_b128 v[43:46], v17, s[4:7], s3 offen glc slc
	;; [unrolled: 1-line block ×4, first 2 shown]
	s_and_b32 s17, s9, 0xffff
	s_mov_b32 s18, s6
	s_clause 0x3
	buffer_load_b128 v[13:16], v17, s[16:19], 0 offen
	buffer_load_b128 v[9:12], v17, s[16:19], s12 offen
	;; [unrolled: 1-line block ×4, first 2 shown]
	s_mov_b32 s4, exec_lo
	s_waitcnt vmcnt(7)
	v_lshrrev_b32_e32 v18, 16, v19
	v_cvt_f32_f16_e32 v42, v19
	v_cvt_f32_f16_e32 v41, v21
	v_lshrrev_b32_e32 v36, 16, v21
	v_cvt_f32_f16_e32 v38, v22
	v_cvt_f32_f16_e32 v18, v18
	v_lshrrev_b32_e32 v37, 16, v22
	s_waitcnt vmcnt(6)
	v_lshrrev_b32_e32 v54, 16, v43
	v_cvt_f32_f16_e32 v40, v20
	v_lshrrev_b32_e32 v35, 16, v20
	v_mul_f32_e32 v31, v18, v18
	v_lshrrev_b32_e32 v55, 16, v44
	s_waitcnt vmcnt(5)
	v_lshrrev_b32_e32 v50, 16, v24
	v_lshrrev_b32_e32 v56, 16, v45
	v_cvt_f32_f16_e32 v34, v23
	v_fma_mix_f32 v31, v19, v19, v31 op_sel_hi:[1,1,0]
	v_lshrrev_b32_e32 v39, 16, v23
	v_cvt_f32_f16_e32 v32, v24
	v_cvt_f32_f16_e32 v33, v25
	v_lshrrev_b32_e32 v51, 16, v25
	v_fma_mix_f32 v31, v20, v20, v31 op_sel_hi:[1,1,0]
	v_lshrrev_b32_e32 v53, 16, v26
	v_lshrrev_b32_e32 v57, 16, v46
	v_cvt_f32_f16_e32 v49, v35
	v_cvt_f32_f16_e32 v48, v36
	v_fma_mix_f32 v31, v20, v20, v31 op_sel:[1,1,0] op_sel_hi:[1,1,0]
	v_cvt_f32_f16_e32 v20, v44
	v_cvt_f32_f16_e32 v47, v37
	s_delay_alu instid0(VALU_DEP_3) | instskip(NEXT) | instid1(VALU_DEP_1)
	v_fma_mix_f32 v31, v21, v21, v31 op_sel_hi:[1,1,0]
	v_fma_mix_f32 v31, v21, v21, v31 op_sel:[1,1,0] op_sel_hi:[1,1,0]
	s_delay_alu instid0(VALU_DEP_1) | instskip(NEXT) | instid1(VALU_DEP_1)
	v_fma_mix_f32 v31, v22, v22, v31 op_sel_hi:[1,1,0]
	v_fma_mix_f32 v31, v22, v22, v31 op_sel:[1,1,0] op_sel_hi:[1,1,0]
	v_cvt_f32_f16_e32 v22, v43
	s_delay_alu instid0(VALU_DEP_2) | instskip(NEXT) | instid1(VALU_DEP_1)
	v_fma_mix_f32 v31, v23, v23, v31 op_sel_hi:[1,1,0]
	v_fma_mix_f32 v31, v23, v23, v31 op_sel:[1,1,0] op_sel_hi:[1,1,0]
	s_waitcnt vmcnt(4)
	v_cvt_f32_f16_e32 v23, v30
	s_delay_alu instid0(VALU_DEP_2) | instskip(NEXT) | instid1(VALU_DEP_1)
	v_fma_mix_f32 v31, v24, v24, v31 op_sel_hi:[1,1,0]
	v_fma_mix_f32 v31, v24, v24, v31 op_sel:[1,1,0] op_sel_hi:[1,1,0]
	v_cvt_f32_f16_e32 v24, v28
	s_delay_alu instid0(VALU_DEP_2) | instskip(NEXT) | instid1(VALU_DEP_1)
	v_fma_mix_f32 v31, v25, v25, v31 op_sel_hi:[1,1,0]
	v_fma_mix_f32 v31, v25, v25, v31 op_sel:[1,1,0] op_sel_hi:[1,1,0]
	;; [unrolled: 4-line block ×3, first 2 shown]
	s_delay_alu instid0(VALU_DEP_1) | instskip(NEXT) | instid1(VALU_DEP_1)
	v_fma_mix_f32 v31, v27, v27, v31 op_sel_hi:[1,1,0]
	v_fma_mix_f32 v31, v27, v27, v31 op_sel:[1,1,0] op_sel_hi:[1,1,0]
	s_delay_alu instid0(VALU_DEP_1) | instskip(NEXT) | instid1(VALU_DEP_1)
	v_fma_mix_f32 v31, v28, v28, v31 op_sel_hi:[1,1,0]
	v_fma_mix_f32 v31, v28, v28, v31 op_sel:[1,1,0] op_sel_hi:[1,1,0]
	v_lshrrev_b32_e32 v28, 16, v28
	s_delay_alu instid0(VALU_DEP_2) | instskip(NEXT) | instid1(VALU_DEP_2)
	v_fma_mix_f32 v31, v29, v29, v31 op_sel_hi:[1,1,0]
	v_cvt_f32_f16_e32 v37, v28
	v_cvt_f32_f16_e32 v28, v56
	s_delay_alu instid0(VALU_DEP_3) | instskip(SKIP_1) | instid1(VALU_DEP_2)
	v_fma_mix_f32 v31, v29, v29, v31 op_sel:[1,1,0] op_sel_hi:[1,1,0]
	v_lshrrev_b32_e32 v29, 16, v29
	v_fma_mix_f32 v31, v30, v30, v31 op_sel_hi:[1,1,0]
	s_delay_alu instid0(VALU_DEP_2) | instskip(SKIP_1) | instid1(VALU_DEP_3)
	v_cvt_f32_f16_e32 v36, v29
	v_cvt_f32_f16_e32 v29, v55
	v_fma_mix_f32 v31, v30, v30, v31 op_sel:[1,1,0] op_sel_hi:[1,1,0]
	v_lshrrev_b32_e32 v30, 16, v30
	s_delay_alu instid0(VALU_DEP_2) | instskip(NEXT) | instid1(VALU_DEP_2)
	v_fma_mix_f32 v31, v43, v43, v31 op_sel_hi:[1,1,0]
	v_cvt_f32_f16_e32 v35, v30
	v_cvt_f32_f16_e32 v30, v54
	s_delay_alu instid0(VALU_DEP_3) | instskip(NEXT) | instid1(VALU_DEP_1)
	v_fma_mix_f32 v31, v43, v43, v31 op_sel:[1,1,0] op_sel_hi:[1,1,0]
	v_fma_mix_f32 v31, v44, v44, v31 op_sel_hi:[1,1,0]
	s_delay_alu instid0(VALU_DEP_1) | instskip(SKIP_3) | instid1(VALU_DEP_4)
	v_fma_mix_f32 v19, v44, v44, v31 op_sel:[1,1,0] op_sel_hi:[1,1,0]
	v_cvt_f32_f16_e32 v31, v26
	v_cvt_f32_f16_e32 v26, v27
	v_lshrrev_b32_e32 v27, 16, v27
	v_fma_mix_f32 v19, v45, v45, v19 op_sel_hi:[1,1,0]
	s_delay_alu instid0(VALU_DEP_1) | instskip(NEXT) | instid1(VALU_DEP_1)
	v_fma_mix_f32 v19, v45, v45, v19 op_sel:[1,1,0] op_sel_hi:[1,1,0]
	v_fma_mix_f32 v19, v46, v46, v19 op_sel_hi:[1,1,0]
	s_delay_alu instid0(VALU_DEP_1) | instskip(NEXT) | instid1(VALU_DEP_1)
	v_fma_mix_f32 v19, v46, v46, v19 op_sel:[1,1,0] op_sel_hi:[1,1,0]
	v_mov_b32_dpp v21, v19 quad_perm:[1,0,3,2] row_mask:0xf bank_mask:0xf
	s_delay_alu instid0(VALU_DEP_1)
	v_dual_add_f32 v43, v19, v21 :: v_dual_and_b32 v52, 31, v0
	v_cvt_f32_f16_e32 v21, v45
	v_cvt_f32_f16_e32 v45, v50
	;; [unrolled: 1-line block ×4, first 2 shown]
	v_mov_b32_dpp v44, v43 quad_perm:[2,3,0,1] row_mask:0xf bank_mask:0xf
	v_cvt_f32_f16_e32 v39, v27
	v_cvt_f32_f16_e32 v27, v57
	s_delay_alu instid0(VALU_DEP_3) | instskip(SKIP_2) | instid1(VALU_DEP_3)
	v_add_f32_e32 v58, v43, v44
	v_cvt_f32_f16_e32 v44, v51
	v_cvt_f32_f16_e32 v43, v53
	v_mov_b32_dpp v50, v58 row_xmask:7 row_mask:0xf bank_mask:0xf
	s_delay_alu instid0(VALU_DEP_1) | instskip(NEXT) | instid1(VALU_DEP_1)
	v_add_f32_e32 v50, v58, v50
	v_mov_b32_dpp v51, v50 row_xmask:15 row_mask:0xf bank_mask:0xf
	v_cmpx_eq_u32_e32 31, v52
	s_cbranch_execz .LBB157_3
; %bb.2:
	s_delay_alu instid0(VALU_DEP_2) | instskip(SKIP_2) | instid1(VALU_DEP_2)
	v_add_f32_e32 v50, v50, v51
	s_mov_b32 s5, 0x76543210
	v_lshrrev_b32_e32 v51, 3, v0
	v_permlanex16_b32 v52, v50, s5, 0xfedcba98 op_sel:[1,1]
	s_delay_alu instid0(VALU_DEP_1)
	v_dual_add_f32 v50, v50, v52 :: v_dual_and_b32 v51, 0x7c, v51
	ds_store_b32 v51, v50
.LBB157_3:
	s_or_b32 exec_lo, exec_lo, s4
	v_and_b32_e32 v0, 7, v0
	s_waitcnt vmcnt(0) lgkmcnt(0)
	s_barrier
	buffer_gl0_inv
	v_cvt_f32_i32_e32 v51, s13
	v_lshlrev_b32_e32 v0, 2, v0
	s_clause 0x1
	s_load_b32 s4, s[0:1], 0x4c
	s_load_b64 s[0:1], s[0:1], 0x0
	ds_load_b32 v0, v0
	s_waitcnt lgkmcnt(0)
	s_ashr_i32 s5, s4, 31
	s_mul_hi_u32 s8, s4, s2
	s_mul_i32 s5, s5, s2
	s_mul_i32 s4, s4, s2
	v_mov_b32_dpp v50, v0 quad_perm:[1,0,3,2] row_mask:0xf bank_mask:0xf
	s_add_i32 s5, s8, s5
	s_delay_alu instid0(SALU_CYCLE_1) | instskip(NEXT) | instid1(SALU_CYCLE_1)
	s_lshl_b64 s[4:5], s[4:5], 1
	s_add_u32 s4, s0, s4
	s_delay_alu instid0(VALU_DEP_1) | instskip(SKIP_1) | instid1(SALU_CYCLE_1)
	v_add_f32_e32 v0, v0, v50
	s_addc_u32 s0, s1, s5
	s_and_b32 s5, s0, 0xffff
	s_delay_alu instid0(VALU_DEP_1) | instskip(NEXT) | instid1(VALU_DEP_1)
	v_mov_b32_dpp v50, v0 quad_perm:[2,3,0,1] row_mask:0xf bank_mask:0xf
	v_add_f32_e32 v0, v0, v50
	s_delay_alu instid0(VALU_DEP_1) | instskip(NEXT) | instid1(VALU_DEP_1)
	v_mov_b32_dpp v50, v0 row_xmask:7 row_mask:0xf bank_mask:0xf
	v_add_f32_e32 v0, v0, v50
	s_delay_alu instid0(VALU_DEP_1) | instskip(SKIP_1) | instid1(VALU_DEP_2)
	v_div_scale_f32 v50, null, v51, v51, v0
	v_div_scale_f32 v54, vcc_lo, v0, v51, v0
	v_rcp_f32_e32 v52, v50
	s_waitcnt_depctr 0xfff
	v_fma_f32 v53, -v50, v52, 1.0
	s_delay_alu instid0(VALU_DEP_1) | instskip(NEXT) | instid1(VALU_DEP_1)
	v_fmac_f32_e32 v52, v53, v52
	v_mul_f32_e32 v53, v54, v52
	s_delay_alu instid0(VALU_DEP_1) | instskip(NEXT) | instid1(VALU_DEP_1)
	v_fma_f32 v55, -v50, v53, v54
	v_fmac_f32_e32 v53, v55, v52
	s_delay_alu instid0(VALU_DEP_1) | instskip(NEXT) | instid1(VALU_DEP_1)
	v_fma_f32 v50, -v50, v53, v54
	v_div_fmas_f32 v50, v50, v52, v53
	s_delay_alu instid0(VALU_DEP_1) | instskip(NEXT) | instid1(VALU_DEP_1)
	v_div_fixup_f32 v0, v50, v51, v0
	v_cvt_f64_f32_e32 v[50:51], v0
	s_delay_alu instid0(VALU_DEP_1) | instskip(NEXT) | instid1(VALU_DEP_1)
	v_add_f64 v[50:51], v[50:51], s[10:11]
	v_cvt_f32_f64_e32 v0, v[50:51]
	s_delay_alu instid0(VALU_DEP_1) | instskip(SKIP_1) | instid1(VALU_DEP_2)
	v_mul_f32_e32 v50, 0x4b800000, v0
	v_cmp_gt_f32_e32 vcc_lo, 0x800000, v0
	v_cndmask_b32_e32 v0, v0, v50, vcc_lo
	s_delay_alu instid0(VALU_DEP_1) | instskip(SKIP_2) | instid1(VALU_DEP_1)
	v_rsq_f32_e32 v0, v0
	s_waitcnt_depctr 0xfff
	v_mul_f32_e32 v50, 0x45800000, v0
	v_cndmask_b32_e32 v0, v0, v50, vcc_lo
	s_delay_alu instid0(VALU_DEP_1)
	v_mul_f32_e32 v45, v0, v45
	v_mul_f32_e32 v50, v0, v18
	;; [unrolled: 1-line block ×32, first 2 shown]
	v_fma_mixlo_f16 v18, v18, v13, 0 op_sel_hi:[0,1,0]
	v_fma_mixlo_f16 v19, v40, v14, 0 op_sel_hi:[0,1,0]
	;; [unrolled: 1-line block ×16, first 2 shown]
	v_fma_mixhi_f16 v21, v47, v16, 0 op_sel:[0,1,0] op_sel_hi:[0,1,0]
	v_fma_mixhi_f16 v20, v48, v15, 0 op_sel:[0,1,0] op_sel_hi:[0,1,0]
	v_fma_mixhi_f16 v19, v42, v14, 0 op_sel:[0,1,0] op_sel_hi:[0,1,0]
	v_fma_mixhi_f16 v18, v50, v13, 0 op_sel:[0,1,0] op_sel_hi:[0,1,0]
	v_fma_mixhi_f16 v25, v43, v12, 0 op_sel:[0,1,0] op_sel_hi:[0,1,0]
	v_fma_mixhi_f16 v24, v44, v11, 0 op_sel:[0,1,0] op_sel_hi:[0,1,0]
	v_fma_mixhi_f16 v23, v45, v10, 0 op_sel:[0,1,0] op_sel_hi:[0,1,0]
	v_fma_mixhi_f16 v22, v46, v9, 0 op_sel:[0,1,0] op_sel_hi:[0,1,0]
	v_fma_mixhi_f16 v29, v35, v8, 0 op_sel:[0,1,0] op_sel_hi:[0,1,0]
	v_fma_mixhi_f16 v28, v36, v7, 0 op_sel:[0,1,0] op_sel_hi:[0,1,0]
	v_fma_mixhi_f16 v27, v37, v6, 0 op_sel:[0,1,0] op_sel_hi:[0,1,0]
	v_fma_mixhi_f16 v26, v39, v5, 0 op_sel:[0,1,0] op_sel_hi:[0,1,0]
	v_fma_mixhi_f16 v33, v58, v4, 0 op_sel:[0,1,0] op_sel_hi:[0,1,0]
	v_fma_mixhi_f16 v32, v56, v3, 0 op_sel:[0,1,0] op_sel_hi:[0,1,0]
	v_fma_mixhi_f16 v31, v54, v2, 0 op_sel:[0,1,0] op_sel_hi:[0,1,0]
	v_fma_mixhi_f16 v30, v53, v1, 0 op_sel:[0,1,0] op_sel_hi:[0,1,0]
	buffer_store_b128 v[18:21], v17, s[4:7], 0 offen
	;;#ASMSTART
	s_nop 0
	;;#ASMEND
	buffer_store_b128 v[22:25], v17, s[4:7], s12 offen
	;;#ASMSTART
	s_nop 0
	;;#ASMEND
	;; [unrolled: 4-line block ×4, first 2 shown]
.LBB157_4:
	s_nop 0
	s_sendmsg sendmsg(MSG_DEALLOC_VGPRS)
	s_endpgm
	.section	.rodata,"a",@progbits
	.p2align	6, 0x0
	.amdhsa_kernel _ZN5aiter24add_rmsnorm_quant_kernelIDF16_DF16_Li256ELi32ELb0ELb0ELb1ELi1EEEvPT0_PT_PfS4_S4_S4_diiiiiiib
		.amdhsa_group_segment_fixed_size 32
		.amdhsa_private_segment_fixed_size 0
		.amdhsa_kernarg_size 88
		.amdhsa_user_sgpr_count 15
		.amdhsa_user_sgpr_dispatch_ptr 0
		.amdhsa_user_sgpr_queue_ptr 0
		.amdhsa_user_sgpr_kernarg_segment_ptr 1
		.amdhsa_user_sgpr_dispatch_id 0
		.amdhsa_user_sgpr_private_segment_size 0
		.amdhsa_wavefront_size32 1
		.amdhsa_uses_dynamic_stack 0
		.amdhsa_enable_private_segment 0
		.amdhsa_system_sgpr_workgroup_id_x 1
		.amdhsa_system_sgpr_workgroup_id_y 0
		.amdhsa_system_sgpr_workgroup_id_z 0
		.amdhsa_system_sgpr_workgroup_info 0
		.amdhsa_system_vgpr_workitem_id 0
		.amdhsa_next_free_vgpr 59
		.amdhsa_next_free_sgpr 20
		.amdhsa_reserve_vcc 1
		.amdhsa_float_round_mode_32 0
		.amdhsa_float_round_mode_16_64 0
		.amdhsa_float_denorm_mode_32 3
		.amdhsa_float_denorm_mode_16_64 3
		.amdhsa_dx10_clamp 1
		.amdhsa_ieee_mode 1
		.amdhsa_fp16_overflow 0
		.amdhsa_workgroup_processor_mode 1
		.amdhsa_memory_ordered 1
		.amdhsa_forward_progress 0
		.amdhsa_shared_vgpr_count 0
		.amdhsa_exception_fp_ieee_invalid_op 0
		.amdhsa_exception_fp_denorm_src 0
		.amdhsa_exception_fp_ieee_div_zero 0
		.amdhsa_exception_fp_ieee_overflow 0
		.amdhsa_exception_fp_ieee_underflow 0
		.amdhsa_exception_fp_ieee_inexact 0
		.amdhsa_exception_int_div_zero 0
	.end_amdhsa_kernel
	.section	.text._ZN5aiter24add_rmsnorm_quant_kernelIDF16_DF16_Li256ELi32ELb0ELb0ELb1ELi1EEEvPT0_PT_PfS4_S4_S4_diiiiiiib,"axG",@progbits,_ZN5aiter24add_rmsnorm_quant_kernelIDF16_DF16_Li256ELi32ELb0ELb0ELb1ELi1EEEvPT0_PT_PfS4_S4_S4_diiiiiiib,comdat
.Lfunc_end157:
	.size	_ZN5aiter24add_rmsnorm_quant_kernelIDF16_DF16_Li256ELi32ELb0ELb0ELb1ELi1EEEvPT0_PT_PfS4_S4_S4_diiiiiiib, .Lfunc_end157-_ZN5aiter24add_rmsnorm_quant_kernelIDF16_DF16_Li256ELi32ELb0ELb0ELb1ELi1EEEvPT0_PT_PfS4_S4_S4_diiiiiiib
                                        ; -- End function
	.section	.AMDGPU.csdata,"",@progbits
; Kernel info:
; codeLenInByte = 1756
; NumSgprs: 22
; NumVgprs: 59
; ScratchSize: 0
; MemoryBound: 0
; FloatMode: 240
; IeeeMode: 1
; LDSByteSize: 32 bytes/workgroup (compile time only)
; SGPRBlocks: 2
; VGPRBlocks: 7
; NumSGPRsForWavesPerEU: 22
; NumVGPRsForWavesPerEU: 59
; Occupancy: 16
; WaveLimiterHint : 1
; COMPUTE_PGM_RSRC2:SCRATCH_EN: 0
; COMPUTE_PGM_RSRC2:USER_SGPR: 15
; COMPUTE_PGM_RSRC2:TRAP_HANDLER: 0
; COMPUTE_PGM_RSRC2:TGID_X_EN: 1
; COMPUTE_PGM_RSRC2:TGID_Y_EN: 0
; COMPUTE_PGM_RSRC2:TGID_Z_EN: 0
; COMPUTE_PGM_RSRC2:TIDIG_COMP_CNT: 0
	.section	.text._ZN5aiter24add_rmsnorm_quant_kernelIttLi256ELi32ELb0ELb0ELb1ELi1EEEvPT0_PT_PfS4_S4_S4_diiiiiiib,"axG",@progbits,_ZN5aiter24add_rmsnorm_quant_kernelIttLi256ELi32ELb0ELb0ELb1ELi1EEEvPT0_PT_PfS4_S4_S4_diiiiiiib,comdat
	.protected	_ZN5aiter24add_rmsnorm_quant_kernelIttLi256ELi32ELb0ELb0ELb1ELi1EEEvPT0_PT_PfS4_S4_S4_diiiiiiib ; -- Begin function _ZN5aiter24add_rmsnorm_quant_kernelIttLi256ELi32ELb0ELb0ELb1ELi1EEEvPT0_PT_PfS4_S4_S4_diiiiiiib
	.globl	_ZN5aiter24add_rmsnorm_quant_kernelIttLi256ELi32ELb0ELb0ELb1ELi1EEEvPT0_PT_PfS4_S4_S4_diiiiiiib
	.p2align	8
	.type	_ZN5aiter24add_rmsnorm_quant_kernelIttLi256ELi32ELb0ELb0ELb1ELi1EEEvPT0_PT_PfS4_S4_S4_diiiiiiib,@function
_ZN5aiter24add_rmsnorm_quant_kernelIttLi256ELi32ELb0ELb0ELb1ELi1EEEvPT0_PT_PfS4_S4_S4_diiiiiiib: ; @_ZN5aiter24add_rmsnorm_quant_kernelIttLi256ELi32ELb0ELb0ELb1ELi1EEEvPT0_PT_PfS4_S4_S4_diiiiiiib
; %bb.0:
	s_mov_b32 s2, s15
	s_load_b128 s[12:15], s[0:1], 0x38
	s_mov_b32 s3, 0
	s_waitcnt lgkmcnt(0)
	s_ashr_i32 s5, s12, 31
	s_mov_b32 s4, s12
	s_delay_alu instid0(SALU_CYCLE_1) | instskip(NEXT) | instid1(VALU_DEP_1)
	v_cmp_ge_i64_e64 s3, s[2:3], s[4:5]
	s_and_b32 vcc_lo, exec_lo, s3
	s_cbranch_vccnz .LBB158_4
; %bb.1:
	s_clause 0x1
	s_load_b64 s[4:5], s[0:1], 0x18
	s_load_b128 s[8:11], s[0:1], 0x28
	s_ashr_i32 s3, s14, 31
	s_mul_hi_u32 s7, s14, s2
	s_mul_i32 s3, s3, s2
	v_lshlrev_b32_e32 v1, 6, v0
	s_mul_i32 s6, s14, s2
	s_add_i32 s7, s7, s3
	v_lshlrev_b32_e32 v2, 4, v0
	s_lshl_b64 s[6:7], s[6:7], 1
	v_and_b32_e32 v1, 0xf800, v1
	s_movk_i32 s12, 0x200
	s_movk_i32 s14, 0x400
	v_and_b32_e32 v52, 31, v0
	s_delay_alu instid0(VALU_DEP_2)
	v_and_or_b32 v17, 0x1f0, v2, v1
	s_waitcnt lgkmcnt(0)
	s_add_u32 s4, s4, s6
	s_addc_u32 s3, s5, s7
	s_add_i32 s5, s13, 1
	s_mov_b32 s7, -1
	s_lshr_b32 s6, s5, 31
	s_mov_b32 s19, s7
	s_add_i32 s5, s5, s6
	s_mov_b32 s16, s8
	s_lshl_b32 s6, s5, 1
	s_and_b32 s5, s3, 0xffff
	s_and_b32 s6, s6, -4
	s_movk_i32 s3, 0x600
	s_clause 0x3
	buffer_load_b128 v[20:23], v17, s[4:7], 0 offen glc slc
	buffer_load_b128 v[45:48], v17, s[4:7], s3 offen glc slc
	;; [unrolled: 1-line block ×4, first 2 shown]
	s_and_b32 s17, s9, 0xffff
	s_mov_b32 s18, s6
	s_clause 0x3
	buffer_load_b128 v[13:16], v17, s[16:19], 0 offen
	buffer_load_b128 v[9:12], v17, s[16:19], s12 offen
	;; [unrolled: 1-line block ×4, first 2 shown]
	s_mov_b32 s4, exec_lo
	s_waitcnt vmcnt(7)
	v_lshrrev_b32_e32 v18, 16, v20
	v_and_b32_e32 v19, 0xffff, v20
	v_and_b32_e32 v20, 0xffff, v21
	v_lshrrev_b32_e32 v21, 16, v21
	v_and_b32_e32 v24, 0xffff, v22
	v_cvt_f32_u32_e32 v18, v18
	v_cvt_f32_u32_e32 v19, v19
	;; [unrolled: 1-line block ×4, first 2 shown]
	v_lshrrev_b32_e32 v25, 16, v22
	v_mul_f32_e32 v50, v18, v18
	v_cvt_f32_u32_e32 v22, v24
	v_and_b32_e32 v26, 0xffff, v23
	v_lshrrev_b32_e32 v23, 16, v23
	v_cvt_f32_u32_e32 v24, v25
	v_fmac_f32_e32 v50, v19, v19
	s_waitcnt vmcnt(5)
	v_lshrrev_b32_e32 v27, 16, v30
	v_cvt_f32_u32_e32 v26, v26
	v_cvt_f32_u32_e32 v28, v23
	v_dual_fmac_f32 v50, v20, v20 :: v_dual_and_b32 v25, 0xffff, v30
	v_lshrrev_b32_e32 v30, 16, v31
	s_waitcnt vmcnt(4)
	v_lshrrev_b32_e32 v37, 16, v39
	v_and_b32_e32 v42, 0xffff, v41
	v_cvt_f32_u32_e32 v23, v25
	v_fmac_f32_e32 v50, v21, v21
	v_cvt_f32_u32_e32 v25, v27
	v_lshrrev_b32_e32 v43, 16, v45
	v_cvt_f32_u32_e32 v37, v37
	s_delay_alu instid0(VALU_DEP_4) | instskip(SKIP_3) | instid1(VALU_DEP_4)
	v_dual_fmac_f32 v50, v22, v22 :: v_dual_and_b32 v29, 0xffff, v31
	v_cvt_f32_u32_e32 v42, v42
	v_lshrrev_b32_e32 v51, 16, v48
	v_and_b32_e32 v35, 0xffff, v39
	v_cvt_f32_u32_e32 v27, v29
	v_fmac_f32_e32 v50, v24, v24
	v_and_b32_e32 v31, 0xffff, v32
	v_cvt_f32_u32_e32 v29, v30
	v_lshrrev_b32_e32 v39, 16, v40
	v_lshrrev_b32_e32 v32, 16, v32
	v_cvt_f32_u32_e32 v35, v35
	v_cvt_f32_u32_e32 v30, v31
	v_dual_fmac_f32 v50, v26, v26 :: v_dual_and_b32 v31, 0xffff, v33
	v_lshrrev_b32_e32 v33, 16, v33
	v_cvt_f32_u32_e32 v32, v32
	v_and_b32_e32 v49, 0xffff, v47
	s_delay_alu instid0(VALU_DEP_4) | instskip(SKIP_4) | instid1(VALU_DEP_4)
	v_cvt_f32_u32_e32 v34, v31
	v_dual_fmac_f32 v50, v28, v28 :: v_dual_and_b32 v31, 0xffff, v38
	v_cvt_f32_u32_e32 v36, v33
	v_lshrrev_b32_e32 v33, 16, v38
	v_and_b32_e32 v38, 0xffff, v40
	v_fmac_f32_e32 v50, v23, v23
	v_cvt_f32_u32_e32 v40, v39
	v_lshrrev_b32_e32 v39, 16, v41
	v_and_b32_e32 v41, 0xffff, v45
	s_delay_alu instid0(VALU_DEP_4) | instskip(SKIP_1) | instid1(VALU_DEP_4)
	v_dual_fmac_f32 v50, v25, v25 :: v_dual_and_b32 v45, 0xffff, v46
	v_lshrrev_b32_e32 v46, 16, v46
	v_cvt_f32_u32_e32 v44, v39
	s_delay_alu instid0(VALU_DEP_4)
	v_cvt_f32_u32_e32 v39, v41
	v_cvt_f32_u32_e32 v41, v43
	v_fmac_f32_e32 v50, v27, v27
	v_cvt_f32_u32_e32 v43, v45
	v_cvt_f32_u32_e32 v45, v46
	;; [unrolled: 1-line block ×4, first 2 shown]
	v_fmac_f32_e32 v50, v29, v29
	v_cvt_f32_u32_e32 v46, v49
	v_and_b32_e32 v49, 0xffff, v48
	v_cvt_f32_u32_e32 v38, v38
	v_lshrrev_b32_e32 v47, 16, v47
	v_fmac_f32_e32 v50, v30, v30
	s_delay_alu instid0(VALU_DEP_4) | instskip(SKIP_1) | instid1(VALU_DEP_4)
	v_cvt_f32_u32_e32 v48, v49
	v_cvt_f32_u32_e32 v49, v51
	;; [unrolled: 1-line block ×3, first 2 shown]
	s_delay_alu instid0(VALU_DEP_4) | instskip(NEXT) | instid1(VALU_DEP_1)
	v_fmac_f32_e32 v50, v32, v32
	v_fmac_f32_e32 v50, v34, v34
	s_delay_alu instid0(VALU_DEP_1) | instskip(NEXT) | instid1(VALU_DEP_1)
	v_fmac_f32_e32 v50, v36, v36
	v_fmac_f32_e32 v50, v31, v31
	s_delay_alu instid0(VALU_DEP_1) | instskip(NEXT) | instid1(VALU_DEP_1)
	;; [unrolled: 3-line block ×9, first 2 shown]
	v_fmac_f32_e32 v50, v49, v49
	v_mov_b32_dpp v51, v50 quad_perm:[1,0,3,2] row_mask:0xf bank_mask:0xf
	s_delay_alu instid0(VALU_DEP_1) | instskip(NEXT) | instid1(VALU_DEP_1)
	v_add_f32_e32 v50, v50, v51
	v_mov_b32_dpp v51, v50 quad_perm:[2,3,0,1] row_mask:0xf bank_mask:0xf
	s_delay_alu instid0(VALU_DEP_1) | instskip(NEXT) | instid1(VALU_DEP_1)
	v_add_f32_e32 v50, v50, v51
	v_mov_b32_dpp v51, v50 row_xmask:7 row_mask:0xf bank_mask:0xf
	s_delay_alu instid0(VALU_DEP_1) | instskip(NEXT) | instid1(VALU_DEP_1)
	v_add_f32_e32 v50, v50, v51
	v_mov_b32_dpp v51, v50 row_xmask:15 row_mask:0xf bank_mask:0xf
	v_cmpx_eq_u32_e32 31, v52
	s_cbranch_execz .LBB158_3
; %bb.2:
	s_delay_alu instid0(VALU_DEP_2) | instskip(SKIP_2) | instid1(VALU_DEP_2)
	v_add_f32_e32 v50, v50, v51
	s_mov_b32 s5, 0x76543210
	v_lshrrev_b32_e32 v51, 3, v0
	v_permlanex16_b32 v52, v50, s5, 0xfedcba98 op_sel:[1,1]
	s_delay_alu instid0(VALU_DEP_1)
	v_dual_add_f32 v50, v50, v52 :: v_dual_and_b32 v51, 0x7c, v51
	ds_store_b32 v51, v50
.LBB158_3:
	s_or_b32 exec_lo, exec_lo, s4
	v_and_b32_e32 v0, 7, v0
	s_waitcnt vmcnt(0) lgkmcnt(0)
	s_barrier
	buffer_gl0_inv
	v_cvt_f32_i32_e32 v51, s13
	v_lshlrev_b32_e32 v0, 2, v0
	v_lshrrev_b32_e32 v56, 16, v10
	v_lshrrev_b32_e32 v58, 16, v5
	;; [unrolled: 1-line block ×4, first 2 shown]
	ds_load_b32 v0, v0
	s_clause 0x1
	s_load_b64 s[4:5], s[0:1], 0x0
	s_load_b32 s0, s[0:1], 0x4c
	v_lshrrev_b32_e32 v60, 16, v7
	v_lshrrev_b32_e32 v61, 16, v8
	;; [unrolled: 1-line block ×6, first 2 shown]
	v_cvt_f32_u32_e32 v56, v56
	v_cvt_f32_u32_e32 v57, v57
	;; [unrolled: 1-line block ×10, first 2 shown]
	s_waitcnt lgkmcnt(0)
	v_mov_b32_dpp v50, v0 quad_perm:[1,0,3,2] row_mask:0xf bank_mask:0xf
	s_ashr_i32 s1, s0, 31
	s_mul_hi_u32 s8, s0, s2
	s_mul_i32 s1, s1, s2
	s_mul_i32 s0, s0, s2
	v_add_f32_e32 v0, v0, v50
	s_add_i32 s1, s8, s1
	s_delay_alu instid0(SALU_CYCLE_1) | instskip(NEXT) | instid1(SALU_CYCLE_1)
	s_lshl_b64 s[0:1], s[0:1], 1
	s_add_u32 s4, s4, s0
	s_delay_alu instid0(VALU_DEP_1) | instskip(SKIP_1) | instid1(SALU_CYCLE_1)
	v_mov_b32_dpp v50, v0 quad_perm:[2,3,0,1] row_mask:0xf bank_mask:0xf
	s_addc_u32 s0, s5, s1
	s_and_b32 s5, s0, 0xffff
	s_delay_alu instid0(VALU_DEP_1) | instskip(NEXT) | instid1(VALU_DEP_1)
	v_add_f32_e32 v0, v0, v50
	v_mov_b32_dpp v50, v0 row_xmask:7 row_mask:0xf bank_mask:0xf
	s_delay_alu instid0(VALU_DEP_1) | instskip(NEXT) | instid1(VALU_DEP_1)
	v_add_f32_e32 v0, v0, v50
	v_div_scale_f32 v50, null, v51, v51, v0
	v_div_scale_f32 v54, vcc_lo, v0, v51, v0
	s_delay_alu instid0(VALU_DEP_2) | instskip(SKIP_2) | instid1(VALU_DEP_1)
	v_rcp_f32_e32 v52, v50
	s_waitcnt_depctr 0xfff
	v_fma_f32 v53, -v50, v52, 1.0
	v_fmac_f32_e32 v52, v53, v52
	s_delay_alu instid0(VALU_DEP_1) | instskip(NEXT) | instid1(VALU_DEP_1)
	v_mul_f32_e32 v53, v54, v52
	v_fma_f32 v55, -v50, v53, v54
	s_delay_alu instid0(VALU_DEP_1) | instskip(SKIP_1) | instid1(VALU_DEP_2)
	v_fmac_f32_e32 v53, v55, v52
	v_lshrrev_b32_e32 v55, 16, v9
	v_fma_f32 v50, -v50, v53, v54
	v_lshrrev_b32_e32 v54, 16, v16
	s_delay_alu instid0(VALU_DEP_3) | instskip(NEXT) | instid1(VALU_DEP_3)
	v_cvt_f32_u32_e32 v55, v55
	v_div_fmas_f32 v50, v50, v52, v53
	v_lshrrev_b32_e32 v52, 16, v14
	v_lshrrev_b32_e32 v53, 16, v15
	v_and_b32_e32 v15, 0xffff, v15
	v_cvt_f32_u32_e32 v54, v54
	v_div_fixup_f32 v0, v50, v51, v0
	v_cvt_f32_u32_e32 v52, v52
	v_cvt_f32_u32_e32 v53, v53
	;; [unrolled: 1-line block ×3, first 2 shown]
	s_delay_alu instid0(VALU_DEP_4) | instskip(SKIP_2) | instid1(VALU_DEP_2)
	v_cvt_f64_f32_e32 v[50:51], v0
	v_lshrrev_b32_e32 v0, 16, v13
	v_and_b32_e32 v13, 0xffff, v13
	v_cvt_f32_u32_e32 v0, v0
	s_delay_alu instid0(VALU_DEP_2) | instskip(SKIP_1) | instid1(VALU_DEP_1)
	v_cvt_f32_u32_e32 v13, v13
	v_add_f64 v[50:51], v[50:51], s[10:11]
	v_cvt_f32_f64_e32 v50, v[50:51]
	v_lshrrev_b32_e32 v51, 16, v11
	s_delay_alu instid0(VALU_DEP_1) | instskip(NEXT) | instid1(VALU_DEP_3)
	v_cvt_f32_u32_e32 v51, v51
	v_mul_f32_e32 v66, 0x4b800000, v50
	v_cmp_gt_f32_e32 vcc_lo, 0x800000, v50
	s_delay_alu instid0(VALU_DEP_2) | instskip(NEXT) | instid1(VALU_DEP_1)
	v_dual_cndmask_b32 v50, v50, v66 :: v_dual_and_b32 v9, 0xffff, v9
	v_cvt_f32_u32_e32 v9, v9
	s_delay_alu instid0(VALU_DEP_2) | instskip(SKIP_2) | instid1(VALU_DEP_1)
	v_rsq_f32_e32 v50, v50
	s_waitcnt_depctr 0xfff
	v_mul_f32_e32 v66, 0x45800000, v50
	v_dual_cndmask_b32 v50, v50, v66 :: v_dual_and_b32 v11, 0xffff, v11
	v_and_b32_e32 v14, 0xffff, v14
	v_and_b32_e32 v10, 0xffff, v10
	;; [unrolled: 1-line block ×3, first 2 shown]
	s_delay_alu instid0(VALU_DEP_4)
	v_dual_mul_f32 v37, v50, v37 :: v_dual_and_b32 v6, 0xffff, v6
	v_dual_mul_f32 v27, v50, v27 :: v_dual_and_b32 v16, 0xffff, v16
	;; [unrolled: 1-line block ×9, first 2 shown]
	v_cvt_f32_u32_e32 v6, v6
	v_mul_f32_e32 v28, v50, v28
	v_cvt_f32_u32_e32 v5, v5
	v_mul_f32_e32 v21, v50, v21
	v_mul_f32_e32 v18, v50, v18
	;; [unrolled: 1-line block ×5, first 2 shown]
	v_cvt_f32_u32_e32 v14, v14
	v_mul_f32_e32 v25, v50, v25
	v_mul_f32_e32 v13, v19, v13
	v_cvt_f32_u32_e32 v10, v10
	v_cvt_f32_u32_e32 v16, v16
	;; [unrolled: 1-line block ×10, first 2 shown]
	v_dual_mul_f32 v36, v50, v36 :: v_dual_mul_f32 v9, v23, v9
	v_mul_f32_e32 v34, v50, v34
	v_mul_f32_e32 v32, v50, v32
	v_mul_f32_e32 v44, v50, v44
	v_mul_f32_e32 v49, v50, v49
	v_mul_f32_e32 v48, v50, v48
	v_mul_f32_e32 v47, v50, v47
	v_mul_f32_e32 v46, v50, v46
	v_dual_mul_f32 v45, v50, v45 :: v_dual_mul_f32 v14, v20, v14
	v_mul_f32_e32 v38, v50, v38
	v_mul_f32_e32 v43, v50, v43
	v_dual_mul_f32 v41, v50, v41 :: v_dual_mul_f32 v20, v28, v54
	v_mul_f32_e32 v40, v50, v40
	v_dual_mul_f32 v39, v50, v39 :: v_dual_mul_f32 v10, v27, v10
	v_dual_mul_f32 v19, v24, v53 :: v_dual_mul_f32 v0, v18, v0
	v_mul_f32_e32 v18, v21, v52
	v_mul_f32_e32 v21, v25, v55
	v_dual_mul_f32 v25, v31, v5 :: v_dual_mul_f32 v30, v50, v30
	v_mul_f32_e32 v23, v32, v51
	v_mul_f32_e32 v27, v35, v6
	v_dual_mul_f32 v42, v50, v42 :: v_dual_mul_f32 v31, v44, v61
	v_dual_mul_f32 v15, v22, v15 :: v_dual_mul_f32 v22, v29, v56
	v_mul_f32_e32 v16, v26, v16
	v_dual_mul_f32 v11, v30, v11 :: v_dual_mul_f32 v24, v36, v57
	v_mul_f32_e32 v12, v34, v12
	v_mul_f32_e32 v28, v37, v59
	;; [unrolled: 1-line block ×4, first 2 shown]
	v_dual_mul_f32 v34, v43, v2 :: v_dual_mul_f32 v35, v45, v63
	v_dual_mul_f32 v26, v33, v58 :: v_dual_mul_f32 v29, v38, v7
	;; [unrolled: 1-line block ×5, first 2 shown]
	v_perm_b32 v3, v20, v16, 0x7060302
	v_perm_b32 v2, v19, v15, 0x7060302
	;; [unrolled: 1-line block ×16, first 2 shown]
	buffer_store_b128 v[0:3], v17, s[4:7], 0 offen
	;;#ASMSTART
	s_nop 0
	;;#ASMEND
	buffer_store_b128 v[4:7], v17, s[4:7], s12 offen
	;;#ASMSTART
	s_nop 0
	;;#ASMEND
	;; [unrolled: 4-line block ×4, first 2 shown]
.LBB158_4:
	s_nop 0
	s_sendmsg sendmsg(MSG_DEALLOC_VGPRS)
	s_endpgm
	.section	.rodata,"a",@progbits
	.p2align	6, 0x0
	.amdhsa_kernel _ZN5aiter24add_rmsnorm_quant_kernelIttLi256ELi32ELb0ELb0ELb1ELi1EEEvPT0_PT_PfS4_S4_S4_diiiiiiib
		.amdhsa_group_segment_fixed_size 32
		.amdhsa_private_segment_fixed_size 0
		.amdhsa_kernarg_size 88
		.amdhsa_user_sgpr_count 15
		.amdhsa_user_sgpr_dispatch_ptr 0
		.amdhsa_user_sgpr_queue_ptr 0
		.amdhsa_user_sgpr_kernarg_segment_ptr 1
		.amdhsa_user_sgpr_dispatch_id 0
		.amdhsa_user_sgpr_private_segment_size 0
		.amdhsa_wavefront_size32 1
		.amdhsa_uses_dynamic_stack 0
		.amdhsa_enable_private_segment 0
		.amdhsa_system_sgpr_workgroup_id_x 1
		.amdhsa_system_sgpr_workgroup_id_y 0
		.amdhsa_system_sgpr_workgroup_id_z 0
		.amdhsa_system_sgpr_workgroup_info 0
		.amdhsa_system_vgpr_workitem_id 0
		.amdhsa_next_free_vgpr 67
		.amdhsa_next_free_sgpr 20
		.amdhsa_reserve_vcc 1
		.amdhsa_float_round_mode_32 0
		.amdhsa_float_round_mode_16_64 0
		.amdhsa_float_denorm_mode_32 3
		.amdhsa_float_denorm_mode_16_64 3
		.amdhsa_dx10_clamp 1
		.amdhsa_ieee_mode 1
		.amdhsa_fp16_overflow 0
		.amdhsa_workgroup_processor_mode 1
		.amdhsa_memory_ordered 1
		.amdhsa_forward_progress 0
		.amdhsa_shared_vgpr_count 0
		.amdhsa_exception_fp_ieee_invalid_op 0
		.amdhsa_exception_fp_denorm_src 0
		.amdhsa_exception_fp_ieee_div_zero 0
		.amdhsa_exception_fp_ieee_overflow 0
		.amdhsa_exception_fp_ieee_underflow 0
		.amdhsa_exception_fp_ieee_inexact 0
		.amdhsa_exception_int_div_zero 0
	.end_amdhsa_kernel
	.section	.text._ZN5aiter24add_rmsnorm_quant_kernelIttLi256ELi32ELb0ELb0ELb1ELi1EEEvPT0_PT_PfS4_S4_S4_diiiiiiib,"axG",@progbits,_ZN5aiter24add_rmsnorm_quant_kernelIttLi256ELi32ELb0ELb0ELb1ELi1EEEvPT0_PT_PfS4_S4_S4_diiiiiiib,comdat
.Lfunc_end158:
	.size	_ZN5aiter24add_rmsnorm_quant_kernelIttLi256ELi32ELb0ELb0ELb1ELi1EEEvPT0_PT_PfS4_S4_S4_diiiiiiib, .Lfunc_end158-_ZN5aiter24add_rmsnorm_quant_kernelIttLi256ELi32ELb0ELb0ELb1ELi1EEEvPT0_PT_PfS4_S4_S4_diiiiiiib
                                        ; -- End function
	.section	.AMDGPU.csdata,"",@progbits
; Kernel info:
; codeLenInByte = 2140
; NumSgprs: 22
; NumVgprs: 67
; ScratchSize: 0
; MemoryBound: 0
; FloatMode: 240
; IeeeMode: 1
; LDSByteSize: 32 bytes/workgroup (compile time only)
; SGPRBlocks: 2
; VGPRBlocks: 8
; NumSGPRsForWavesPerEU: 22
; NumVGPRsForWavesPerEU: 67
; Occupancy: 16
; WaveLimiterHint : 1
; COMPUTE_PGM_RSRC2:SCRATCH_EN: 0
; COMPUTE_PGM_RSRC2:USER_SGPR: 15
; COMPUTE_PGM_RSRC2:TRAP_HANDLER: 0
; COMPUTE_PGM_RSRC2:TGID_X_EN: 1
; COMPUTE_PGM_RSRC2:TGID_Y_EN: 0
; COMPUTE_PGM_RSRC2:TGID_Z_EN: 0
; COMPUTE_PGM_RSRC2:TIDIG_COMP_CNT: 0
	.section	.text._ZN5aiter24add_rmsnorm_quant_kernelIDF16_DF16_Li256ELi32ELb0ELb0ELb0ELi1EEEvPT0_PT_PfS4_S4_S4_diiiiiiib,"axG",@progbits,_ZN5aiter24add_rmsnorm_quant_kernelIDF16_DF16_Li256ELi32ELb0ELb0ELb0ELi1EEEvPT0_PT_PfS4_S4_S4_diiiiiiib,comdat
	.protected	_ZN5aiter24add_rmsnorm_quant_kernelIDF16_DF16_Li256ELi32ELb0ELb0ELb0ELi1EEEvPT0_PT_PfS4_S4_S4_diiiiiiib ; -- Begin function _ZN5aiter24add_rmsnorm_quant_kernelIDF16_DF16_Li256ELi32ELb0ELb0ELb0ELi1EEEvPT0_PT_PfS4_S4_S4_diiiiiiib
	.globl	_ZN5aiter24add_rmsnorm_quant_kernelIDF16_DF16_Li256ELi32ELb0ELb0ELb0ELi1EEEvPT0_PT_PfS4_S4_S4_diiiiiiib
	.p2align	8
	.type	_ZN5aiter24add_rmsnorm_quant_kernelIDF16_DF16_Li256ELi32ELb0ELb0ELb0ELi1EEEvPT0_PT_PfS4_S4_S4_diiiiiiib,@function
_ZN5aiter24add_rmsnorm_quant_kernelIDF16_DF16_Li256ELi32ELb0ELb0ELb0ELi1EEEvPT0_PT_PfS4_S4_S4_diiiiiiib: ; @_ZN5aiter24add_rmsnorm_quant_kernelIDF16_DF16_Li256ELi32ELb0ELb0ELb0ELi1EEEvPT0_PT_PfS4_S4_S4_diiiiiiib
; %bb.0:
	s_load_b128 s[8:11], s[0:1], 0x38
	s_mov_b32 s2, s15
	s_mov_b32 s3, 0
	s_waitcnt lgkmcnt(0)
	s_ashr_i32 s5, s8, 31
	s_mov_b32 s4, s8
	s_delay_alu instid0(SALU_CYCLE_1) | instskip(NEXT) | instid1(VALU_DEP_1)
	v_cmp_ge_i64_e64 s3, s[2:3], s[4:5]
	s_and_b32 vcc_lo, exec_lo, s3
	s_cbranch_vccnz .LBB159_4
; %bb.1:
	s_clause 0x1
	s_load_b64 s[4:5], s[0:1], 0x18
	s_load_b128 s[12:15], s[0:1], 0x28
	s_ashr_i32 s3, s10, 31
	s_mul_hi_u32 s7, s10, s2
	s_mul_i32 s3, s3, s2
	s_mul_i32 s6, s10, s2
	s_add_i32 s7, s7, s3
	v_lshlrev_b32_e32 v17, 6, v0
	s_lshl_b64 s[6:7], s[6:7], 1
	v_and_b32_e32 v52, 31, v0
	s_waitcnt lgkmcnt(0)
	s_add_u32 s4, s4, s6
	s_addc_u32 s3, s5, s7
	s_add_i32 s5, s9, 1
	s_mov_b32 s7, -1
	s_lshr_b32 s6, s5, 31
	s_mov_b32 s19, s7
	s_add_i32 s5, s5, s6
	s_mov_b32 s16, s12
	s_lshl_b32 s6, s5, 1
	s_and_b32 s5, s3, 0xffff
	s_and_b32 s6, s6, -4
	s_clause 0x3
	buffer_load_b128 v[19:22], v17, s[4:7], 0 offen
	buffer_load_b128 v[23:26], v17, s[4:7], 16 offen
	;; [unrolled: 1-line block ×4, first 2 shown]
	s_and_b32 s17, s13, 0xffff
	s_mov_b32 s18, s6
	s_mov_b32 s3, exec_lo
	s_waitcnt vmcnt(3)
	v_lshrrev_b32_e32 v18, 16, v19
	v_cvt_f32_f16_e32 v42, v19
	v_cvt_f32_f16_e32 v41, v21
	v_lshrrev_b32_e32 v36, 16, v21
	v_cvt_f32_f16_e32 v38, v22
	v_cvt_f32_f16_e32 v18, v18
	v_lshrrev_b32_e32 v37, 16, v22
	s_waitcnt vmcnt(0)
	v_lshrrev_b32_e32 v54, 16, v43
	v_cvt_f32_f16_e32 v40, v20
	v_lshrrev_b32_e32 v35, 16, v20
	v_mul_f32_e32 v31, v18, v18
	v_lshrrev_b32_e32 v55, 16, v44
	v_lshrrev_b32_e32 v50, 16, v24
	;; [unrolled: 1-line block ×3, first 2 shown]
	v_cvt_f32_f16_e32 v34, v23
	v_fma_mix_f32 v31, v19, v19, v31 op_sel_hi:[1,1,0]
	v_lshrrev_b32_e32 v39, 16, v23
	v_cvt_f32_f16_e32 v32, v24
	v_cvt_f32_f16_e32 v33, v25
	v_lshrrev_b32_e32 v51, 16, v25
	v_fma_mix_f32 v31, v20, v20, v31 op_sel_hi:[1,1,0]
	v_lshrrev_b32_e32 v53, 16, v26
	v_lshrrev_b32_e32 v57, 16, v46
	v_cvt_f32_f16_e32 v49, v35
	v_cvt_f32_f16_e32 v48, v36
	v_fma_mix_f32 v31, v20, v20, v31 op_sel:[1,1,0] op_sel_hi:[1,1,0]
	v_cvt_f32_f16_e32 v20, v44
	v_cvt_f32_f16_e32 v47, v37
	s_delay_alu instid0(VALU_DEP_3) | instskip(NEXT) | instid1(VALU_DEP_1)
	v_fma_mix_f32 v31, v21, v21, v31 op_sel_hi:[1,1,0]
	v_fma_mix_f32 v31, v21, v21, v31 op_sel:[1,1,0] op_sel_hi:[1,1,0]
	s_delay_alu instid0(VALU_DEP_1) | instskip(NEXT) | instid1(VALU_DEP_1)
	v_fma_mix_f32 v31, v22, v22, v31 op_sel_hi:[1,1,0]
	v_fma_mix_f32 v31, v22, v22, v31 op_sel:[1,1,0] op_sel_hi:[1,1,0]
	v_cvt_f32_f16_e32 v22, v43
	s_delay_alu instid0(VALU_DEP_2) | instskip(NEXT) | instid1(VALU_DEP_1)
	v_fma_mix_f32 v31, v23, v23, v31 op_sel_hi:[1,1,0]
	v_fma_mix_f32 v31, v23, v23, v31 op_sel:[1,1,0] op_sel_hi:[1,1,0]
	v_cvt_f32_f16_e32 v23, v30
	s_delay_alu instid0(VALU_DEP_2) | instskip(NEXT) | instid1(VALU_DEP_1)
	;; [unrolled: 4-line block ×4, first 2 shown]
	v_fma_mix_f32 v31, v26, v26, v31 op_sel_hi:[1,1,0]
	v_fma_mix_f32 v31, v26, v26, v31 op_sel:[1,1,0] op_sel_hi:[1,1,0]
	s_delay_alu instid0(VALU_DEP_1) | instskip(NEXT) | instid1(VALU_DEP_1)
	v_fma_mix_f32 v31, v27, v27, v31 op_sel_hi:[1,1,0]
	v_fma_mix_f32 v31, v27, v27, v31 op_sel:[1,1,0] op_sel_hi:[1,1,0]
	s_delay_alu instid0(VALU_DEP_1) | instskip(NEXT) | instid1(VALU_DEP_1)
	v_fma_mix_f32 v31, v28, v28, v31 op_sel_hi:[1,1,0]
	v_fma_mix_f32 v31, v28, v28, v31 op_sel:[1,1,0] op_sel_hi:[1,1,0]
	v_lshrrev_b32_e32 v28, 16, v28
	s_delay_alu instid0(VALU_DEP_2) | instskip(NEXT) | instid1(VALU_DEP_2)
	v_fma_mix_f32 v31, v29, v29, v31 op_sel_hi:[1,1,0]
	v_cvt_f32_f16_e32 v37, v28
	v_cvt_f32_f16_e32 v28, v56
	s_delay_alu instid0(VALU_DEP_3) | instskip(SKIP_1) | instid1(VALU_DEP_2)
	v_fma_mix_f32 v31, v29, v29, v31 op_sel:[1,1,0] op_sel_hi:[1,1,0]
	v_lshrrev_b32_e32 v29, 16, v29
	v_fma_mix_f32 v31, v30, v30, v31 op_sel_hi:[1,1,0]
	s_delay_alu instid0(VALU_DEP_2) | instskip(SKIP_1) | instid1(VALU_DEP_3)
	v_cvt_f32_f16_e32 v36, v29
	v_cvt_f32_f16_e32 v29, v55
	v_fma_mix_f32 v31, v30, v30, v31 op_sel:[1,1,0] op_sel_hi:[1,1,0]
	v_lshrrev_b32_e32 v30, 16, v30
	s_delay_alu instid0(VALU_DEP_2) | instskip(NEXT) | instid1(VALU_DEP_2)
	v_fma_mix_f32 v31, v43, v43, v31 op_sel_hi:[1,1,0]
	v_cvt_f32_f16_e32 v35, v30
	v_cvt_f32_f16_e32 v30, v54
	s_delay_alu instid0(VALU_DEP_3) | instskip(NEXT) | instid1(VALU_DEP_1)
	v_fma_mix_f32 v31, v43, v43, v31 op_sel:[1,1,0] op_sel_hi:[1,1,0]
	v_fma_mix_f32 v31, v44, v44, v31 op_sel_hi:[1,1,0]
	s_delay_alu instid0(VALU_DEP_1) | instskip(SKIP_3) | instid1(VALU_DEP_4)
	v_fma_mix_f32 v19, v44, v44, v31 op_sel:[1,1,0] op_sel_hi:[1,1,0]
	v_cvt_f32_f16_e32 v31, v26
	v_cvt_f32_f16_e32 v26, v27
	v_lshrrev_b32_e32 v27, 16, v27
	v_fma_mix_f32 v19, v45, v45, v19 op_sel_hi:[1,1,0]
	s_delay_alu instid0(VALU_DEP_1) | instskip(NEXT) | instid1(VALU_DEP_1)
	v_fma_mix_f32 v19, v45, v45, v19 op_sel:[1,1,0] op_sel_hi:[1,1,0]
	v_fma_mix_f32 v19, v46, v46, v19 op_sel_hi:[1,1,0]
	s_delay_alu instid0(VALU_DEP_1) | instskip(NEXT) | instid1(VALU_DEP_1)
	v_fma_mix_f32 v19, v46, v46, v19 op_sel:[1,1,0] op_sel_hi:[1,1,0]
	v_mov_b32_dpp v21, v19 quad_perm:[1,0,3,2] row_mask:0xf bank_mask:0xf
	s_delay_alu instid0(VALU_DEP_1)
	v_add_f32_e32 v43, v19, v21
	v_cvt_f32_f16_e32 v21, v45
	v_cvt_f32_f16_e32 v45, v50
	;; [unrolled: 1-line block ×4, first 2 shown]
	v_mov_b32_dpp v44, v43 quad_perm:[2,3,0,1] row_mask:0xf bank_mask:0xf
	v_cvt_f32_f16_e32 v39, v27
	v_cvt_f32_f16_e32 v27, v57
	s_delay_alu instid0(VALU_DEP_3) | instskip(SKIP_2) | instid1(VALU_DEP_3)
	v_add_f32_e32 v58, v43, v44
	v_cvt_f32_f16_e32 v44, v51
	v_cvt_f32_f16_e32 v43, v53
	v_mov_b32_dpp v50, v58 row_xmask:7 row_mask:0xf bank_mask:0xf
	s_delay_alu instid0(VALU_DEP_1)
	v_add_f32_e32 v50, v58, v50
	s_clause 0x3
	buffer_load_b128 v[13:16], v17, s[16:19], 0 offen
	buffer_load_b128 v[9:12], v17, s[16:19], 16 offen
	;; [unrolled: 1-line block ×4, first 2 shown]
	v_mov_b32_dpp v51, v50 row_xmask:15 row_mask:0xf bank_mask:0xf
	v_cmpx_eq_u32_e32 31, v52
	s_cbranch_execz .LBB159_3
; %bb.2:
	s_delay_alu instid0(VALU_DEP_2) | instskip(SKIP_2) | instid1(VALU_DEP_2)
	v_add_f32_e32 v50, v50, v51
	s_mov_b32 s4, 0x76543210
	v_lshrrev_b32_e32 v51, 3, v0
	v_permlanex16_b32 v52, v50, s4, 0xfedcba98 op_sel:[1,1]
	s_delay_alu instid0(VALU_DEP_1)
	v_dual_add_f32 v50, v50, v52 :: v_dual_and_b32 v51, 0x7c, v51
	ds_store_b32 v51, v50
.LBB159_3:
	s_or_b32 exec_lo, exec_lo, s3
	v_and_b32_e32 v0, 7, v0
	s_waitcnt vmcnt(0) lgkmcnt(0)
	s_barrier
	buffer_gl0_inv
	v_cvt_f32_i32_e32 v51, s9
	v_lshlrev_b32_e32 v0, 2, v0
	s_clause 0x1
	s_load_b32 s3, s[0:1], 0x4c
	s_load_b64 s[0:1], s[0:1], 0x0
	ds_load_b32 v0, v0
	s_waitcnt lgkmcnt(0)
	s_ashr_i32 s4, s3, 31
	s_mul_hi_u32 s5, s3, s2
	s_mul_i32 s4, s4, s2
	s_mul_i32 s2, s3, s2
	v_mov_b32_dpp v50, v0 quad_perm:[1,0,3,2] row_mask:0xf bank_mask:0xf
	s_add_i32 s3, s5, s4
	s_delay_alu instid0(SALU_CYCLE_1) | instskip(NEXT) | instid1(SALU_CYCLE_1)
	s_lshl_b64 s[2:3], s[2:3], 1
	s_add_u32 s4, s0, s2
	s_delay_alu instid0(VALU_DEP_1) | instskip(SKIP_1) | instid1(SALU_CYCLE_1)
	v_add_f32_e32 v0, v0, v50
	s_addc_u32 s0, s1, s3
	s_and_b32 s5, s0, 0xffff
	s_delay_alu instid0(VALU_DEP_1) | instskip(NEXT) | instid1(VALU_DEP_1)
	v_mov_b32_dpp v50, v0 quad_perm:[2,3,0,1] row_mask:0xf bank_mask:0xf
	v_add_f32_e32 v0, v0, v50
	s_delay_alu instid0(VALU_DEP_1) | instskip(NEXT) | instid1(VALU_DEP_1)
	v_mov_b32_dpp v50, v0 row_xmask:7 row_mask:0xf bank_mask:0xf
	v_add_f32_e32 v0, v0, v50
	s_delay_alu instid0(VALU_DEP_1) | instskip(SKIP_1) | instid1(VALU_DEP_2)
	v_div_scale_f32 v50, null, v51, v51, v0
	v_div_scale_f32 v54, vcc_lo, v0, v51, v0
	v_rcp_f32_e32 v52, v50
	s_waitcnt_depctr 0xfff
	v_fma_f32 v53, -v50, v52, 1.0
	s_delay_alu instid0(VALU_DEP_1) | instskip(NEXT) | instid1(VALU_DEP_1)
	v_fmac_f32_e32 v52, v53, v52
	v_mul_f32_e32 v53, v54, v52
	s_delay_alu instid0(VALU_DEP_1) | instskip(NEXT) | instid1(VALU_DEP_1)
	v_fma_f32 v55, -v50, v53, v54
	v_fmac_f32_e32 v53, v55, v52
	s_delay_alu instid0(VALU_DEP_1) | instskip(NEXT) | instid1(VALU_DEP_1)
	v_fma_f32 v50, -v50, v53, v54
	v_div_fmas_f32 v50, v50, v52, v53
	s_delay_alu instid0(VALU_DEP_1) | instskip(NEXT) | instid1(VALU_DEP_1)
	v_div_fixup_f32 v0, v50, v51, v0
	v_cvt_f64_f32_e32 v[50:51], v0
	s_delay_alu instid0(VALU_DEP_1) | instskip(NEXT) | instid1(VALU_DEP_1)
	v_add_f64 v[50:51], v[50:51], s[14:15]
	v_cvt_f32_f64_e32 v0, v[50:51]
	s_delay_alu instid0(VALU_DEP_1) | instskip(SKIP_1) | instid1(VALU_DEP_2)
	v_mul_f32_e32 v50, 0x4b800000, v0
	v_cmp_gt_f32_e32 vcc_lo, 0x800000, v0
	v_cndmask_b32_e32 v0, v0, v50, vcc_lo
	s_delay_alu instid0(VALU_DEP_1) | instskip(SKIP_2) | instid1(VALU_DEP_1)
	v_rsq_f32_e32 v0, v0
	s_waitcnt_depctr 0xfff
	v_mul_f32_e32 v50, 0x45800000, v0
	v_cndmask_b32_e32 v0, v0, v50, vcc_lo
	s_delay_alu instid0(VALU_DEP_1)
	v_mul_f32_e32 v45, v0, v45
	v_mul_f32_e32 v50, v0, v18
	;; [unrolled: 1-line block ×32, first 2 shown]
	v_fma_mixlo_f16 v18, v18, v13, 0 op_sel_hi:[0,1,0]
	v_fma_mixlo_f16 v19, v40, v14, 0 op_sel_hi:[0,1,0]
	;; [unrolled: 1-line block ×16, first 2 shown]
	v_fma_mixhi_f16 v21, v47, v16, 0 op_sel:[0,1,0] op_sel_hi:[0,1,0]
	v_fma_mixhi_f16 v20, v48, v15, 0 op_sel:[0,1,0] op_sel_hi:[0,1,0]
	;; [unrolled: 1-line block ×16, first 2 shown]
	buffer_store_b128 v[18:21], v17, s[4:7], 0 offen
	;;#ASMSTART
	s_nop 0
	;;#ASMEND
	buffer_store_b128 v[22:25], v17, s[4:7], 16 offen
	;;#ASMSTART
	s_nop 0
	;;#ASMEND
	;; [unrolled: 4-line block ×4, first 2 shown]
.LBB159_4:
	s_nop 0
	s_sendmsg sendmsg(MSG_DEALLOC_VGPRS)
	s_endpgm
	.section	.rodata,"a",@progbits
	.p2align	6, 0x0
	.amdhsa_kernel _ZN5aiter24add_rmsnorm_quant_kernelIDF16_DF16_Li256ELi32ELb0ELb0ELb0ELi1EEEvPT0_PT_PfS4_S4_S4_diiiiiiib
		.amdhsa_group_segment_fixed_size 32
		.amdhsa_private_segment_fixed_size 0
		.amdhsa_kernarg_size 88
		.amdhsa_user_sgpr_count 15
		.amdhsa_user_sgpr_dispatch_ptr 0
		.amdhsa_user_sgpr_queue_ptr 0
		.amdhsa_user_sgpr_kernarg_segment_ptr 1
		.amdhsa_user_sgpr_dispatch_id 0
		.amdhsa_user_sgpr_private_segment_size 0
		.amdhsa_wavefront_size32 1
		.amdhsa_uses_dynamic_stack 0
		.amdhsa_enable_private_segment 0
		.amdhsa_system_sgpr_workgroup_id_x 1
		.amdhsa_system_sgpr_workgroup_id_y 0
		.amdhsa_system_sgpr_workgroup_id_z 0
		.amdhsa_system_sgpr_workgroup_info 0
		.amdhsa_system_vgpr_workitem_id 0
		.amdhsa_next_free_vgpr 59
		.amdhsa_next_free_sgpr 20
		.amdhsa_reserve_vcc 1
		.amdhsa_float_round_mode_32 0
		.amdhsa_float_round_mode_16_64 0
		.amdhsa_float_denorm_mode_32 3
		.amdhsa_float_denorm_mode_16_64 3
		.amdhsa_dx10_clamp 1
		.amdhsa_ieee_mode 1
		.amdhsa_fp16_overflow 0
		.amdhsa_workgroup_processor_mode 1
		.amdhsa_memory_ordered 1
		.amdhsa_forward_progress 0
		.amdhsa_shared_vgpr_count 0
		.amdhsa_exception_fp_ieee_invalid_op 0
		.amdhsa_exception_fp_denorm_src 0
		.amdhsa_exception_fp_ieee_div_zero 0
		.amdhsa_exception_fp_ieee_overflow 0
		.amdhsa_exception_fp_ieee_underflow 0
		.amdhsa_exception_fp_ieee_inexact 0
		.amdhsa_exception_int_div_zero 0
	.end_amdhsa_kernel
	.section	.text._ZN5aiter24add_rmsnorm_quant_kernelIDF16_DF16_Li256ELi32ELb0ELb0ELb0ELi1EEEvPT0_PT_PfS4_S4_S4_diiiiiiib,"axG",@progbits,_ZN5aiter24add_rmsnorm_quant_kernelIDF16_DF16_Li256ELi32ELb0ELb0ELb0ELi1EEEvPT0_PT_PfS4_S4_S4_diiiiiiib,comdat
.Lfunc_end159:
	.size	_ZN5aiter24add_rmsnorm_quant_kernelIDF16_DF16_Li256ELi32ELb0ELb0ELb0ELi1EEEvPT0_PT_PfS4_S4_S4_diiiiiiib, .Lfunc_end159-_ZN5aiter24add_rmsnorm_quant_kernelIDF16_DF16_Li256ELi32ELb0ELb0ELb0ELi1EEEvPT0_PT_PfS4_S4_S4_diiiiiiib
                                        ; -- End function
	.section	.AMDGPU.csdata,"",@progbits
; Kernel info:
; codeLenInByte = 1708
; NumSgprs: 22
; NumVgprs: 59
; ScratchSize: 0
; MemoryBound: 0
; FloatMode: 240
; IeeeMode: 1
; LDSByteSize: 32 bytes/workgroup (compile time only)
; SGPRBlocks: 2
; VGPRBlocks: 7
; NumSGPRsForWavesPerEU: 22
; NumVGPRsForWavesPerEU: 59
; Occupancy: 16
; WaveLimiterHint : 1
; COMPUTE_PGM_RSRC2:SCRATCH_EN: 0
; COMPUTE_PGM_RSRC2:USER_SGPR: 15
; COMPUTE_PGM_RSRC2:TRAP_HANDLER: 0
; COMPUTE_PGM_RSRC2:TGID_X_EN: 1
; COMPUTE_PGM_RSRC2:TGID_Y_EN: 0
; COMPUTE_PGM_RSRC2:TGID_Z_EN: 0
; COMPUTE_PGM_RSRC2:TIDIG_COMP_CNT: 0
	.section	.text._ZN5aiter24add_rmsnorm_quant_kernelIttLi256ELi32ELb0ELb0ELb0ELi1EEEvPT0_PT_PfS4_S4_S4_diiiiiiib,"axG",@progbits,_ZN5aiter24add_rmsnorm_quant_kernelIttLi256ELi32ELb0ELb0ELb0ELi1EEEvPT0_PT_PfS4_S4_S4_diiiiiiib,comdat
	.protected	_ZN5aiter24add_rmsnorm_quant_kernelIttLi256ELi32ELb0ELb0ELb0ELi1EEEvPT0_PT_PfS4_S4_S4_diiiiiiib ; -- Begin function _ZN5aiter24add_rmsnorm_quant_kernelIttLi256ELi32ELb0ELb0ELb0ELi1EEEvPT0_PT_PfS4_S4_S4_diiiiiiib
	.globl	_ZN5aiter24add_rmsnorm_quant_kernelIttLi256ELi32ELb0ELb0ELb0ELi1EEEvPT0_PT_PfS4_S4_S4_diiiiiiib
	.p2align	8
	.type	_ZN5aiter24add_rmsnorm_quant_kernelIttLi256ELi32ELb0ELb0ELb0ELi1EEEvPT0_PT_PfS4_S4_S4_diiiiiiib,@function
_ZN5aiter24add_rmsnorm_quant_kernelIttLi256ELi32ELb0ELb0ELb0ELi1EEEvPT0_PT_PfS4_S4_S4_diiiiiiib: ; @_ZN5aiter24add_rmsnorm_quant_kernelIttLi256ELi32ELb0ELb0ELb0ELi1EEEvPT0_PT_PfS4_S4_S4_diiiiiiib
; %bb.0:
	s_load_b128 s[8:11], s[0:1], 0x38
	s_mov_b32 s2, s15
	s_mov_b32 s3, 0
	s_waitcnt lgkmcnt(0)
	s_ashr_i32 s5, s8, 31
	s_mov_b32 s4, s8
	s_delay_alu instid0(SALU_CYCLE_1) | instskip(NEXT) | instid1(VALU_DEP_1)
	v_cmp_ge_i64_e64 s3, s[2:3], s[4:5]
	s_and_b32 vcc_lo, exec_lo, s3
	s_cbranch_vccnz .LBB160_4
; %bb.1:
	s_clause 0x1
	s_load_b64 s[4:5], s[0:1], 0x18
	s_load_b128 s[12:15], s[0:1], 0x28
	s_ashr_i32 s3, s10, 31
	s_mul_hi_u32 s7, s10, s2
	s_mul_i32 s3, s3, s2
	s_mul_i32 s6, s10, s2
	s_add_i32 s7, s7, s3
	v_lshlrev_b32_e32 v17, 6, v0
	s_lshl_b64 s[6:7], s[6:7], 1
	v_and_b32_e32 v52, 31, v0
	s_waitcnt lgkmcnt(0)
	s_add_u32 s4, s4, s6
	s_addc_u32 s3, s5, s7
	s_add_i32 s5, s9, 1
	s_mov_b32 s7, -1
	s_lshr_b32 s6, s5, 31
	s_mov_b32 s19, s7
	s_add_i32 s5, s5, s6
	s_mov_b32 s16, s12
	s_lshl_b32 s6, s5, 1
	s_and_b32 s5, s3, 0xffff
	s_and_b32 s6, s6, -4
	s_clause 0x3
	buffer_load_b128 v[20:23], v17, s[4:7], 0 offen
	buffer_load_b128 v[30:33], v17, s[4:7], 16 offen
	;; [unrolled: 1-line block ×4, first 2 shown]
	s_and_b32 s17, s13, 0xffff
	s_mov_b32 s18, s6
	s_mov_b32 s3, exec_lo
	s_waitcnt vmcnt(3)
	v_lshrrev_b32_e32 v18, 16, v20
	v_and_b32_e32 v19, 0xffff, v20
	v_and_b32_e32 v20, 0xffff, v21
	v_lshrrev_b32_e32 v21, 16, v21
	v_and_b32_e32 v24, 0xffff, v22
	v_cvt_f32_u32_e32 v18, v18
	v_cvt_f32_u32_e32 v19, v19
	;; [unrolled: 1-line block ×3, first 2 shown]
	v_lshrrev_b32_e32 v25, 16, v22
	v_cvt_f32_u32_e32 v21, v21
	v_mul_f32_e32 v50, v18, v18
	s_clause 0x3
	buffer_load_b128 v[13:16], v17, s[16:19], 0 offen
	buffer_load_b128 v[9:12], v17, s[16:19], 16 offen
	;; [unrolled: 1-line block ×4, first 2 shown]
	v_cvt_f32_u32_e32 v22, v24
	v_cvt_f32_u32_e32 v24, v25
	s_waitcnt vmcnt(6)
	v_dual_fmac_f32 v50, v19, v19 :: v_dual_and_b32 v25, 0xffff, v30
	v_and_b32_e32 v26, 0xffff, v23
	v_lshrrev_b32_e32 v23, 16, v23
	v_lshrrev_b32_e32 v27, 16, v30
	s_delay_alu instid0(VALU_DEP_4) | instskip(NEXT) | instid1(VALU_DEP_4)
	v_dual_fmac_f32 v50, v20, v20 :: v_dual_and_b32 v29, 0xffff, v31
	v_cvt_f32_u32_e32 v26, v26
	v_lshrrev_b32_e32 v30, 16, v31
	v_cvt_f32_u32_e32 v28, v23
	v_cvt_f32_u32_e32 v23, v25
	v_fmac_f32_e32 v50, v21, v21
	v_cvt_f32_u32_e32 v25, v27
	v_cvt_f32_u32_e32 v27, v29
	;; [unrolled: 1-line block ×3, first 2 shown]
	s_delay_alu instid0(VALU_DEP_4)
	v_dual_fmac_f32 v50, v22, v22 :: v_dual_and_b32 v31, 0xffff, v32
	s_waitcnt vmcnt(5)
	v_lshrrev_b32_e32 v37, 16, v39
	v_and_b32_e32 v42, 0xffff, v41
	s_waitcnt vmcnt(4)
	v_lshrrev_b32_e32 v43, 16, v45
	v_cvt_f32_u32_e32 v30, v31
	v_dual_fmac_f32 v50, v24, v24 :: v_dual_and_b32 v31, 0xffff, v33
	v_lshrrev_b32_e32 v33, 16, v33
	v_lshrrev_b32_e32 v32, 16, v32
	s_delay_alu instid0(VALU_DEP_3) | instskip(NEXT) | instid1(VALU_DEP_4)
	v_dual_fmac_f32 v50, v26, v26 :: v_dual_and_b32 v35, 0xffff, v39
	v_cvt_f32_u32_e32 v34, v31
	v_lshrrev_b32_e32 v39, 16, v40
	v_cvt_f32_u32_e32 v36, v33
	s_delay_alu instid0(VALU_DEP_4)
	v_dual_fmac_f32 v50, v28, v28 :: v_dual_and_b32 v31, 0xffff, v38
	v_lshrrev_b32_e32 v33, 16, v38
	v_and_b32_e32 v38, 0xffff, v40
	v_cvt_f32_u32_e32 v40, v39
	v_lshrrev_b32_e32 v39, 16, v41
	v_dual_fmac_f32 v50, v23, v23 :: v_dual_and_b32 v41, 0xffff, v45
	v_cvt_f32_u32_e32 v32, v32
	v_cvt_f32_u32_e32 v31, v31
	s_delay_alu instid0(VALU_DEP_3)
	v_dual_fmac_f32 v50, v25, v25 :: v_dual_and_b32 v45, 0xffff, v46
	v_lshrrev_b32_e32 v46, 16, v46
	v_cvt_f32_u32_e32 v44, v39
	v_cvt_f32_u32_e32 v39, v41
	;; [unrolled: 1-line block ×3, first 2 shown]
	v_fmac_f32_e32 v50, v27, v27
	v_cvt_f32_u32_e32 v43, v45
	v_cvt_f32_u32_e32 v45, v46
	v_and_b32_e32 v49, 0xffff, v47
	v_cvt_f32_u32_e32 v33, v33
	v_cvt_f32_u32_e32 v35, v35
	;; [unrolled: 1-line block ×5, first 2 shown]
	v_dual_fmac_f32 v50, v29, v29 :: v_dual_and_b32 v49, 0xffff, v48
	v_cvt_f32_u32_e32 v42, v42
	v_lshrrev_b32_e32 v47, 16, v47
	v_lshrrev_b32_e32 v51, 16, v48
	s_delay_alu instid0(VALU_DEP_4) | instskip(SKIP_1) | instid1(VALU_DEP_4)
	v_cvt_f32_u32_e32 v48, v49
	v_fmac_f32_e32 v50, v30, v30
	v_cvt_f32_u32_e32 v47, v47
	s_delay_alu instid0(VALU_DEP_4) | instskip(NEXT) | instid1(VALU_DEP_3)
	v_cvt_f32_u32_e32 v49, v51
	v_fmac_f32_e32 v50, v32, v32
	s_delay_alu instid0(VALU_DEP_1) | instskip(NEXT) | instid1(VALU_DEP_1)
	v_fmac_f32_e32 v50, v34, v34
	v_fmac_f32_e32 v50, v36, v36
	s_delay_alu instid0(VALU_DEP_1) | instskip(NEXT) | instid1(VALU_DEP_1)
	v_fmac_f32_e32 v50, v31, v31
	;; [unrolled: 3-line block ×9, first 2 shown]
	v_fmac_f32_e32 v50, v49, v49
	s_delay_alu instid0(VALU_DEP_1) | instskip(NEXT) | instid1(VALU_DEP_1)
	v_mov_b32_dpp v51, v50 quad_perm:[1,0,3,2] row_mask:0xf bank_mask:0xf
	v_add_f32_e32 v50, v50, v51
	s_delay_alu instid0(VALU_DEP_1) | instskip(NEXT) | instid1(VALU_DEP_1)
	v_mov_b32_dpp v51, v50 quad_perm:[2,3,0,1] row_mask:0xf bank_mask:0xf
	v_add_f32_e32 v50, v50, v51
	s_delay_alu instid0(VALU_DEP_1) | instskip(NEXT) | instid1(VALU_DEP_1)
	v_mov_b32_dpp v51, v50 row_xmask:7 row_mask:0xf bank_mask:0xf
	v_add_f32_e32 v50, v50, v51
	s_delay_alu instid0(VALU_DEP_1)
	v_mov_b32_dpp v51, v50 row_xmask:15 row_mask:0xf bank_mask:0xf
	v_cmpx_eq_u32_e32 31, v52
	s_cbranch_execz .LBB160_3
; %bb.2:
	s_delay_alu instid0(VALU_DEP_2) | instskip(SKIP_2) | instid1(VALU_DEP_2)
	v_add_f32_e32 v50, v50, v51
	s_mov_b32 s4, 0x76543210
	v_lshrrev_b32_e32 v51, 3, v0
	v_permlanex16_b32 v52, v50, s4, 0xfedcba98 op_sel:[1,1]
	s_delay_alu instid0(VALU_DEP_1)
	v_dual_add_f32 v50, v50, v52 :: v_dual_and_b32 v51, 0x7c, v51
	ds_store_b32 v51, v50
.LBB160_3:
	s_or_b32 exec_lo, exec_lo, s3
	v_and_b32_e32 v0, 7, v0
	s_waitcnt vmcnt(0) lgkmcnt(0)
	s_barrier
	buffer_gl0_inv
	v_cvt_f32_i32_e32 v51, s9
	v_lshlrev_b32_e32 v0, 2, v0
	v_lshrrev_b32_e32 v56, 16, v10
	v_lshrrev_b32_e32 v58, 16, v5
	;; [unrolled: 1-line block ×4, first 2 shown]
	ds_load_b32 v0, v0
	s_clause 0x1
	s_load_b64 s[4:5], s[0:1], 0x0
	s_load_b32 s0, s[0:1], 0x4c
	v_lshrrev_b32_e32 v60, 16, v7
	v_lshrrev_b32_e32 v61, 16, v8
	;; [unrolled: 1-line block ×6, first 2 shown]
	v_cvt_f32_u32_e32 v56, v56
	v_cvt_f32_u32_e32 v57, v57
	v_cvt_f32_u32_e32 v58, v58
	v_cvt_f32_u32_e32 v59, v59
	v_cvt_f32_u32_e32 v60, v60
	v_cvt_f32_u32_e32 v61, v61
	v_cvt_f32_u32_e32 v62, v62
	v_cvt_f32_u32_e32 v63, v63
	v_cvt_f32_u32_e32 v64, v64
	v_cvt_f32_u32_e32 v65, v65
	s_waitcnt lgkmcnt(0)
	v_mov_b32_dpp v50, v0 quad_perm:[1,0,3,2] row_mask:0xf bank_mask:0xf
	s_ashr_i32 s1, s0, 31
	s_mul_hi_u32 s3, s0, s2
	s_mul_i32 s1, s1, s2
	s_mul_i32 s0, s0, s2
	v_add_f32_e32 v0, v0, v50
	s_add_i32 s1, s3, s1
	s_delay_alu instid0(SALU_CYCLE_1) | instskip(NEXT) | instid1(SALU_CYCLE_1)
	s_lshl_b64 s[0:1], s[0:1], 1
	s_add_u32 s4, s4, s0
	s_delay_alu instid0(VALU_DEP_1) | instskip(SKIP_1) | instid1(SALU_CYCLE_1)
	v_mov_b32_dpp v50, v0 quad_perm:[2,3,0,1] row_mask:0xf bank_mask:0xf
	s_addc_u32 s0, s5, s1
	s_and_b32 s5, s0, 0xffff
	s_delay_alu instid0(VALU_DEP_1) | instskip(NEXT) | instid1(VALU_DEP_1)
	v_add_f32_e32 v0, v0, v50
	v_mov_b32_dpp v50, v0 row_xmask:7 row_mask:0xf bank_mask:0xf
	s_delay_alu instid0(VALU_DEP_1) | instskip(NEXT) | instid1(VALU_DEP_1)
	v_add_f32_e32 v0, v0, v50
	v_div_scale_f32 v50, null, v51, v51, v0
	v_div_scale_f32 v54, vcc_lo, v0, v51, v0
	s_delay_alu instid0(VALU_DEP_2) | instskip(SKIP_2) | instid1(VALU_DEP_1)
	v_rcp_f32_e32 v52, v50
	s_waitcnt_depctr 0xfff
	v_fma_f32 v53, -v50, v52, 1.0
	v_fmac_f32_e32 v52, v53, v52
	s_delay_alu instid0(VALU_DEP_1) | instskip(NEXT) | instid1(VALU_DEP_1)
	v_mul_f32_e32 v53, v54, v52
	v_fma_f32 v55, -v50, v53, v54
	s_delay_alu instid0(VALU_DEP_1) | instskip(SKIP_1) | instid1(VALU_DEP_2)
	v_fmac_f32_e32 v53, v55, v52
	v_lshrrev_b32_e32 v55, 16, v9
	v_fma_f32 v50, -v50, v53, v54
	v_lshrrev_b32_e32 v54, 16, v16
	s_delay_alu instid0(VALU_DEP_3) | instskip(NEXT) | instid1(VALU_DEP_3)
	v_cvt_f32_u32_e32 v55, v55
	v_div_fmas_f32 v50, v50, v52, v53
	v_lshrrev_b32_e32 v52, 16, v14
	v_lshrrev_b32_e32 v53, 16, v15
	v_and_b32_e32 v15, 0xffff, v15
	v_cvt_f32_u32_e32 v54, v54
	v_div_fixup_f32 v0, v50, v51, v0
	v_cvt_f32_u32_e32 v52, v52
	v_cvt_f32_u32_e32 v53, v53
	;; [unrolled: 1-line block ×3, first 2 shown]
	s_delay_alu instid0(VALU_DEP_4) | instskip(SKIP_2) | instid1(VALU_DEP_2)
	v_cvt_f64_f32_e32 v[50:51], v0
	v_lshrrev_b32_e32 v0, 16, v13
	v_and_b32_e32 v13, 0xffff, v13
	v_cvt_f32_u32_e32 v0, v0
	s_delay_alu instid0(VALU_DEP_2) | instskip(SKIP_1) | instid1(VALU_DEP_1)
	v_cvt_f32_u32_e32 v13, v13
	v_add_f64 v[50:51], v[50:51], s[14:15]
	v_cvt_f32_f64_e32 v50, v[50:51]
	v_lshrrev_b32_e32 v51, 16, v11
	s_delay_alu instid0(VALU_DEP_1) | instskip(NEXT) | instid1(VALU_DEP_3)
	v_cvt_f32_u32_e32 v51, v51
	v_mul_f32_e32 v66, 0x4b800000, v50
	v_cmp_gt_f32_e32 vcc_lo, 0x800000, v50
	s_delay_alu instid0(VALU_DEP_2) | instskip(NEXT) | instid1(VALU_DEP_1)
	v_dual_cndmask_b32 v50, v50, v66 :: v_dual_and_b32 v9, 0xffff, v9
	v_cvt_f32_u32_e32 v9, v9
	s_delay_alu instid0(VALU_DEP_2) | instskip(SKIP_2) | instid1(VALU_DEP_1)
	v_rsq_f32_e32 v50, v50
	s_waitcnt_depctr 0xfff
	v_mul_f32_e32 v66, 0x45800000, v50
	v_dual_cndmask_b32 v50, v50, v66 :: v_dual_and_b32 v11, 0xffff, v11
	v_and_b32_e32 v14, 0xffff, v14
	v_and_b32_e32 v10, 0xffff, v10
	;; [unrolled: 1-line block ×3, first 2 shown]
	s_delay_alu instid0(VALU_DEP_4)
	v_dual_mul_f32 v37, v50, v37 :: v_dual_and_b32 v6, 0xffff, v6
	v_dual_mul_f32 v27, v50, v27 :: v_dual_and_b32 v16, 0xffff, v16
	;; [unrolled: 1-line block ×9, first 2 shown]
	v_cvt_f32_u32_e32 v6, v6
	v_mul_f32_e32 v28, v50, v28
	v_cvt_f32_u32_e32 v5, v5
	v_mul_f32_e32 v21, v50, v21
	v_mul_f32_e32 v18, v50, v18
	;; [unrolled: 1-line block ×5, first 2 shown]
	v_cvt_f32_u32_e32 v14, v14
	v_mul_f32_e32 v25, v50, v25
	v_mul_f32_e32 v13, v19, v13
	v_cvt_f32_u32_e32 v10, v10
	v_cvt_f32_u32_e32 v16, v16
	;; [unrolled: 1-line block ×10, first 2 shown]
	v_dual_mul_f32 v36, v50, v36 :: v_dual_mul_f32 v9, v23, v9
	v_mul_f32_e32 v34, v50, v34
	v_mul_f32_e32 v32, v50, v32
	;; [unrolled: 1-line block ×7, first 2 shown]
	v_dual_mul_f32 v45, v50, v45 :: v_dual_mul_f32 v14, v20, v14
	v_mul_f32_e32 v38, v50, v38
	v_mul_f32_e32 v43, v50, v43
	v_dual_mul_f32 v41, v50, v41 :: v_dual_mul_f32 v20, v28, v54
	v_mul_f32_e32 v40, v50, v40
	v_dual_mul_f32 v39, v50, v39 :: v_dual_mul_f32 v10, v27, v10
	v_dual_mul_f32 v19, v24, v53 :: v_dual_mul_f32 v0, v18, v0
	v_mul_f32_e32 v18, v21, v52
	v_mul_f32_e32 v21, v25, v55
	v_dual_mul_f32 v25, v31, v5 :: v_dual_mul_f32 v30, v50, v30
	v_mul_f32_e32 v23, v32, v51
	v_mul_f32_e32 v27, v35, v6
	v_dual_mul_f32 v42, v50, v42 :: v_dual_mul_f32 v31, v44, v61
	v_dual_mul_f32 v15, v22, v15 :: v_dual_mul_f32 v22, v29, v56
	v_mul_f32_e32 v16, v26, v16
	v_dual_mul_f32 v11, v30, v11 :: v_dual_mul_f32 v24, v36, v57
	v_mul_f32_e32 v12, v34, v12
	v_mul_f32_e32 v28, v37, v59
	;; [unrolled: 1-line block ×4, first 2 shown]
	v_dual_mul_f32 v34, v43, v2 :: v_dual_mul_f32 v35, v45, v63
	v_dual_mul_f32 v26, v33, v58 :: v_dual_mul_f32 v29, v38, v7
	;; [unrolled: 1-line block ×5, first 2 shown]
	v_perm_b32 v3, v20, v16, 0x7060302
	v_perm_b32 v2, v19, v15, 0x7060302
	;; [unrolled: 1-line block ×16, first 2 shown]
	buffer_store_b128 v[0:3], v17, s[4:7], 0 offen
	;;#ASMSTART
	s_nop 0
	;;#ASMEND
	buffer_store_b128 v[4:7], v17, s[4:7], 16 offen
	;;#ASMSTART
	s_nop 0
	;;#ASMEND
	;; [unrolled: 4-line block ×4, first 2 shown]
.LBB160_4:
	s_nop 0
	s_sendmsg sendmsg(MSG_DEALLOC_VGPRS)
	s_endpgm
	.section	.rodata,"a",@progbits
	.p2align	6, 0x0
	.amdhsa_kernel _ZN5aiter24add_rmsnorm_quant_kernelIttLi256ELi32ELb0ELb0ELb0ELi1EEEvPT0_PT_PfS4_S4_S4_diiiiiiib
		.amdhsa_group_segment_fixed_size 32
		.amdhsa_private_segment_fixed_size 0
		.amdhsa_kernarg_size 88
		.amdhsa_user_sgpr_count 15
		.amdhsa_user_sgpr_dispatch_ptr 0
		.amdhsa_user_sgpr_queue_ptr 0
		.amdhsa_user_sgpr_kernarg_segment_ptr 1
		.amdhsa_user_sgpr_dispatch_id 0
		.amdhsa_user_sgpr_private_segment_size 0
		.amdhsa_wavefront_size32 1
		.amdhsa_uses_dynamic_stack 0
		.amdhsa_enable_private_segment 0
		.amdhsa_system_sgpr_workgroup_id_x 1
		.amdhsa_system_sgpr_workgroup_id_y 0
		.amdhsa_system_sgpr_workgroup_id_z 0
		.amdhsa_system_sgpr_workgroup_info 0
		.amdhsa_system_vgpr_workitem_id 0
		.amdhsa_next_free_vgpr 67
		.amdhsa_next_free_sgpr 20
		.amdhsa_reserve_vcc 1
		.amdhsa_float_round_mode_32 0
		.amdhsa_float_round_mode_16_64 0
		.amdhsa_float_denorm_mode_32 3
		.amdhsa_float_denorm_mode_16_64 3
		.amdhsa_dx10_clamp 1
		.amdhsa_ieee_mode 1
		.amdhsa_fp16_overflow 0
		.amdhsa_workgroup_processor_mode 1
		.amdhsa_memory_ordered 1
		.amdhsa_forward_progress 0
		.amdhsa_shared_vgpr_count 0
		.amdhsa_exception_fp_ieee_invalid_op 0
		.amdhsa_exception_fp_denorm_src 0
		.amdhsa_exception_fp_ieee_div_zero 0
		.amdhsa_exception_fp_ieee_overflow 0
		.amdhsa_exception_fp_ieee_underflow 0
		.amdhsa_exception_fp_ieee_inexact 0
		.amdhsa_exception_int_div_zero 0
	.end_amdhsa_kernel
	.section	.text._ZN5aiter24add_rmsnorm_quant_kernelIttLi256ELi32ELb0ELb0ELb0ELi1EEEvPT0_PT_PfS4_S4_S4_diiiiiiib,"axG",@progbits,_ZN5aiter24add_rmsnorm_quant_kernelIttLi256ELi32ELb0ELb0ELb0ELi1EEEvPT0_PT_PfS4_S4_S4_diiiiiiib,comdat
.Lfunc_end160:
	.size	_ZN5aiter24add_rmsnorm_quant_kernelIttLi256ELi32ELb0ELb0ELb0ELi1EEEvPT0_PT_PfS4_S4_S4_diiiiiiib, .Lfunc_end160-_ZN5aiter24add_rmsnorm_quant_kernelIttLi256ELi32ELb0ELb0ELb0ELi1EEEvPT0_PT_PfS4_S4_S4_diiiiiiib
                                        ; -- End function
	.section	.AMDGPU.csdata,"",@progbits
; Kernel info:
; codeLenInByte = 2112
; NumSgprs: 22
; NumVgprs: 67
; ScratchSize: 0
; MemoryBound: 0
; FloatMode: 240
; IeeeMode: 1
; LDSByteSize: 32 bytes/workgroup (compile time only)
; SGPRBlocks: 2
; VGPRBlocks: 8
; NumSGPRsForWavesPerEU: 22
; NumVGPRsForWavesPerEU: 67
; Occupancy: 16
; WaveLimiterHint : 1
; COMPUTE_PGM_RSRC2:SCRATCH_EN: 0
; COMPUTE_PGM_RSRC2:USER_SGPR: 15
; COMPUTE_PGM_RSRC2:TRAP_HANDLER: 0
; COMPUTE_PGM_RSRC2:TGID_X_EN: 1
; COMPUTE_PGM_RSRC2:TGID_Y_EN: 0
; COMPUTE_PGM_RSRC2:TGID_Z_EN: 0
; COMPUTE_PGM_RSRC2:TIDIG_COMP_CNT: 0
	.text
	.p2alignl 7, 3214868480
	.fill 96, 4, 3214868480
	.type	__hip_cuid_300528a875915d6f,@object ; @__hip_cuid_300528a875915d6f
	.section	.bss,"aw",@nobits
	.globl	__hip_cuid_300528a875915d6f
__hip_cuid_300528a875915d6f:
	.byte	0                               ; 0x0
	.size	__hip_cuid_300528a875915d6f, 1

	.ident	"AMD clang version 19.0.0git (https://github.com/RadeonOpenCompute/llvm-project roc-6.4.0 25133 c7fe45cf4b819c5991fe208aaa96edf142730f1d)"
	.section	".note.GNU-stack","",@progbits
	.addrsig
	.addrsig_sym __hip_cuid_300528a875915d6f
	.amdgpu_metadata
---
amdhsa.kernels:
  - .args:           []
    .group_segment_fixed_size: 0
    .kernarg_segment_align: 4
    .kernarg_segment_size: 0
    .language:       OpenCL C
    .language_version:
      - 2
      - 0
    .max_flat_workgroup_size: 1024
    .name:           _ZN7ck_tileL11flush_cacheEv
    .private_segment_fixed_size: 0
    .sgpr_count:     0
    .sgpr_spill_count: 0
    .symbol:         _ZN7ck_tileL11flush_cacheEv.kd
    .uniform_work_group_size: 1
    .uses_dynamic_stack: false
    .vgpr_count:     0
    .vgpr_spill_count: 0
    .wavefront_size: 32
    .workgroup_processor_mode: 1
  - .args:
      - .address_space:  global
        .offset:         0
        .size:           8
        .value_kind:     global_buffer
      - .address_space:  global
        .offset:         8
        .size:           8
        .value_kind:     global_buffer
      - .address_space:  global
        .offset:         16
        .size:           8
        .value_kind:     global_buffer
      - .address_space:  global
        .offset:         24
        .size:           8
        .value_kind:     global_buffer
      - .address_space:  global
        .offset:         32
        .size:           8
        .value_kind:     global_buffer
      - .address_space:  global
        .offset:         40
        .size:           8
        .value_kind:     global_buffer
      - .offset:         48
        .size:           8
        .value_kind:     by_value
      - .offset:         56
        .size:           4
        .value_kind:     by_value
      - .offset:         60
        .size:           4
        .value_kind:     by_value
      - .offset:         64
        .size:           4
        .value_kind:     by_value
      - .offset:         68
        .size:           4
        .value_kind:     by_value
      - .offset:         72
        .size:           4
        .value_kind:     by_value
      - .offset:         76
        .size:           4
        .value_kind:     by_value
      - .offset:         80
        .size:           4
        .value_kind:     by_value
      - .offset:         84
        .size:           1
        .value_kind:     by_value
    .group_segment_fixed_size: 16
    .kernarg_segment_align: 8
    .kernarg_segment_size: 88
    .language:       OpenCL C
    .language_version:
      - 2
      - 0
    .max_flat_workgroup_size: 1024
    .name:           _ZN5aiter24add_rmsnorm_quant_kernelIDF16_DB8_Li64ELi8ELb1ELb1ELb1ELi1EEEvPT0_PT_PfS5_S5_S5_diiiiiiib
    .private_segment_fixed_size: 0
    .sgpr_count:     42
    .sgpr_spill_count: 0
    .symbol:         _ZN5aiter24add_rmsnorm_quant_kernelIDF16_DB8_Li64ELi8ELb1ELb1ELb1ELi1EEEvPT0_PT_PfS5_S5_S5_diiiiiiib.kd
    .uniform_work_group_size: 1
    .uses_dynamic_stack: false
    .vgpr_count:     25
    .vgpr_spill_count: 0
    .wavefront_size: 32
    .workgroup_processor_mode: 1
  - .args:
      - .address_space:  global
        .offset:         0
        .size:           8
        .value_kind:     global_buffer
      - .address_space:  global
        .offset:         8
        .size:           8
        .value_kind:     global_buffer
      - .address_space:  global
        .offset:         16
        .size:           8
        .value_kind:     global_buffer
      - .address_space:  global
        .offset:         24
        .size:           8
        .value_kind:     global_buffer
      - .address_space:  global
        .offset:         32
        .size:           8
        .value_kind:     global_buffer
      - .address_space:  global
        .offset:         40
        .size:           8
        .value_kind:     global_buffer
      - .offset:         48
        .size:           8
        .value_kind:     by_value
      - .offset:         56
        .size:           4
        .value_kind:     by_value
      - .offset:         60
        .size:           4
        .value_kind:     by_value
      - .offset:         64
        .size:           4
        .value_kind:     by_value
      - .offset:         68
        .size:           4
        .value_kind:     by_value
      - .offset:         72
        .size:           4
        .value_kind:     by_value
      - .offset:         76
        .size:           4
        .value_kind:     by_value
      - .offset:         80
        .size:           4
        .value_kind:     by_value
      - .offset:         84
        .size:           1
        .value_kind:     by_value
    .group_segment_fixed_size: 16
    .kernarg_segment_align: 8
    .kernarg_segment_size: 88
    .language:       OpenCL C
    .language_version:
      - 2
      - 0
    .max_flat_workgroup_size: 1024
    .name:           _ZN5aiter24add_rmsnorm_quant_kernelItDB8_Li64ELi8ELb1ELb1ELb1ELi1EEEvPT0_PT_PfS5_S5_S5_diiiiiiib
    .private_segment_fixed_size: 0
    .sgpr_count:     42
    .sgpr_spill_count: 0
    .symbol:         _ZN5aiter24add_rmsnorm_quant_kernelItDB8_Li64ELi8ELb1ELb1ELb1ELi1EEEvPT0_PT_PfS5_S5_S5_diiiiiiib.kd
    .uniform_work_group_size: 1
    .uses_dynamic_stack: false
    .vgpr_count:     24
    .vgpr_spill_count: 0
    .wavefront_size: 32
    .workgroup_processor_mode: 1
  - .args:
      - .address_space:  global
        .offset:         0
        .size:           8
        .value_kind:     global_buffer
      - .address_space:  global
        .offset:         8
        .size:           8
        .value_kind:     global_buffer
      - .address_space:  global
        .offset:         16
        .size:           8
        .value_kind:     global_buffer
      - .address_space:  global
        .offset:         24
        .size:           8
        .value_kind:     global_buffer
      - .address_space:  global
        .offset:         32
        .size:           8
        .value_kind:     global_buffer
      - .address_space:  global
        .offset:         40
        .size:           8
        .value_kind:     global_buffer
      - .offset:         48
        .size:           8
        .value_kind:     by_value
      - .offset:         56
        .size:           4
        .value_kind:     by_value
      - .offset:         60
        .size:           4
        .value_kind:     by_value
      - .offset:         64
        .size:           4
        .value_kind:     by_value
      - .offset:         68
        .size:           4
        .value_kind:     by_value
      - .offset:         72
        .size:           4
        .value_kind:     by_value
      - .offset:         76
        .size:           4
        .value_kind:     by_value
      - .offset:         80
        .size:           4
        .value_kind:     by_value
      - .offset:         84
        .size:           1
        .value_kind:     by_value
    .group_segment_fixed_size: 16
    .kernarg_segment_align: 8
    .kernarg_segment_size: 88
    .language:       OpenCL C
    .language_version:
      - 2
      - 0
    .max_flat_workgroup_size: 1024
    .name:           _ZN5aiter24add_rmsnorm_quant_kernelIDF16_DB8_Li64ELi8ELb1ELb1ELb0ELi1EEEvPT0_PT_PfS5_S5_S5_diiiiiiib
    .private_segment_fixed_size: 0
    .sgpr_count:     42
    .sgpr_spill_count: 0
    .symbol:         _ZN5aiter24add_rmsnorm_quant_kernelIDF16_DB8_Li64ELi8ELb1ELb1ELb0ELi1EEEvPT0_PT_PfS5_S5_S5_diiiiiiib.kd
    .uniform_work_group_size: 1
    .uses_dynamic_stack: false
    .vgpr_count:     25
    .vgpr_spill_count: 0
    .wavefront_size: 32
    .workgroup_processor_mode: 1
  - .args:
      - .address_space:  global
        .offset:         0
        .size:           8
        .value_kind:     global_buffer
      - .address_space:  global
        .offset:         8
        .size:           8
        .value_kind:     global_buffer
      - .address_space:  global
        .offset:         16
        .size:           8
        .value_kind:     global_buffer
      - .address_space:  global
        .offset:         24
        .size:           8
        .value_kind:     global_buffer
      - .address_space:  global
        .offset:         32
        .size:           8
        .value_kind:     global_buffer
      - .address_space:  global
        .offset:         40
        .size:           8
        .value_kind:     global_buffer
      - .offset:         48
        .size:           8
        .value_kind:     by_value
      - .offset:         56
        .size:           4
        .value_kind:     by_value
      - .offset:         60
        .size:           4
        .value_kind:     by_value
      - .offset:         64
        .size:           4
        .value_kind:     by_value
      - .offset:         68
        .size:           4
        .value_kind:     by_value
      - .offset:         72
        .size:           4
        .value_kind:     by_value
      - .offset:         76
        .size:           4
        .value_kind:     by_value
      - .offset:         80
        .size:           4
        .value_kind:     by_value
      - .offset:         84
        .size:           1
        .value_kind:     by_value
    .group_segment_fixed_size: 16
    .kernarg_segment_align: 8
    .kernarg_segment_size: 88
    .language:       OpenCL C
    .language_version:
      - 2
      - 0
    .max_flat_workgroup_size: 1024
    .name:           _ZN5aiter24add_rmsnorm_quant_kernelItDB8_Li64ELi8ELb1ELb1ELb0ELi1EEEvPT0_PT_PfS5_S5_S5_diiiiiiib
    .private_segment_fixed_size: 0
    .sgpr_count:     42
    .sgpr_spill_count: 0
    .symbol:         _ZN5aiter24add_rmsnorm_quant_kernelItDB8_Li64ELi8ELb1ELb1ELb0ELi1EEEvPT0_PT_PfS5_S5_S5_diiiiiiib.kd
    .uniform_work_group_size: 1
    .uses_dynamic_stack: false
    .vgpr_count:     24
    .vgpr_spill_count: 0
    .wavefront_size: 32
    .workgroup_processor_mode: 1
  - .args:
      - .address_space:  global
        .offset:         0
        .size:           8
        .value_kind:     global_buffer
      - .address_space:  global
        .offset:         8
        .size:           8
        .value_kind:     global_buffer
      - .address_space:  global
        .offset:         16
        .size:           8
        .value_kind:     global_buffer
      - .address_space:  global
        .offset:         24
        .size:           8
        .value_kind:     global_buffer
      - .address_space:  global
        .offset:         32
        .size:           8
        .value_kind:     global_buffer
      - .address_space:  global
        .offset:         40
        .size:           8
        .value_kind:     global_buffer
      - .offset:         48
        .size:           8
        .value_kind:     by_value
      - .offset:         56
        .size:           4
        .value_kind:     by_value
      - .offset:         60
        .size:           4
        .value_kind:     by_value
      - .offset:         64
        .size:           4
        .value_kind:     by_value
      - .offset:         68
        .size:           4
        .value_kind:     by_value
      - .offset:         72
        .size:           4
        .value_kind:     by_value
      - .offset:         76
        .size:           4
        .value_kind:     by_value
      - .offset:         80
        .size:           4
        .value_kind:     by_value
      - .offset:         84
        .size:           1
        .value_kind:     by_value
    .group_segment_fixed_size: 32
    .kernarg_segment_align: 8
    .kernarg_segment_size: 88
    .language:       OpenCL C
    .language_version:
      - 2
      - 0
    .max_flat_workgroup_size: 1024
    .name:           _ZN5aiter24add_rmsnorm_quant_kernelIDF16_DB8_Li128ELi8ELb1ELb1ELb1ELi1EEEvPT0_PT_PfS5_S5_S5_diiiiiiib
    .private_segment_fixed_size: 0
    .sgpr_count:     42
    .sgpr_spill_count: 0
    .symbol:         _ZN5aiter24add_rmsnorm_quant_kernelIDF16_DB8_Li128ELi8ELb1ELb1ELb1ELi1EEEvPT0_PT_PfS5_S5_S5_diiiiiiib.kd
    .uniform_work_group_size: 1
    .uses_dynamic_stack: false
    .vgpr_count:     25
    .vgpr_spill_count: 0
    .wavefront_size: 32
    .workgroup_processor_mode: 1
  - .args:
      - .address_space:  global
        .offset:         0
        .size:           8
        .value_kind:     global_buffer
      - .address_space:  global
        .offset:         8
        .size:           8
        .value_kind:     global_buffer
      - .address_space:  global
        .offset:         16
        .size:           8
        .value_kind:     global_buffer
      - .address_space:  global
        .offset:         24
        .size:           8
        .value_kind:     global_buffer
      - .address_space:  global
        .offset:         32
        .size:           8
        .value_kind:     global_buffer
      - .address_space:  global
        .offset:         40
        .size:           8
        .value_kind:     global_buffer
      - .offset:         48
        .size:           8
        .value_kind:     by_value
      - .offset:         56
        .size:           4
        .value_kind:     by_value
      - .offset:         60
        .size:           4
        .value_kind:     by_value
      - .offset:         64
        .size:           4
        .value_kind:     by_value
      - .offset:         68
        .size:           4
        .value_kind:     by_value
      - .offset:         72
        .size:           4
        .value_kind:     by_value
      - .offset:         76
        .size:           4
        .value_kind:     by_value
      - .offset:         80
        .size:           4
        .value_kind:     by_value
      - .offset:         84
        .size:           1
        .value_kind:     by_value
    .group_segment_fixed_size: 32
    .kernarg_segment_align: 8
    .kernarg_segment_size: 88
    .language:       OpenCL C
    .language_version:
      - 2
      - 0
    .max_flat_workgroup_size: 1024
    .name:           _ZN5aiter24add_rmsnorm_quant_kernelItDB8_Li128ELi8ELb1ELb1ELb1ELi1EEEvPT0_PT_PfS5_S5_S5_diiiiiiib
    .private_segment_fixed_size: 0
    .sgpr_count:     42
    .sgpr_spill_count: 0
    .symbol:         _ZN5aiter24add_rmsnorm_quant_kernelItDB8_Li128ELi8ELb1ELb1ELb1ELi1EEEvPT0_PT_PfS5_S5_S5_diiiiiiib.kd
    .uniform_work_group_size: 1
    .uses_dynamic_stack: false
    .vgpr_count:     24
    .vgpr_spill_count: 0
    .wavefront_size: 32
    .workgroup_processor_mode: 1
  - .args:
      - .address_space:  global
        .offset:         0
        .size:           8
        .value_kind:     global_buffer
      - .address_space:  global
        .offset:         8
        .size:           8
        .value_kind:     global_buffer
      - .address_space:  global
        .offset:         16
        .size:           8
        .value_kind:     global_buffer
      - .address_space:  global
        .offset:         24
        .size:           8
        .value_kind:     global_buffer
      - .address_space:  global
        .offset:         32
        .size:           8
        .value_kind:     global_buffer
      - .address_space:  global
        .offset:         40
        .size:           8
        .value_kind:     global_buffer
      - .offset:         48
        .size:           8
        .value_kind:     by_value
      - .offset:         56
        .size:           4
        .value_kind:     by_value
      - .offset:         60
        .size:           4
        .value_kind:     by_value
      - .offset:         64
        .size:           4
        .value_kind:     by_value
      - .offset:         68
        .size:           4
        .value_kind:     by_value
      - .offset:         72
        .size:           4
        .value_kind:     by_value
      - .offset:         76
        .size:           4
        .value_kind:     by_value
      - .offset:         80
        .size:           4
        .value_kind:     by_value
      - .offset:         84
        .size:           1
        .value_kind:     by_value
    .group_segment_fixed_size: 32
    .kernarg_segment_align: 8
    .kernarg_segment_size: 88
    .language:       OpenCL C
    .language_version:
      - 2
      - 0
    .max_flat_workgroup_size: 1024
    .name:           _ZN5aiter24add_rmsnorm_quant_kernelIDF16_DB8_Li128ELi8ELb1ELb1ELb0ELi1EEEvPT0_PT_PfS5_S5_S5_diiiiiiib
    .private_segment_fixed_size: 0
    .sgpr_count:     42
    .sgpr_spill_count: 0
    .symbol:         _ZN5aiter24add_rmsnorm_quant_kernelIDF16_DB8_Li128ELi8ELb1ELb1ELb0ELi1EEEvPT0_PT_PfS5_S5_S5_diiiiiiib.kd
    .uniform_work_group_size: 1
    .uses_dynamic_stack: false
    .vgpr_count:     25
    .vgpr_spill_count: 0
    .wavefront_size: 32
    .workgroup_processor_mode: 1
  - .args:
      - .address_space:  global
        .offset:         0
        .size:           8
        .value_kind:     global_buffer
      - .address_space:  global
        .offset:         8
        .size:           8
        .value_kind:     global_buffer
      - .address_space:  global
        .offset:         16
        .size:           8
        .value_kind:     global_buffer
      - .address_space:  global
        .offset:         24
        .size:           8
        .value_kind:     global_buffer
      - .address_space:  global
        .offset:         32
        .size:           8
        .value_kind:     global_buffer
      - .address_space:  global
        .offset:         40
        .size:           8
        .value_kind:     global_buffer
      - .offset:         48
        .size:           8
        .value_kind:     by_value
      - .offset:         56
        .size:           4
        .value_kind:     by_value
      - .offset:         60
        .size:           4
        .value_kind:     by_value
      - .offset:         64
        .size:           4
        .value_kind:     by_value
      - .offset:         68
        .size:           4
        .value_kind:     by_value
      - .offset:         72
        .size:           4
        .value_kind:     by_value
      - .offset:         76
        .size:           4
        .value_kind:     by_value
      - .offset:         80
        .size:           4
        .value_kind:     by_value
      - .offset:         84
        .size:           1
        .value_kind:     by_value
    .group_segment_fixed_size: 32
    .kernarg_segment_align: 8
    .kernarg_segment_size: 88
    .language:       OpenCL C
    .language_version:
      - 2
      - 0
    .max_flat_workgroup_size: 1024
    .name:           _ZN5aiter24add_rmsnorm_quant_kernelItDB8_Li128ELi8ELb1ELb1ELb0ELi1EEEvPT0_PT_PfS5_S5_S5_diiiiiiib
    .private_segment_fixed_size: 0
    .sgpr_count:     42
    .sgpr_spill_count: 0
    .symbol:         _ZN5aiter24add_rmsnorm_quant_kernelItDB8_Li128ELi8ELb1ELb1ELb0ELi1EEEvPT0_PT_PfS5_S5_S5_diiiiiiib.kd
    .uniform_work_group_size: 1
    .uses_dynamic_stack: false
    .vgpr_count:     24
    .vgpr_spill_count: 0
    .wavefront_size: 32
    .workgroup_processor_mode: 1
  - .args:
      - .address_space:  global
        .offset:         0
        .size:           8
        .value_kind:     global_buffer
      - .address_space:  global
        .offset:         8
        .size:           8
        .value_kind:     global_buffer
      - .address_space:  global
        .offset:         16
        .size:           8
        .value_kind:     global_buffer
      - .address_space:  global
        .offset:         24
        .size:           8
        .value_kind:     global_buffer
      - .address_space:  global
        .offset:         32
        .size:           8
        .value_kind:     global_buffer
      - .address_space:  global
        .offset:         40
        .size:           8
        .value_kind:     global_buffer
      - .offset:         48
        .size:           8
        .value_kind:     by_value
      - .offset:         56
        .size:           4
        .value_kind:     by_value
      - .offset:         60
        .size:           4
        .value_kind:     by_value
      - .offset:         64
        .size:           4
        .value_kind:     by_value
      - .offset:         68
        .size:           4
        .value_kind:     by_value
      - .offset:         72
        .size:           4
        .value_kind:     by_value
      - .offset:         76
        .size:           4
        .value_kind:     by_value
      - .offset:         80
        .size:           4
        .value_kind:     by_value
      - .offset:         84
        .size:           1
        .value_kind:     by_value
    .group_segment_fixed_size: 64
    .kernarg_segment_align: 8
    .kernarg_segment_size: 88
    .language:       OpenCL C
    .language_version:
      - 2
      - 0
    .max_flat_workgroup_size: 1024
    .name:           _ZN5aiter24add_rmsnorm_quant_kernelIDF16_DB8_Li256ELi8ELb1ELb1ELb1ELi1EEEvPT0_PT_PfS5_S5_S5_diiiiiiib
    .private_segment_fixed_size: 0
    .sgpr_count:     42
    .sgpr_spill_count: 0
    .symbol:         _ZN5aiter24add_rmsnorm_quant_kernelIDF16_DB8_Li256ELi8ELb1ELb1ELb1ELi1EEEvPT0_PT_PfS5_S5_S5_diiiiiiib.kd
    .uniform_work_group_size: 1
    .uses_dynamic_stack: false
    .vgpr_count:     25
    .vgpr_spill_count: 0
    .wavefront_size: 32
    .workgroup_processor_mode: 1
  - .args:
      - .address_space:  global
        .offset:         0
        .size:           8
        .value_kind:     global_buffer
      - .address_space:  global
        .offset:         8
        .size:           8
        .value_kind:     global_buffer
      - .address_space:  global
        .offset:         16
        .size:           8
        .value_kind:     global_buffer
      - .address_space:  global
        .offset:         24
        .size:           8
        .value_kind:     global_buffer
      - .address_space:  global
        .offset:         32
        .size:           8
        .value_kind:     global_buffer
      - .address_space:  global
        .offset:         40
        .size:           8
        .value_kind:     global_buffer
      - .offset:         48
        .size:           8
        .value_kind:     by_value
      - .offset:         56
        .size:           4
        .value_kind:     by_value
      - .offset:         60
        .size:           4
        .value_kind:     by_value
      - .offset:         64
        .size:           4
        .value_kind:     by_value
      - .offset:         68
        .size:           4
        .value_kind:     by_value
      - .offset:         72
        .size:           4
        .value_kind:     by_value
      - .offset:         76
        .size:           4
        .value_kind:     by_value
      - .offset:         80
        .size:           4
        .value_kind:     by_value
      - .offset:         84
        .size:           1
        .value_kind:     by_value
    .group_segment_fixed_size: 64
    .kernarg_segment_align: 8
    .kernarg_segment_size: 88
    .language:       OpenCL C
    .language_version:
      - 2
      - 0
    .max_flat_workgroup_size: 1024
    .name:           _ZN5aiter24add_rmsnorm_quant_kernelItDB8_Li256ELi8ELb1ELb1ELb1ELi1EEEvPT0_PT_PfS5_S5_S5_diiiiiiib
    .private_segment_fixed_size: 0
    .sgpr_count:     42
    .sgpr_spill_count: 0
    .symbol:         _ZN5aiter24add_rmsnorm_quant_kernelItDB8_Li256ELi8ELb1ELb1ELb1ELi1EEEvPT0_PT_PfS5_S5_S5_diiiiiiib.kd
    .uniform_work_group_size: 1
    .uses_dynamic_stack: false
    .vgpr_count:     24
    .vgpr_spill_count: 0
    .wavefront_size: 32
    .workgroup_processor_mode: 1
  - .args:
      - .address_space:  global
        .offset:         0
        .size:           8
        .value_kind:     global_buffer
      - .address_space:  global
        .offset:         8
        .size:           8
        .value_kind:     global_buffer
      - .address_space:  global
        .offset:         16
        .size:           8
        .value_kind:     global_buffer
      - .address_space:  global
        .offset:         24
        .size:           8
        .value_kind:     global_buffer
      - .address_space:  global
        .offset:         32
        .size:           8
        .value_kind:     global_buffer
      - .address_space:  global
        .offset:         40
        .size:           8
        .value_kind:     global_buffer
      - .offset:         48
        .size:           8
        .value_kind:     by_value
      - .offset:         56
        .size:           4
        .value_kind:     by_value
      - .offset:         60
        .size:           4
        .value_kind:     by_value
      - .offset:         64
        .size:           4
        .value_kind:     by_value
      - .offset:         68
        .size:           4
        .value_kind:     by_value
      - .offset:         72
        .size:           4
        .value_kind:     by_value
      - .offset:         76
        .size:           4
        .value_kind:     by_value
      - .offset:         80
        .size:           4
        .value_kind:     by_value
      - .offset:         84
        .size:           1
        .value_kind:     by_value
    .group_segment_fixed_size: 64
    .kernarg_segment_align: 8
    .kernarg_segment_size: 88
    .language:       OpenCL C
    .language_version:
      - 2
      - 0
    .max_flat_workgroup_size: 1024
    .name:           _ZN5aiter24add_rmsnorm_quant_kernelIDF16_DB8_Li256ELi8ELb1ELb1ELb0ELi1EEEvPT0_PT_PfS5_S5_S5_diiiiiiib
    .private_segment_fixed_size: 0
    .sgpr_count:     42
    .sgpr_spill_count: 0
    .symbol:         _ZN5aiter24add_rmsnorm_quant_kernelIDF16_DB8_Li256ELi8ELb1ELb1ELb0ELi1EEEvPT0_PT_PfS5_S5_S5_diiiiiiib.kd
    .uniform_work_group_size: 1
    .uses_dynamic_stack: false
    .vgpr_count:     25
    .vgpr_spill_count: 0
    .wavefront_size: 32
    .workgroup_processor_mode: 1
  - .args:
      - .address_space:  global
        .offset:         0
        .size:           8
        .value_kind:     global_buffer
      - .address_space:  global
        .offset:         8
        .size:           8
        .value_kind:     global_buffer
      - .address_space:  global
        .offset:         16
        .size:           8
        .value_kind:     global_buffer
      - .address_space:  global
        .offset:         24
        .size:           8
        .value_kind:     global_buffer
      - .address_space:  global
        .offset:         32
        .size:           8
        .value_kind:     global_buffer
      - .address_space:  global
        .offset:         40
        .size:           8
        .value_kind:     global_buffer
      - .offset:         48
        .size:           8
        .value_kind:     by_value
      - .offset:         56
        .size:           4
        .value_kind:     by_value
      - .offset:         60
        .size:           4
        .value_kind:     by_value
      - .offset:         64
        .size:           4
        .value_kind:     by_value
      - .offset:         68
        .size:           4
        .value_kind:     by_value
      - .offset:         72
        .size:           4
        .value_kind:     by_value
      - .offset:         76
        .size:           4
        .value_kind:     by_value
      - .offset:         80
        .size:           4
        .value_kind:     by_value
      - .offset:         84
        .size:           1
        .value_kind:     by_value
    .group_segment_fixed_size: 64
    .kernarg_segment_align: 8
    .kernarg_segment_size: 88
    .language:       OpenCL C
    .language_version:
      - 2
      - 0
    .max_flat_workgroup_size: 1024
    .name:           _ZN5aiter24add_rmsnorm_quant_kernelItDB8_Li256ELi8ELb1ELb1ELb0ELi1EEEvPT0_PT_PfS5_S5_S5_diiiiiiib
    .private_segment_fixed_size: 0
    .sgpr_count:     42
    .sgpr_spill_count: 0
    .symbol:         _ZN5aiter24add_rmsnorm_quant_kernelItDB8_Li256ELi8ELb1ELb1ELb0ELi1EEEvPT0_PT_PfS5_S5_S5_diiiiiiib.kd
    .uniform_work_group_size: 1
    .uses_dynamic_stack: false
    .vgpr_count:     24
    .vgpr_spill_count: 0
    .wavefront_size: 32
    .workgroup_processor_mode: 1
  - .args:
      - .address_space:  global
        .offset:         0
        .size:           8
        .value_kind:     global_buffer
      - .address_space:  global
        .offset:         8
        .size:           8
        .value_kind:     global_buffer
      - .address_space:  global
        .offset:         16
        .size:           8
        .value_kind:     global_buffer
      - .address_space:  global
        .offset:         24
        .size:           8
        .value_kind:     global_buffer
      - .address_space:  global
        .offset:         32
        .size:           8
        .value_kind:     global_buffer
      - .address_space:  global
        .offset:         40
        .size:           8
        .value_kind:     global_buffer
      - .offset:         48
        .size:           8
        .value_kind:     by_value
      - .offset:         56
        .size:           4
        .value_kind:     by_value
      - .offset:         60
        .size:           4
        .value_kind:     by_value
      - .offset:         64
        .size:           4
        .value_kind:     by_value
      - .offset:         68
        .size:           4
        .value_kind:     by_value
      - .offset:         72
        .size:           4
        .value_kind:     by_value
      - .offset:         76
        .size:           4
        .value_kind:     by_value
      - .offset:         80
        .size:           4
        .value_kind:     by_value
      - .offset:         84
        .size:           1
        .value_kind:     by_value
    .group_segment_fixed_size: 64
    .kernarg_segment_align: 8
    .kernarg_segment_size: 88
    .language:       OpenCL C
    .language_version:
      - 2
      - 0
    .max_flat_workgroup_size: 1024
    .name:           _ZN5aiter24add_rmsnorm_quant_kernelIDF16_DB8_Li256ELi16ELb1ELb1ELb1ELi1EEEvPT0_PT_PfS5_S5_S5_diiiiiiib
    .private_segment_fixed_size: 0
    .sgpr_count:     42
    .sgpr_spill_count: 0
    .symbol:         _ZN5aiter24add_rmsnorm_quant_kernelIDF16_DB8_Li256ELi16ELb1ELb1ELb1ELi1EEEvPT0_PT_PfS5_S5_S5_diiiiiiib.kd
    .uniform_work_group_size: 1
    .uses_dynamic_stack: false
    .vgpr_count:     48
    .vgpr_spill_count: 0
    .wavefront_size: 32
    .workgroup_processor_mode: 1
  - .args:
      - .address_space:  global
        .offset:         0
        .size:           8
        .value_kind:     global_buffer
      - .address_space:  global
        .offset:         8
        .size:           8
        .value_kind:     global_buffer
      - .address_space:  global
        .offset:         16
        .size:           8
        .value_kind:     global_buffer
      - .address_space:  global
        .offset:         24
        .size:           8
        .value_kind:     global_buffer
      - .address_space:  global
        .offset:         32
        .size:           8
        .value_kind:     global_buffer
      - .address_space:  global
        .offset:         40
        .size:           8
        .value_kind:     global_buffer
      - .offset:         48
        .size:           8
        .value_kind:     by_value
      - .offset:         56
        .size:           4
        .value_kind:     by_value
      - .offset:         60
        .size:           4
        .value_kind:     by_value
      - .offset:         64
        .size:           4
        .value_kind:     by_value
      - .offset:         68
        .size:           4
        .value_kind:     by_value
      - .offset:         72
        .size:           4
        .value_kind:     by_value
      - .offset:         76
        .size:           4
        .value_kind:     by_value
      - .offset:         80
        .size:           4
        .value_kind:     by_value
      - .offset:         84
        .size:           1
        .value_kind:     by_value
    .group_segment_fixed_size: 64
    .kernarg_segment_align: 8
    .kernarg_segment_size: 88
    .language:       OpenCL C
    .language_version:
      - 2
      - 0
    .max_flat_workgroup_size: 1024
    .name:           _ZN5aiter24add_rmsnorm_quant_kernelItDB8_Li256ELi16ELb1ELb1ELb1ELi1EEEvPT0_PT_PfS5_S5_S5_diiiiiiib
    .private_segment_fixed_size: 0
    .sgpr_count:     42
    .sgpr_spill_count: 0
    .symbol:         _ZN5aiter24add_rmsnorm_quant_kernelItDB8_Li256ELi16ELb1ELb1ELb1ELi1EEEvPT0_PT_PfS5_S5_S5_diiiiiiib.kd
    .uniform_work_group_size: 1
    .uses_dynamic_stack: false
    .vgpr_count:     43
    .vgpr_spill_count: 0
    .wavefront_size: 32
    .workgroup_processor_mode: 1
  - .args:
      - .address_space:  global
        .offset:         0
        .size:           8
        .value_kind:     global_buffer
      - .address_space:  global
        .offset:         8
        .size:           8
        .value_kind:     global_buffer
      - .address_space:  global
        .offset:         16
        .size:           8
        .value_kind:     global_buffer
      - .address_space:  global
        .offset:         24
        .size:           8
        .value_kind:     global_buffer
      - .address_space:  global
        .offset:         32
        .size:           8
        .value_kind:     global_buffer
      - .address_space:  global
        .offset:         40
        .size:           8
        .value_kind:     global_buffer
      - .offset:         48
        .size:           8
        .value_kind:     by_value
      - .offset:         56
        .size:           4
        .value_kind:     by_value
      - .offset:         60
        .size:           4
        .value_kind:     by_value
      - .offset:         64
        .size:           4
        .value_kind:     by_value
      - .offset:         68
        .size:           4
        .value_kind:     by_value
      - .offset:         72
        .size:           4
        .value_kind:     by_value
      - .offset:         76
        .size:           4
        .value_kind:     by_value
      - .offset:         80
        .size:           4
        .value_kind:     by_value
      - .offset:         84
        .size:           1
        .value_kind:     by_value
    .group_segment_fixed_size: 64
    .kernarg_segment_align: 8
    .kernarg_segment_size: 88
    .language:       OpenCL C
    .language_version:
      - 2
      - 0
    .max_flat_workgroup_size: 1024
    .name:           _ZN5aiter24add_rmsnorm_quant_kernelIDF16_DB8_Li256ELi16ELb1ELb1ELb0ELi1EEEvPT0_PT_PfS5_S5_S5_diiiiiiib
    .private_segment_fixed_size: 0
    .sgpr_count:     38
    .sgpr_spill_count: 0
    .symbol:         _ZN5aiter24add_rmsnorm_quant_kernelIDF16_DB8_Li256ELi16ELb1ELb1ELb0ELi1EEEvPT0_PT_PfS5_S5_S5_diiiiiiib.kd
    .uniform_work_group_size: 1
    .uses_dynamic_stack: false
    .vgpr_count:     46
    .vgpr_spill_count: 0
    .wavefront_size: 32
    .workgroup_processor_mode: 1
  - .args:
      - .address_space:  global
        .offset:         0
        .size:           8
        .value_kind:     global_buffer
      - .address_space:  global
        .offset:         8
        .size:           8
        .value_kind:     global_buffer
      - .address_space:  global
        .offset:         16
        .size:           8
        .value_kind:     global_buffer
      - .address_space:  global
        .offset:         24
        .size:           8
        .value_kind:     global_buffer
      - .address_space:  global
        .offset:         32
        .size:           8
        .value_kind:     global_buffer
      - .address_space:  global
        .offset:         40
        .size:           8
        .value_kind:     global_buffer
      - .offset:         48
        .size:           8
        .value_kind:     by_value
      - .offset:         56
        .size:           4
        .value_kind:     by_value
      - .offset:         60
        .size:           4
        .value_kind:     by_value
      - .offset:         64
        .size:           4
        .value_kind:     by_value
      - .offset:         68
        .size:           4
        .value_kind:     by_value
      - .offset:         72
        .size:           4
        .value_kind:     by_value
      - .offset:         76
        .size:           4
        .value_kind:     by_value
      - .offset:         80
        .size:           4
        .value_kind:     by_value
      - .offset:         84
        .size:           1
        .value_kind:     by_value
    .group_segment_fixed_size: 64
    .kernarg_segment_align: 8
    .kernarg_segment_size: 88
    .language:       OpenCL C
    .language_version:
      - 2
      - 0
    .max_flat_workgroup_size: 1024
    .name:           _ZN5aiter24add_rmsnorm_quant_kernelItDB8_Li256ELi16ELb1ELb1ELb0ELi1EEEvPT0_PT_PfS5_S5_S5_diiiiiiib
    .private_segment_fixed_size: 0
    .sgpr_count:     38
    .sgpr_spill_count: 0
    .symbol:         _ZN5aiter24add_rmsnorm_quant_kernelItDB8_Li256ELi16ELb1ELb1ELb0ELi1EEEvPT0_PT_PfS5_S5_S5_diiiiiiib.kd
    .uniform_work_group_size: 1
    .uses_dynamic_stack: false
    .vgpr_count:     41
    .vgpr_spill_count: 0
    .wavefront_size: 32
    .workgroup_processor_mode: 1
  - .args:
      - .address_space:  global
        .offset:         0
        .size:           8
        .value_kind:     global_buffer
      - .address_space:  global
        .offset:         8
        .size:           8
        .value_kind:     global_buffer
      - .address_space:  global
        .offset:         16
        .size:           8
        .value_kind:     global_buffer
      - .address_space:  global
        .offset:         24
        .size:           8
        .value_kind:     global_buffer
      - .address_space:  global
        .offset:         32
        .size:           8
        .value_kind:     global_buffer
      - .address_space:  global
        .offset:         40
        .size:           8
        .value_kind:     global_buffer
      - .offset:         48
        .size:           8
        .value_kind:     by_value
      - .offset:         56
        .size:           4
        .value_kind:     by_value
      - .offset:         60
        .size:           4
        .value_kind:     by_value
      - .offset:         64
        .size:           4
        .value_kind:     by_value
      - .offset:         68
        .size:           4
        .value_kind:     by_value
      - .offset:         72
        .size:           4
        .value_kind:     by_value
      - .offset:         76
        .size:           4
        .value_kind:     by_value
      - .offset:         80
        .size:           4
        .value_kind:     by_value
      - .offset:         84
        .size:           1
        .value_kind:     by_value
    .group_segment_fixed_size: 64
    .kernarg_segment_align: 8
    .kernarg_segment_size: 88
    .language:       OpenCL C
    .language_version:
      - 2
      - 0
    .max_flat_workgroup_size: 1024
    .name:           _ZN5aiter24add_rmsnorm_quant_kernelIDF16_DB8_Li256ELi24ELb1ELb1ELb1ELi1EEEvPT0_PT_PfS5_S5_S5_diiiiiiib
    .private_segment_fixed_size: 0
    .sgpr_count:     42
    .sgpr_spill_count: 0
    .symbol:         _ZN5aiter24add_rmsnorm_quant_kernelIDF16_DB8_Li256ELi24ELb1ELb1ELb1ELi1EEEvPT0_PT_PfS5_S5_S5_diiiiiiib.kd
    .uniform_work_group_size: 1
    .uses_dynamic_stack: false
    .vgpr_count:     66
    .vgpr_spill_count: 0
    .wavefront_size: 32
    .workgroup_processor_mode: 1
  - .args:
      - .address_space:  global
        .offset:         0
        .size:           8
        .value_kind:     global_buffer
      - .address_space:  global
        .offset:         8
        .size:           8
        .value_kind:     global_buffer
      - .address_space:  global
        .offset:         16
        .size:           8
        .value_kind:     global_buffer
      - .address_space:  global
        .offset:         24
        .size:           8
        .value_kind:     global_buffer
      - .address_space:  global
        .offset:         32
        .size:           8
        .value_kind:     global_buffer
      - .address_space:  global
        .offset:         40
        .size:           8
        .value_kind:     global_buffer
      - .offset:         48
        .size:           8
        .value_kind:     by_value
      - .offset:         56
        .size:           4
        .value_kind:     by_value
      - .offset:         60
        .size:           4
        .value_kind:     by_value
      - .offset:         64
        .size:           4
        .value_kind:     by_value
      - .offset:         68
        .size:           4
        .value_kind:     by_value
      - .offset:         72
        .size:           4
        .value_kind:     by_value
      - .offset:         76
        .size:           4
        .value_kind:     by_value
      - .offset:         80
        .size:           4
        .value_kind:     by_value
      - .offset:         84
        .size:           1
        .value_kind:     by_value
    .group_segment_fixed_size: 64
    .kernarg_segment_align: 8
    .kernarg_segment_size: 88
    .language:       OpenCL C
    .language_version:
      - 2
      - 0
    .max_flat_workgroup_size: 1024
    .name:           _ZN5aiter24add_rmsnorm_quant_kernelItDB8_Li256ELi24ELb1ELb1ELb1ELi1EEEvPT0_PT_PfS5_S5_S5_diiiiiiib
    .private_segment_fixed_size: 0
    .sgpr_count:     42
    .sgpr_spill_count: 0
    .symbol:         _ZN5aiter24add_rmsnorm_quant_kernelItDB8_Li256ELi24ELb1ELb1ELb1ELi1EEEvPT0_PT_PfS5_S5_S5_diiiiiiib.kd
    .uniform_work_group_size: 1
    .uses_dynamic_stack: false
    .vgpr_count:     61
    .vgpr_spill_count: 0
    .wavefront_size: 32
    .workgroup_processor_mode: 1
  - .args:
      - .address_space:  global
        .offset:         0
        .size:           8
        .value_kind:     global_buffer
      - .address_space:  global
        .offset:         8
        .size:           8
        .value_kind:     global_buffer
      - .address_space:  global
        .offset:         16
        .size:           8
        .value_kind:     global_buffer
      - .address_space:  global
        .offset:         24
        .size:           8
        .value_kind:     global_buffer
      - .address_space:  global
        .offset:         32
        .size:           8
        .value_kind:     global_buffer
      - .address_space:  global
        .offset:         40
        .size:           8
        .value_kind:     global_buffer
      - .offset:         48
        .size:           8
        .value_kind:     by_value
      - .offset:         56
        .size:           4
        .value_kind:     by_value
      - .offset:         60
        .size:           4
        .value_kind:     by_value
      - .offset:         64
        .size:           4
        .value_kind:     by_value
      - .offset:         68
        .size:           4
        .value_kind:     by_value
      - .offset:         72
        .size:           4
        .value_kind:     by_value
      - .offset:         76
        .size:           4
        .value_kind:     by_value
      - .offset:         80
        .size:           4
        .value_kind:     by_value
      - .offset:         84
        .size:           1
        .value_kind:     by_value
    .group_segment_fixed_size: 64
    .kernarg_segment_align: 8
    .kernarg_segment_size: 88
    .language:       OpenCL C
    .language_version:
      - 2
      - 0
    .max_flat_workgroup_size: 1024
    .name:           _ZN5aiter24add_rmsnorm_quant_kernelIDF16_DB8_Li256ELi24ELb1ELb1ELb0ELi1EEEvPT0_PT_PfS5_S5_S5_diiiiiiib
    .private_segment_fixed_size: 0
    .sgpr_count:     38
    .sgpr_spill_count: 0
    .symbol:         _ZN5aiter24add_rmsnorm_quant_kernelIDF16_DB8_Li256ELi24ELb1ELb1ELb0ELi1EEEvPT0_PT_PfS5_S5_S5_diiiiiiib.kd
    .uniform_work_group_size: 1
    .uses_dynamic_stack: false
    .vgpr_count:     65
    .vgpr_spill_count: 0
    .wavefront_size: 32
    .workgroup_processor_mode: 1
  - .args:
      - .address_space:  global
        .offset:         0
        .size:           8
        .value_kind:     global_buffer
      - .address_space:  global
        .offset:         8
        .size:           8
        .value_kind:     global_buffer
      - .address_space:  global
        .offset:         16
        .size:           8
        .value_kind:     global_buffer
      - .address_space:  global
        .offset:         24
        .size:           8
        .value_kind:     global_buffer
      - .address_space:  global
        .offset:         32
        .size:           8
        .value_kind:     global_buffer
      - .address_space:  global
        .offset:         40
        .size:           8
        .value_kind:     global_buffer
      - .offset:         48
        .size:           8
        .value_kind:     by_value
      - .offset:         56
        .size:           4
        .value_kind:     by_value
      - .offset:         60
        .size:           4
        .value_kind:     by_value
      - .offset:         64
        .size:           4
        .value_kind:     by_value
      - .offset:         68
        .size:           4
        .value_kind:     by_value
      - .offset:         72
        .size:           4
        .value_kind:     by_value
      - .offset:         76
        .size:           4
        .value_kind:     by_value
      - .offset:         80
        .size:           4
        .value_kind:     by_value
      - .offset:         84
        .size:           1
        .value_kind:     by_value
    .group_segment_fixed_size: 64
    .kernarg_segment_align: 8
    .kernarg_segment_size: 88
    .language:       OpenCL C
    .language_version:
      - 2
      - 0
    .max_flat_workgroup_size: 1024
    .name:           _ZN5aiter24add_rmsnorm_quant_kernelItDB8_Li256ELi24ELb1ELb1ELb0ELi1EEEvPT0_PT_PfS5_S5_S5_diiiiiiib
    .private_segment_fixed_size: 0
    .sgpr_count:     38
    .sgpr_spill_count: 0
    .symbol:         _ZN5aiter24add_rmsnorm_quant_kernelItDB8_Li256ELi24ELb1ELb1ELb0ELi1EEEvPT0_PT_PfS5_S5_S5_diiiiiiib.kd
    .uniform_work_group_size: 1
    .uses_dynamic_stack: false
    .vgpr_count:     59
    .vgpr_spill_count: 0
    .wavefront_size: 32
    .workgroup_processor_mode: 1
  - .args:
      - .address_space:  global
        .offset:         0
        .size:           8
        .value_kind:     global_buffer
      - .address_space:  global
        .offset:         8
        .size:           8
        .value_kind:     global_buffer
      - .address_space:  global
        .offset:         16
        .size:           8
        .value_kind:     global_buffer
      - .address_space:  global
        .offset:         24
        .size:           8
        .value_kind:     global_buffer
      - .address_space:  global
        .offset:         32
        .size:           8
        .value_kind:     global_buffer
      - .address_space:  global
        .offset:         40
        .size:           8
        .value_kind:     global_buffer
      - .offset:         48
        .size:           8
        .value_kind:     by_value
      - .offset:         56
        .size:           4
        .value_kind:     by_value
      - .offset:         60
        .size:           4
        .value_kind:     by_value
      - .offset:         64
        .size:           4
        .value_kind:     by_value
      - .offset:         68
        .size:           4
        .value_kind:     by_value
      - .offset:         72
        .size:           4
        .value_kind:     by_value
      - .offset:         76
        .size:           4
        .value_kind:     by_value
      - .offset:         80
        .size:           4
        .value_kind:     by_value
      - .offset:         84
        .size:           1
        .value_kind:     by_value
    .group_segment_fixed_size: 64
    .kernarg_segment_align: 8
    .kernarg_segment_size: 88
    .language:       OpenCL C
    .language_version:
      - 2
      - 0
    .max_flat_workgroup_size: 1024
    .name:           _ZN5aiter24add_rmsnorm_quant_kernelIDF16_DB8_Li256ELi32ELb1ELb1ELb1ELi1EEEvPT0_PT_PfS5_S5_S5_diiiiiiib
    .private_segment_fixed_size: 0
    .sgpr_count:     42
    .sgpr_spill_count: 0
    .symbol:         _ZN5aiter24add_rmsnorm_quant_kernelIDF16_DB8_Li256ELi32ELb1ELb1ELb1ELi1EEEvPT0_PT_PfS5_S5_S5_diiiiiiib.kd
    .uniform_work_group_size: 1
    .uses_dynamic_stack: false
    .vgpr_count:     87
    .vgpr_spill_count: 0
    .wavefront_size: 32
    .workgroup_processor_mode: 1
  - .args:
      - .address_space:  global
        .offset:         0
        .size:           8
        .value_kind:     global_buffer
      - .address_space:  global
        .offset:         8
        .size:           8
        .value_kind:     global_buffer
      - .address_space:  global
        .offset:         16
        .size:           8
        .value_kind:     global_buffer
      - .address_space:  global
        .offset:         24
        .size:           8
        .value_kind:     global_buffer
      - .address_space:  global
        .offset:         32
        .size:           8
        .value_kind:     global_buffer
      - .address_space:  global
        .offset:         40
        .size:           8
        .value_kind:     global_buffer
      - .offset:         48
        .size:           8
        .value_kind:     by_value
      - .offset:         56
        .size:           4
        .value_kind:     by_value
      - .offset:         60
        .size:           4
        .value_kind:     by_value
      - .offset:         64
        .size:           4
        .value_kind:     by_value
      - .offset:         68
        .size:           4
        .value_kind:     by_value
      - .offset:         72
        .size:           4
        .value_kind:     by_value
      - .offset:         76
        .size:           4
        .value_kind:     by_value
      - .offset:         80
        .size:           4
        .value_kind:     by_value
      - .offset:         84
        .size:           1
        .value_kind:     by_value
    .group_segment_fixed_size: 64
    .kernarg_segment_align: 8
    .kernarg_segment_size: 88
    .language:       OpenCL C
    .language_version:
      - 2
      - 0
    .max_flat_workgroup_size: 1024
    .name:           _ZN5aiter24add_rmsnorm_quant_kernelItDB8_Li256ELi32ELb1ELb1ELb1ELi1EEEvPT0_PT_PfS5_S5_S5_diiiiiiib
    .private_segment_fixed_size: 0
    .sgpr_count:     42
    .sgpr_spill_count: 0
    .symbol:         _ZN5aiter24add_rmsnorm_quant_kernelItDB8_Li256ELi32ELb1ELb1ELb1ELi1EEEvPT0_PT_PfS5_S5_S5_diiiiiiib.kd
    .uniform_work_group_size: 1
    .uses_dynamic_stack: false
    .vgpr_count:     82
    .vgpr_spill_count: 0
    .wavefront_size: 32
    .workgroup_processor_mode: 1
  - .args:
      - .address_space:  global
        .offset:         0
        .size:           8
        .value_kind:     global_buffer
      - .address_space:  global
        .offset:         8
        .size:           8
        .value_kind:     global_buffer
      - .address_space:  global
        .offset:         16
        .size:           8
        .value_kind:     global_buffer
      - .address_space:  global
        .offset:         24
        .size:           8
        .value_kind:     global_buffer
      - .address_space:  global
        .offset:         32
        .size:           8
        .value_kind:     global_buffer
      - .address_space:  global
        .offset:         40
        .size:           8
        .value_kind:     global_buffer
      - .offset:         48
        .size:           8
        .value_kind:     by_value
      - .offset:         56
        .size:           4
        .value_kind:     by_value
      - .offset:         60
        .size:           4
        .value_kind:     by_value
      - .offset:         64
        .size:           4
        .value_kind:     by_value
      - .offset:         68
        .size:           4
        .value_kind:     by_value
      - .offset:         72
        .size:           4
        .value_kind:     by_value
      - .offset:         76
        .size:           4
        .value_kind:     by_value
      - .offset:         80
        .size:           4
        .value_kind:     by_value
      - .offset:         84
        .size:           1
        .value_kind:     by_value
    .group_segment_fixed_size: 64
    .kernarg_segment_align: 8
    .kernarg_segment_size: 88
    .language:       OpenCL C
    .language_version:
      - 2
      - 0
    .max_flat_workgroup_size: 1024
    .name:           _ZN5aiter24add_rmsnorm_quant_kernelIDF16_DB8_Li256ELi32ELb1ELb1ELb0ELi1EEEvPT0_PT_PfS5_S5_S5_diiiiiiib
    .private_segment_fixed_size: 0
    .sgpr_count:     42
    .sgpr_spill_count: 0
    .symbol:         _ZN5aiter24add_rmsnorm_quant_kernelIDF16_DB8_Li256ELi32ELb1ELb1ELb0ELi1EEEvPT0_PT_PfS5_S5_S5_diiiiiiib.kd
    .uniform_work_group_size: 1
    .uses_dynamic_stack: false
    .vgpr_count:     85
    .vgpr_spill_count: 0
    .wavefront_size: 32
    .workgroup_processor_mode: 1
  - .args:
      - .address_space:  global
        .offset:         0
        .size:           8
        .value_kind:     global_buffer
      - .address_space:  global
        .offset:         8
        .size:           8
        .value_kind:     global_buffer
      - .address_space:  global
        .offset:         16
        .size:           8
        .value_kind:     global_buffer
      - .address_space:  global
        .offset:         24
        .size:           8
        .value_kind:     global_buffer
      - .address_space:  global
        .offset:         32
        .size:           8
        .value_kind:     global_buffer
      - .address_space:  global
        .offset:         40
        .size:           8
        .value_kind:     global_buffer
      - .offset:         48
        .size:           8
        .value_kind:     by_value
      - .offset:         56
        .size:           4
        .value_kind:     by_value
      - .offset:         60
        .size:           4
        .value_kind:     by_value
      - .offset:         64
        .size:           4
        .value_kind:     by_value
      - .offset:         68
        .size:           4
        .value_kind:     by_value
      - .offset:         72
        .size:           4
        .value_kind:     by_value
      - .offset:         76
        .size:           4
        .value_kind:     by_value
      - .offset:         80
        .size:           4
        .value_kind:     by_value
      - .offset:         84
        .size:           1
        .value_kind:     by_value
    .group_segment_fixed_size: 64
    .kernarg_segment_align: 8
    .kernarg_segment_size: 88
    .language:       OpenCL C
    .language_version:
      - 2
      - 0
    .max_flat_workgroup_size: 1024
    .name:           _ZN5aiter24add_rmsnorm_quant_kernelItDB8_Li256ELi32ELb1ELb1ELb0ELi1EEEvPT0_PT_PfS5_S5_S5_diiiiiiib
    .private_segment_fixed_size: 0
    .sgpr_count:     42
    .sgpr_spill_count: 0
    .symbol:         _ZN5aiter24add_rmsnorm_quant_kernelItDB8_Li256ELi32ELb1ELb1ELb0ELi1EEEvPT0_PT_PfS5_S5_S5_diiiiiiib.kd
    .uniform_work_group_size: 1
    .uses_dynamic_stack: false
    .vgpr_count:     80
    .vgpr_spill_count: 0
    .wavefront_size: 32
    .workgroup_processor_mode: 1
  - .args:
      - .address_space:  global
        .offset:         0
        .size:           8
        .value_kind:     global_buffer
      - .address_space:  global
        .offset:         8
        .size:           8
        .value_kind:     global_buffer
      - .address_space:  global
        .offset:         16
        .size:           8
        .value_kind:     global_buffer
      - .address_space:  global
        .offset:         24
        .size:           8
        .value_kind:     global_buffer
      - .address_space:  global
        .offset:         32
        .size:           8
        .value_kind:     global_buffer
      - .address_space:  global
        .offset:         40
        .size:           8
        .value_kind:     global_buffer
      - .offset:         48
        .size:           8
        .value_kind:     by_value
      - .offset:         56
        .size:           4
        .value_kind:     by_value
      - .offset:         60
        .size:           4
        .value_kind:     by_value
      - .offset:         64
        .size:           4
        .value_kind:     by_value
      - .offset:         68
        .size:           4
        .value_kind:     by_value
      - .offset:         72
        .size:           4
        .value_kind:     by_value
      - .offset:         76
        .size:           4
        .value_kind:     by_value
      - .offset:         80
        .size:           4
        .value_kind:     by_value
      - .offset:         84
        .size:           1
        .value_kind:     by_value
    .group_segment_fixed_size: 128
    .kernarg_segment_align: 8
    .kernarg_segment_size: 88
    .language:       OpenCL C
    .language_version:
      - 2
      - 0
    .max_flat_workgroup_size: 1024
    .name:           _ZN5aiter24add_rmsnorm_quant_kernelIDF16_DB8_Li512ELi16ELb1ELb1ELb1ELi1EEEvPT0_PT_PfS5_S5_S5_diiiiiiib
    .private_segment_fixed_size: 0
    .sgpr_count:     42
    .sgpr_spill_count: 0
    .symbol:         _ZN5aiter24add_rmsnorm_quant_kernelIDF16_DB8_Li512ELi16ELb1ELb1ELb1ELi1EEEvPT0_PT_PfS5_S5_S5_diiiiiiib.kd
    .uniform_work_group_size: 1
    .uses_dynamic_stack: false
    .vgpr_count:     48
    .vgpr_spill_count: 0
    .wavefront_size: 32
    .workgroup_processor_mode: 1
  - .args:
      - .address_space:  global
        .offset:         0
        .size:           8
        .value_kind:     global_buffer
      - .address_space:  global
        .offset:         8
        .size:           8
        .value_kind:     global_buffer
      - .address_space:  global
        .offset:         16
        .size:           8
        .value_kind:     global_buffer
      - .address_space:  global
        .offset:         24
        .size:           8
        .value_kind:     global_buffer
      - .address_space:  global
        .offset:         32
        .size:           8
        .value_kind:     global_buffer
      - .address_space:  global
        .offset:         40
        .size:           8
        .value_kind:     global_buffer
      - .offset:         48
        .size:           8
        .value_kind:     by_value
      - .offset:         56
        .size:           4
        .value_kind:     by_value
      - .offset:         60
        .size:           4
        .value_kind:     by_value
      - .offset:         64
        .size:           4
        .value_kind:     by_value
      - .offset:         68
        .size:           4
        .value_kind:     by_value
      - .offset:         72
        .size:           4
        .value_kind:     by_value
      - .offset:         76
        .size:           4
        .value_kind:     by_value
      - .offset:         80
        .size:           4
        .value_kind:     by_value
      - .offset:         84
        .size:           1
        .value_kind:     by_value
    .group_segment_fixed_size: 128
    .kernarg_segment_align: 8
    .kernarg_segment_size: 88
    .language:       OpenCL C
    .language_version:
      - 2
      - 0
    .max_flat_workgroup_size: 1024
    .name:           _ZN5aiter24add_rmsnorm_quant_kernelItDB8_Li512ELi16ELb1ELb1ELb1ELi1EEEvPT0_PT_PfS5_S5_S5_diiiiiiib
    .private_segment_fixed_size: 0
    .sgpr_count:     42
    .sgpr_spill_count: 0
    .symbol:         _ZN5aiter24add_rmsnorm_quant_kernelItDB8_Li512ELi16ELb1ELb1ELb1ELi1EEEvPT0_PT_PfS5_S5_S5_diiiiiiib.kd
    .uniform_work_group_size: 1
    .uses_dynamic_stack: false
    .vgpr_count:     43
    .vgpr_spill_count: 0
    .wavefront_size: 32
    .workgroup_processor_mode: 1
  - .args:
      - .address_space:  global
        .offset:         0
        .size:           8
        .value_kind:     global_buffer
      - .address_space:  global
        .offset:         8
        .size:           8
        .value_kind:     global_buffer
      - .address_space:  global
        .offset:         16
        .size:           8
        .value_kind:     global_buffer
      - .address_space:  global
        .offset:         24
        .size:           8
        .value_kind:     global_buffer
      - .address_space:  global
        .offset:         32
        .size:           8
        .value_kind:     global_buffer
      - .address_space:  global
        .offset:         40
        .size:           8
        .value_kind:     global_buffer
      - .offset:         48
        .size:           8
        .value_kind:     by_value
      - .offset:         56
        .size:           4
        .value_kind:     by_value
      - .offset:         60
        .size:           4
        .value_kind:     by_value
      - .offset:         64
        .size:           4
        .value_kind:     by_value
      - .offset:         68
        .size:           4
        .value_kind:     by_value
      - .offset:         72
        .size:           4
        .value_kind:     by_value
      - .offset:         76
        .size:           4
        .value_kind:     by_value
      - .offset:         80
        .size:           4
        .value_kind:     by_value
      - .offset:         84
        .size:           1
        .value_kind:     by_value
    .group_segment_fixed_size: 128
    .kernarg_segment_align: 8
    .kernarg_segment_size: 88
    .language:       OpenCL C
    .language_version:
      - 2
      - 0
    .max_flat_workgroup_size: 1024
    .name:           _ZN5aiter24add_rmsnorm_quant_kernelIDF16_DB8_Li512ELi16ELb1ELb1ELb0ELi1EEEvPT0_PT_PfS5_S5_S5_diiiiiiib
    .private_segment_fixed_size: 0
    .sgpr_count:     38
    .sgpr_spill_count: 0
    .symbol:         _ZN5aiter24add_rmsnorm_quant_kernelIDF16_DB8_Li512ELi16ELb1ELb1ELb0ELi1EEEvPT0_PT_PfS5_S5_S5_diiiiiiib.kd
    .uniform_work_group_size: 1
    .uses_dynamic_stack: false
    .vgpr_count:     46
    .vgpr_spill_count: 0
    .wavefront_size: 32
    .workgroup_processor_mode: 1
  - .args:
      - .address_space:  global
        .offset:         0
        .size:           8
        .value_kind:     global_buffer
      - .address_space:  global
        .offset:         8
        .size:           8
        .value_kind:     global_buffer
      - .address_space:  global
        .offset:         16
        .size:           8
        .value_kind:     global_buffer
      - .address_space:  global
        .offset:         24
        .size:           8
        .value_kind:     global_buffer
      - .address_space:  global
        .offset:         32
        .size:           8
        .value_kind:     global_buffer
      - .address_space:  global
        .offset:         40
        .size:           8
        .value_kind:     global_buffer
      - .offset:         48
        .size:           8
        .value_kind:     by_value
      - .offset:         56
        .size:           4
        .value_kind:     by_value
      - .offset:         60
        .size:           4
        .value_kind:     by_value
      - .offset:         64
        .size:           4
        .value_kind:     by_value
      - .offset:         68
        .size:           4
        .value_kind:     by_value
      - .offset:         72
        .size:           4
        .value_kind:     by_value
      - .offset:         76
        .size:           4
        .value_kind:     by_value
      - .offset:         80
        .size:           4
        .value_kind:     by_value
      - .offset:         84
        .size:           1
        .value_kind:     by_value
    .group_segment_fixed_size: 128
    .kernarg_segment_align: 8
    .kernarg_segment_size: 88
    .language:       OpenCL C
    .language_version:
      - 2
      - 0
    .max_flat_workgroup_size: 1024
    .name:           _ZN5aiter24add_rmsnorm_quant_kernelItDB8_Li512ELi16ELb1ELb1ELb0ELi1EEEvPT0_PT_PfS5_S5_S5_diiiiiiib
    .private_segment_fixed_size: 0
    .sgpr_count:     38
    .sgpr_spill_count: 0
    .symbol:         _ZN5aiter24add_rmsnorm_quant_kernelItDB8_Li512ELi16ELb1ELb1ELb0ELi1EEEvPT0_PT_PfS5_S5_S5_diiiiiiib.kd
    .uniform_work_group_size: 1
    .uses_dynamic_stack: false
    .vgpr_count:     41
    .vgpr_spill_count: 0
    .wavefront_size: 32
    .workgroup_processor_mode: 1
  - .args:
      - .address_space:  global
        .offset:         0
        .size:           8
        .value_kind:     global_buffer
      - .address_space:  global
        .offset:         8
        .size:           8
        .value_kind:     global_buffer
      - .address_space:  global
        .offset:         16
        .size:           8
        .value_kind:     global_buffer
      - .address_space:  global
        .offset:         24
        .size:           8
        .value_kind:     global_buffer
      - .address_space:  global
        .offset:         32
        .size:           8
        .value_kind:     global_buffer
      - .address_space:  global
        .offset:         40
        .size:           8
        .value_kind:     global_buffer
      - .offset:         48
        .size:           8
        .value_kind:     by_value
      - .offset:         56
        .size:           4
        .value_kind:     by_value
      - .offset:         60
        .size:           4
        .value_kind:     by_value
      - .offset:         64
        .size:           4
        .value_kind:     by_value
      - .offset:         68
        .size:           4
        .value_kind:     by_value
      - .offset:         72
        .size:           4
        .value_kind:     by_value
      - .offset:         76
        .size:           4
        .value_kind:     by_value
      - .offset:         80
        .size:           4
        .value_kind:     by_value
      - .offset:         84
        .size:           1
        .value_kind:     by_value
    .group_segment_fixed_size: 256
    .kernarg_segment_align: 8
    .kernarg_segment_size: 88
    .language:       OpenCL C
    .language_version:
      - 2
      - 0
    .max_flat_workgroup_size: 1024
    .name:           _ZN5aiter24add_rmsnorm_quant_kernelIDF16_DB8_Li1024ELi8ELb1ELb1ELb1ELi1EEEvPT0_PT_PfS5_S5_S5_diiiiiiib
    .private_segment_fixed_size: 0
    .sgpr_count:     42
    .sgpr_spill_count: 0
    .symbol:         _ZN5aiter24add_rmsnorm_quant_kernelIDF16_DB8_Li1024ELi8ELb1ELb1ELb1ELi1EEEvPT0_PT_PfS5_S5_S5_diiiiiiib.kd
    .uniform_work_group_size: 1
    .uses_dynamic_stack: false
    .vgpr_count:     25
    .vgpr_spill_count: 0
    .wavefront_size: 32
    .workgroup_processor_mode: 1
  - .args:
      - .address_space:  global
        .offset:         0
        .size:           8
        .value_kind:     global_buffer
      - .address_space:  global
        .offset:         8
        .size:           8
        .value_kind:     global_buffer
      - .address_space:  global
        .offset:         16
        .size:           8
        .value_kind:     global_buffer
      - .address_space:  global
        .offset:         24
        .size:           8
        .value_kind:     global_buffer
      - .address_space:  global
        .offset:         32
        .size:           8
        .value_kind:     global_buffer
      - .address_space:  global
        .offset:         40
        .size:           8
        .value_kind:     global_buffer
      - .offset:         48
        .size:           8
        .value_kind:     by_value
      - .offset:         56
        .size:           4
        .value_kind:     by_value
      - .offset:         60
        .size:           4
        .value_kind:     by_value
      - .offset:         64
        .size:           4
        .value_kind:     by_value
      - .offset:         68
        .size:           4
        .value_kind:     by_value
      - .offset:         72
        .size:           4
        .value_kind:     by_value
      - .offset:         76
        .size:           4
        .value_kind:     by_value
      - .offset:         80
        .size:           4
        .value_kind:     by_value
      - .offset:         84
        .size:           1
        .value_kind:     by_value
    .group_segment_fixed_size: 256
    .kernarg_segment_align: 8
    .kernarg_segment_size: 88
    .language:       OpenCL C
    .language_version:
      - 2
      - 0
    .max_flat_workgroup_size: 1024
    .name:           _ZN5aiter24add_rmsnorm_quant_kernelItDB8_Li1024ELi8ELb1ELb1ELb1ELi1EEEvPT0_PT_PfS5_S5_S5_diiiiiiib
    .private_segment_fixed_size: 0
    .sgpr_count:     42
    .sgpr_spill_count: 0
    .symbol:         _ZN5aiter24add_rmsnorm_quant_kernelItDB8_Li1024ELi8ELb1ELb1ELb1ELi1EEEvPT0_PT_PfS5_S5_S5_diiiiiiib.kd
    .uniform_work_group_size: 1
    .uses_dynamic_stack: false
    .vgpr_count:     24
    .vgpr_spill_count: 0
    .wavefront_size: 32
    .workgroup_processor_mode: 1
  - .args:
      - .address_space:  global
        .offset:         0
        .size:           8
        .value_kind:     global_buffer
      - .address_space:  global
        .offset:         8
        .size:           8
        .value_kind:     global_buffer
      - .address_space:  global
        .offset:         16
        .size:           8
        .value_kind:     global_buffer
      - .address_space:  global
        .offset:         24
        .size:           8
        .value_kind:     global_buffer
      - .address_space:  global
        .offset:         32
        .size:           8
        .value_kind:     global_buffer
      - .address_space:  global
        .offset:         40
        .size:           8
        .value_kind:     global_buffer
      - .offset:         48
        .size:           8
        .value_kind:     by_value
      - .offset:         56
        .size:           4
        .value_kind:     by_value
      - .offset:         60
        .size:           4
        .value_kind:     by_value
      - .offset:         64
        .size:           4
        .value_kind:     by_value
      - .offset:         68
        .size:           4
        .value_kind:     by_value
      - .offset:         72
        .size:           4
        .value_kind:     by_value
      - .offset:         76
        .size:           4
        .value_kind:     by_value
      - .offset:         80
        .size:           4
        .value_kind:     by_value
      - .offset:         84
        .size:           1
        .value_kind:     by_value
    .group_segment_fixed_size: 256
    .kernarg_segment_align: 8
    .kernarg_segment_size: 88
    .language:       OpenCL C
    .language_version:
      - 2
      - 0
    .max_flat_workgroup_size: 1024
    .name:           _ZN5aiter24add_rmsnorm_quant_kernelIDF16_DB8_Li1024ELi8ELb1ELb1ELb0ELi1EEEvPT0_PT_PfS5_S5_S5_diiiiiiib
    .private_segment_fixed_size: 0
    .sgpr_count:     42
    .sgpr_spill_count: 0
    .symbol:         _ZN5aiter24add_rmsnorm_quant_kernelIDF16_DB8_Li1024ELi8ELb1ELb1ELb0ELi1EEEvPT0_PT_PfS5_S5_S5_diiiiiiib.kd
    .uniform_work_group_size: 1
    .uses_dynamic_stack: false
    .vgpr_count:     25
    .vgpr_spill_count: 0
    .wavefront_size: 32
    .workgroup_processor_mode: 1
  - .args:
      - .address_space:  global
        .offset:         0
        .size:           8
        .value_kind:     global_buffer
      - .address_space:  global
        .offset:         8
        .size:           8
        .value_kind:     global_buffer
      - .address_space:  global
        .offset:         16
        .size:           8
        .value_kind:     global_buffer
      - .address_space:  global
        .offset:         24
        .size:           8
        .value_kind:     global_buffer
      - .address_space:  global
        .offset:         32
        .size:           8
        .value_kind:     global_buffer
      - .address_space:  global
        .offset:         40
        .size:           8
        .value_kind:     global_buffer
      - .offset:         48
        .size:           8
        .value_kind:     by_value
      - .offset:         56
        .size:           4
        .value_kind:     by_value
      - .offset:         60
        .size:           4
        .value_kind:     by_value
      - .offset:         64
        .size:           4
        .value_kind:     by_value
      - .offset:         68
        .size:           4
        .value_kind:     by_value
      - .offset:         72
        .size:           4
        .value_kind:     by_value
      - .offset:         76
        .size:           4
        .value_kind:     by_value
      - .offset:         80
        .size:           4
        .value_kind:     by_value
      - .offset:         84
        .size:           1
        .value_kind:     by_value
    .group_segment_fixed_size: 256
    .kernarg_segment_align: 8
    .kernarg_segment_size: 88
    .language:       OpenCL C
    .language_version:
      - 2
      - 0
    .max_flat_workgroup_size: 1024
    .name:           _ZN5aiter24add_rmsnorm_quant_kernelItDB8_Li1024ELi8ELb1ELb1ELb0ELi1EEEvPT0_PT_PfS5_S5_S5_diiiiiiib
    .private_segment_fixed_size: 0
    .sgpr_count:     42
    .sgpr_spill_count: 0
    .symbol:         _ZN5aiter24add_rmsnorm_quant_kernelItDB8_Li1024ELi8ELb1ELb1ELb0ELi1EEEvPT0_PT_PfS5_S5_S5_diiiiiiib.kd
    .uniform_work_group_size: 1
    .uses_dynamic_stack: false
    .vgpr_count:     24
    .vgpr_spill_count: 0
    .wavefront_size: 32
    .workgroup_processor_mode: 1
  - .args:
      - .address_space:  global
        .offset:         0
        .size:           8
        .value_kind:     global_buffer
      - .address_space:  global
        .offset:         8
        .size:           8
        .value_kind:     global_buffer
      - .address_space:  global
        .offset:         16
        .size:           8
        .value_kind:     global_buffer
      - .address_space:  global
        .offset:         24
        .size:           8
        .value_kind:     global_buffer
      - .address_space:  global
        .offset:         32
        .size:           8
        .value_kind:     global_buffer
      - .address_space:  global
        .offset:         40
        .size:           8
        .value_kind:     global_buffer
      - .offset:         48
        .size:           8
        .value_kind:     by_value
      - .offset:         56
        .size:           4
        .value_kind:     by_value
      - .offset:         60
        .size:           4
        .value_kind:     by_value
      - .offset:         64
        .size:           4
        .value_kind:     by_value
      - .offset:         68
        .size:           4
        .value_kind:     by_value
      - .offset:         72
        .size:           4
        .value_kind:     by_value
      - .offset:         76
        .size:           4
        .value_kind:     by_value
      - .offset:         80
        .size:           4
        .value_kind:     by_value
      - .offset:         84
        .size:           1
        .value_kind:     by_value
    .group_segment_fixed_size: 16
    .kernarg_segment_align: 8
    .kernarg_segment_size: 88
    .language:       OpenCL C
    .language_version:
      - 2
      - 0
    .max_flat_workgroup_size: 1024
    .name:           _ZN5aiter24add_rmsnorm_quant_kernelIDF16_aLi64ELi8ELb1ELb1ELb1ELi1EEEvPT0_PT_PfS4_S4_S4_diiiiiiib
    .private_segment_fixed_size: 0
    .sgpr_count:     38
    .sgpr_spill_count: 0
    .symbol:         _ZN5aiter24add_rmsnorm_quant_kernelIDF16_aLi64ELi8ELb1ELb1ELb1ELi1EEEvPT0_PT_PfS4_S4_S4_diiiiiiib.kd
    .uniform_work_group_size: 1
    .uses_dynamic_stack: false
    .vgpr_count:     25
    .vgpr_spill_count: 0
    .wavefront_size: 32
    .workgroup_processor_mode: 1
  - .args:
      - .address_space:  global
        .offset:         0
        .size:           8
        .value_kind:     global_buffer
      - .address_space:  global
        .offset:         8
        .size:           8
        .value_kind:     global_buffer
      - .address_space:  global
        .offset:         16
        .size:           8
        .value_kind:     global_buffer
      - .address_space:  global
        .offset:         24
        .size:           8
        .value_kind:     global_buffer
      - .address_space:  global
        .offset:         32
        .size:           8
        .value_kind:     global_buffer
      - .address_space:  global
        .offset:         40
        .size:           8
        .value_kind:     global_buffer
      - .offset:         48
        .size:           8
        .value_kind:     by_value
      - .offset:         56
        .size:           4
        .value_kind:     by_value
      - .offset:         60
        .size:           4
        .value_kind:     by_value
      - .offset:         64
        .size:           4
        .value_kind:     by_value
      - .offset:         68
        .size:           4
        .value_kind:     by_value
      - .offset:         72
        .size:           4
        .value_kind:     by_value
      - .offset:         76
        .size:           4
        .value_kind:     by_value
      - .offset:         80
        .size:           4
        .value_kind:     by_value
      - .offset:         84
        .size:           1
        .value_kind:     by_value
    .group_segment_fixed_size: 16
    .kernarg_segment_align: 8
    .kernarg_segment_size: 88
    .language:       OpenCL C
    .language_version:
      - 2
      - 0
    .max_flat_workgroup_size: 1024
    .name:           _ZN5aiter24add_rmsnorm_quant_kernelItaLi64ELi8ELb1ELb1ELb1ELi1EEEvPT0_PT_PfS4_S4_S4_diiiiiiib
    .private_segment_fixed_size: 0
    .sgpr_count:     38
    .sgpr_spill_count: 0
    .symbol:         _ZN5aiter24add_rmsnorm_quant_kernelItaLi64ELi8ELb1ELb1ELb1ELi1EEEvPT0_PT_PfS4_S4_S4_diiiiiiib.kd
    .uniform_work_group_size: 1
    .uses_dynamic_stack: false
    .vgpr_count:     23
    .vgpr_spill_count: 0
    .wavefront_size: 32
    .workgroup_processor_mode: 1
  - .args:
      - .address_space:  global
        .offset:         0
        .size:           8
        .value_kind:     global_buffer
      - .address_space:  global
        .offset:         8
        .size:           8
        .value_kind:     global_buffer
      - .address_space:  global
        .offset:         16
        .size:           8
        .value_kind:     global_buffer
      - .address_space:  global
        .offset:         24
        .size:           8
        .value_kind:     global_buffer
      - .address_space:  global
        .offset:         32
        .size:           8
        .value_kind:     global_buffer
      - .address_space:  global
        .offset:         40
        .size:           8
        .value_kind:     global_buffer
      - .offset:         48
        .size:           8
        .value_kind:     by_value
      - .offset:         56
        .size:           4
        .value_kind:     by_value
      - .offset:         60
        .size:           4
        .value_kind:     by_value
      - .offset:         64
        .size:           4
        .value_kind:     by_value
      - .offset:         68
        .size:           4
        .value_kind:     by_value
      - .offset:         72
        .size:           4
        .value_kind:     by_value
      - .offset:         76
        .size:           4
        .value_kind:     by_value
      - .offset:         80
        .size:           4
        .value_kind:     by_value
      - .offset:         84
        .size:           1
        .value_kind:     by_value
    .group_segment_fixed_size: 16
    .kernarg_segment_align: 8
    .kernarg_segment_size: 88
    .language:       OpenCL C
    .language_version:
      - 2
      - 0
    .max_flat_workgroup_size: 1024
    .name:           _ZN5aiter24add_rmsnorm_quant_kernelIDF16_aLi64ELi8ELb1ELb1ELb0ELi1EEEvPT0_PT_PfS4_S4_S4_diiiiiiib
    .private_segment_fixed_size: 0
    .sgpr_count:     38
    .sgpr_spill_count: 0
    .symbol:         _ZN5aiter24add_rmsnorm_quant_kernelIDF16_aLi64ELi8ELb1ELb1ELb0ELi1EEEvPT0_PT_PfS4_S4_S4_diiiiiiib.kd
    .uniform_work_group_size: 1
    .uses_dynamic_stack: false
    .vgpr_count:     25
    .vgpr_spill_count: 0
    .wavefront_size: 32
    .workgroup_processor_mode: 1
  - .args:
      - .address_space:  global
        .offset:         0
        .size:           8
        .value_kind:     global_buffer
      - .address_space:  global
        .offset:         8
        .size:           8
        .value_kind:     global_buffer
      - .address_space:  global
        .offset:         16
        .size:           8
        .value_kind:     global_buffer
      - .address_space:  global
        .offset:         24
        .size:           8
        .value_kind:     global_buffer
      - .address_space:  global
        .offset:         32
        .size:           8
        .value_kind:     global_buffer
      - .address_space:  global
        .offset:         40
        .size:           8
        .value_kind:     global_buffer
      - .offset:         48
        .size:           8
        .value_kind:     by_value
      - .offset:         56
        .size:           4
        .value_kind:     by_value
      - .offset:         60
        .size:           4
        .value_kind:     by_value
      - .offset:         64
        .size:           4
        .value_kind:     by_value
      - .offset:         68
        .size:           4
        .value_kind:     by_value
      - .offset:         72
        .size:           4
        .value_kind:     by_value
      - .offset:         76
        .size:           4
        .value_kind:     by_value
      - .offset:         80
        .size:           4
        .value_kind:     by_value
      - .offset:         84
        .size:           1
        .value_kind:     by_value
    .group_segment_fixed_size: 16
    .kernarg_segment_align: 8
    .kernarg_segment_size: 88
    .language:       OpenCL C
    .language_version:
      - 2
      - 0
    .max_flat_workgroup_size: 1024
    .name:           _ZN5aiter24add_rmsnorm_quant_kernelItaLi64ELi8ELb1ELb1ELb0ELi1EEEvPT0_PT_PfS4_S4_S4_diiiiiiib
    .private_segment_fixed_size: 0
    .sgpr_count:     38
    .sgpr_spill_count: 0
    .symbol:         _ZN5aiter24add_rmsnorm_quant_kernelItaLi64ELi8ELb1ELb1ELb0ELi1EEEvPT0_PT_PfS4_S4_S4_diiiiiiib.kd
    .uniform_work_group_size: 1
    .uses_dynamic_stack: false
    .vgpr_count:     23
    .vgpr_spill_count: 0
    .wavefront_size: 32
    .workgroup_processor_mode: 1
  - .args:
      - .address_space:  global
        .offset:         0
        .size:           8
        .value_kind:     global_buffer
      - .address_space:  global
        .offset:         8
        .size:           8
        .value_kind:     global_buffer
      - .address_space:  global
        .offset:         16
        .size:           8
        .value_kind:     global_buffer
      - .address_space:  global
        .offset:         24
        .size:           8
        .value_kind:     global_buffer
      - .address_space:  global
        .offset:         32
        .size:           8
        .value_kind:     global_buffer
      - .address_space:  global
        .offset:         40
        .size:           8
        .value_kind:     global_buffer
      - .offset:         48
        .size:           8
        .value_kind:     by_value
      - .offset:         56
        .size:           4
        .value_kind:     by_value
      - .offset:         60
        .size:           4
        .value_kind:     by_value
      - .offset:         64
        .size:           4
        .value_kind:     by_value
      - .offset:         68
        .size:           4
        .value_kind:     by_value
      - .offset:         72
        .size:           4
        .value_kind:     by_value
      - .offset:         76
        .size:           4
        .value_kind:     by_value
      - .offset:         80
        .size:           4
        .value_kind:     by_value
      - .offset:         84
        .size:           1
        .value_kind:     by_value
    .group_segment_fixed_size: 32
    .kernarg_segment_align: 8
    .kernarg_segment_size: 88
    .language:       OpenCL C
    .language_version:
      - 2
      - 0
    .max_flat_workgroup_size: 1024
    .name:           _ZN5aiter24add_rmsnorm_quant_kernelIDF16_aLi128ELi8ELb1ELb1ELb1ELi1EEEvPT0_PT_PfS4_S4_S4_diiiiiiib
    .private_segment_fixed_size: 0
    .sgpr_count:     38
    .sgpr_spill_count: 0
    .symbol:         _ZN5aiter24add_rmsnorm_quant_kernelIDF16_aLi128ELi8ELb1ELb1ELb1ELi1EEEvPT0_PT_PfS4_S4_S4_diiiiiiib.kd
    .uniform_work_group_size: 1
    .uses_dynamic_stack: false
    .vgpr_count:     25
    .vgpr_spill_count: 0
    .wavefront_size: 32
    .workgroup_processor_mode: 1
  - .args:
      - .address_space:  global
        .offset:         0
        .size:           8
        .value_kind:     global_buffer
      - .address_space:  global
        .offset:         8
        .size:           8
        .value_kind:     global_buffer
      - .address_space:  global
        .offset:         16
        .size:           8
        .value_kind:     global_buffer
      - .address_space:  global
        .offset:         24
        .size:           8
        .value_kind:     global_buffer
      - .address_space:  global
        .offset:         32
        .size:           8
        .value_kind:     global_buffer
      - .address_space:  global
        .offset:         40
        .size:           8
        .value_kind:     global_buffer
      - .offset:         48
        .size:           8
        .value_kind:     by_value
      - .offset:         56
        .size:           4
        .value_kind:     by_value
      - .offset:         60
        .size:           4
        .value_kind:     by_value
      - .offset:         64
        .size:           4
        .value_kind:     by_value
      - .offset:         68
        .size:           4
        .value_kind:     by_value
      - .offset:         72
        .size:           4
        .value_kind:     by_value
      - .offset:         76
        .size:           4
        .value_kind:     by_value
      - .offset:         80
        .size:           4
        .value_kind:     by_value
      - .offset:         84
        .size:           1
        .value_kind:     by_value
    .group_segment_fixed_size: 32
    .kernarg_segment_align: 8
    .kernarg_segment_size: 88
    .language:       OpenCL C
    .language_version:
      - 2
      - 0
    .max_flat_workgroup_size: 1024
    .name:           _ZN5aiter24add_rmsnorm_quant_kernelItaLi128ELi8ELb1ELb1ELb1ELi1EEEvPT0_PT_PfS4_S4_S4_diiiiiiib
    .private_segment_fixed_size: 0
    .sgpr_count:     38
    .sgpr_spill_count: 0
    .symbol:         _ZN5aiter24add_rmsnorm_quant_kernelItaLi128ELi8ELb1ELb1ELb1ELi1EEEvPT0_PT_PfS4_S4_S4_diiiiiiib.kd
    .uniform_work_group_size: 1
    .uses_dynamic_stack: false
    .vgpr_count:     23
    .vgpr_spill_count: 0
    .wavefront_size: 32
    .workgroup_processor_mode: 1
  - .args:
      - .address_space:  global
        .offset:         0
        .size:           8
        .value_kind:     global_buffer
      - .address_space:  global
        .offset:         8
        .size:           8
        .value_kind:     global_buffer
      - .address_space:  global
        .offset:         16
        .size:           8
        .value_kind:     global_buffer
      - .address_space:  global
        .offset:         24
        .size:           8
        .value_kind:     global_buffer
      - .address_space:  global
        .offset:         32
        .size:           8
        .value_kind:     global_buffer
      - .address_space:  global
        .offset:         40
        .size:           8
        .value_kind:     global_buffer
      - .offset:         48
        .size:           8
        .value_kind:     by_value
      - .offset:         56
        .size:           4
        .value_kind:     by_value
      - .offset:         60
        .size:           4
        .value_kind:     by_value
      - .offset:         64
        .size:           4
        .value_kind:     by_value
      - .offset:         68
        .size:           4
        .value_kind:     by_value
      - .offset:         72
        .size:           4
        .value_kind:     by_value
      - .offset:         76
        .size:           4
        .value_kind:     by_value
      - .offset:         80
        .size:           4
        .value_kind:     by_value
      - .offset:         84
        .size:           1
        .value_kind:     by_value
    .group_segment_fixed_size: 32
    .kernarg_segment_align: 8
    .kernarg_segment_size: 88
    .language:       OpenCL C
    .language_version:
      - 2
      - 0
    .max_flat_workgroup_size: 1024
    .name:           _ZN5aiter24add_rmsnorm_quant_kernelIDF16_aLi128ELi8ELb1ELb1ELb0ELi1EEEvPT0_PT_PfS4_S4_S4_diiiiiiib
    .private_segment_fixed_size: 0
    .sgpr_count:     38
    .sgpr_spill_count: 0
    .symbol:         _ZN5aiter24add_rmsnorm_quant_kernelIDF16_aLi128ELi8ELb1ELb1ELb0ELi1EEEvPT0_PT_PfS4_S4_S4_diiiiiiib.kd
    .uniform_work_group_size: 1
    .uses_dynamic_stack: false
    .vgpr_count:     25
    .vgpr_spill_count: 0
    .wavefront_size: 32
    .workgroup_processor_mode: 1
  - .args:
      - .address_space:  global
        .offset:         0
        .size:           8
        .value_kind:     global_buffer
      - .address_space:  global
        .offset:         8
        .size:           8
        .value_kind:     global_buffer
      - .address_space:  global
        .offset:         16
        .size:           8
        .value_kind:     global_buffer
      - .address_space:  global
        .offset:         24
        .size:           8
        .value_kind:     global_buffer
      - .address_space:  global
        .offset:         32
        .size:           8
        .value_kind:     global_buffer
      - .address_space:  global
        .offset:         40
        .size:           8
        .value_kind:     global_buffer
      - .offset:         48
        .size:           8
        .value_kind:     by_value
      - .offset:         56
        .size:           4
        .value_kind:     by_value
      - .offset:         60
        .size:           4
        .value_kind:     by_value
      - .offset:         64
        .size:           4
        .value_kind:     by_value
      - .offset:         68
        .size:           4
        .value_kind:     by_value
      - .offset:         72
        .size:           4
        .value_kind:     by_value
      - .offset:         76
        .size:           4
        .value_kind:     by_value
      - .offset:         80
        .size:           4
        .value_kind:     by_value
      - .offset:         84
        .size:           1
        .value_kind:     by_value
    .group_segment_fixed_size: 32
    .kernarg_segment_align: 8
    .kernarg_segment_size: 88
    .language:       OpenCL C
    .language_version:
      - 2
      - 0
    .max_flat_workgroup_size: 1024
    .name:           _ZN5aiter24add_rmsnorm_quant_kernelItaLi128ELi8ELb1ELb1ELb0ELi1EEEvPT0_PT_PfS4_S4_S4_diiiiiiib
    .private_segment_fixed_size: 0
    .sgpr_count:     38
    .sgpr_spill_count: 0
    .symbol:         _ZN5aiter24add_rmsnorm_quant_kernelItaLi128ELi8ELb1ELb1ELb0ELi1EEEvPT0_PT_PfS4_S4_S4_diiiiiiib.kd
    .uniform_work_group_size: 1
    .uses_dynamic_stack: false
    .vgpr_count:     23
    .vgpr_spill_count: 0
    .wavefront_size: 32
    .workgroup_processor_mode: 1
  - .args:
      - .address_space:  global
        .offset:         0
        .size:           8
        .value_kind:     global_buffer
      - .address_space:  global
        .offset:         8
        .size:           8
        .value_kind:     global_buffer
      - .address_space:  global
        .offset:         16
        .size:           8
        .value_kind:     global_buffer
      - .address_space:  global
        .offset:         24
        .size:           8
        .value_kind:     global_buffer
      - .address_space:  global
        .offset:         32
        .size:           8
        .value_kind:     global_buffer
      - .address_space:  global
        .offset:         40
        .size:           8
        .value_kind:     global_buffer
      - .offset:         48
        .size:           8
        .value_kind:     by_value
      - .offset:         56
        .size:           4
        .value_kind:     by_value
      - .offset:         60
        .size:           4
        .value_kind:     by_value
      - .offset:         64
        .size:           4
        .value_kind:     by_value
      - .offset:         68
        .size:           4
        .value_kind:     by_value
      - .offset:         72
        .size:           4
        .value_kind:     by_value
      - .offset:         76
        .size:           4
        .value_kind:     by_value
      - .offset:         80
        .size:           4
        .value_kind:     by_value
      - .offset:         84
        .size:           1
        .value_kind:     by_value
    .group_segment_fixed_size: 64
    .kernarg_segment_align: 8
    .kernarg_segment_size: 88
    .language:       OpenCL C
    .language_version:
      - 2
      - 0
    .max_flat_workgroup_size: 1024
    .name:           _ZN5aiter24add_rmsnorm_quant_kernelIDF16_aLi256ELi8ELb1ELb1ELb1ELi1EEEvPT0_PT_PfS4_S4_S4_diiiiiiib
    .private_segment_fixed_size: 0
    .sgpr_count:     38
    .sgpr_spill_count: 0
    .symbol:         _ZN5aiter24add_rmsnorm_quant_kernelIDF16_aLi256ELi8ELb1ELb1ELb1ELi1EEEvPT0_PT_PfS4_S4_S4_diiiiiiib.kd
    .uniform_work_group_size: 1
    .uses_dynamic_stack: false
    .vgpr_count:     25
    .vgpr_spill_count: 0
    .wavefront_size: 32
    .workgroup_processor_mode: 1
  - .args:
      - .address_space:  global
        .offset:         0
        .size:           8
        .value_kind:     global_buffer
      - .address_space:  global
        .offset:         8
        .size:           8
        .value_kind:     global_buffer
      - .address_space:  global
        .offset:         16
        .size:           8
        .value_kind:     global_buffer
      - .address_space:  global
        .offset:         24
        .size:           8
        .value_kind:     global_buffer
      - .address_space:  global
        .offset:         32
        .size:           8
        .value_kind:     global_buffer
      - .address_space:  global
        .offset:         40
        .size:           8
        .value_kind:     global_buffer
      - .offset:         48
        .size:           8
        .value_kind:     by_value
      - .offset:         56
        .size:           4
        .value_kind:     by_value
      - .offset:         60
        .size:           4
        .value_kind:     by_value
      - .offset:         64
        .size:           4
        .value_kind:     by_value
      - .offset:         68
        .size:           4
        .value_kind:     by_value
      - .offset:         72
        .size:           4
        .value_kind:     by_value
      - .offset:         76
        .size:           4
        .value_kind:     by_value
      - .offset:         80
        .size:           4
        .value_kind:     by_value
      - .offset:         84
        .size:           1
        .value_kind:     by_value
    .group_segment_fixed_size: 64
    .kernarg_segment_align: 8
    .kernarg_segment_size: 88
    .language:       OpenCL C
    .language_version:
      - 2
      - 0
    .max_flat_workgroup_size: 1024
    .name:           _ZN5aiter24add_rmsnorm_quant_kernelItaLi256ELi8ELb1ELb1ELb1ELi1EEEvPT0_PT_PfS4_S4_S4_diiiiiiib
    .private_segment_fixed_size: 0
    .sgpr_count:     38
    .sgpr_spill_count: 0
    .symbol:         _ZN5aiter24add_rmsnorm_quant_kernelItaLi256ELi8ELb1ELb1ELb1ELi1EEEvPT0_PT_PfS4_S4_S4_diiiiiiib.kd
    .uniform_work_group_size: 1
    .uses_dynamic_stack: false
    .vgpr_count:     23
    .vgpr_spill_count: 0
    .wavefront_size: 32
    .workgroup_processor_mode: 1
  - .args:
      - .address_space:  global
        .offset:         0
        .size:           8
        .value_kind:     global_buffer
      - .address_space:  global
        .offset:         8
        .size:           8
        .value_kind:     global_buffer
      - .address_space:  global
        .offset:         16
        .size:           8
        .value_kind:     global_buffer
      - .address_space:  global
        .offset:         24
        .size:           8
        .value_kind:     global_buffer
      - .address_space:  global
        .offset:         32
        .size:           8
        .value_kind:     global_buffer
      - .address_space:  global
        .offset:         40
        .size:           8
        .value_kind:     global_buffer
      - .offset:         48
        .size:           8
        .value_kind:     by_value
      - .offset:         56
        .size:           4
        .value_kind:     by_value
      - .offset:         60
        .size:           4
        .value_kind:     by_value
      - .offset:         64
        .size:           4
        .value_kind:     by_value
      - .offset:         68
        .size:           4
        .value_kind:     by_value
      - .offset:         72
        .size:           4
        .value_kind:     by_value
      - .offset:         76
        .size:           4
        .value_kind:     by_value
      - .offset:         80
        .size:           4
        .value_kind:     by_value
      - .offset:         84
        .size:           1
        .value_kind:     by_value
    .group_segment_fixed_size: 64
    .kernarg_segment_align: 8
    .kernarg_segment_size: 88
    .language:       OpenCL C
    .language_version:
      - 2
      - 0
    .max_flat_workgroup_size: 1024
    .name:           _ZN5aiter24add_rmsnorm_quant_kernelIDF16_aLi256ELi8ELb1ELb1ELb0ELi1EEEvPT0_PT_PfS4_S4_S4_diiiiiiib
    .private_segment_fixed_size: 0
    .sgpr_count:     38
    .sgpr_spill_count: 0
    .symbol:         _ZN5aiter24add_rmsnorm_quant_kernelIDF16_aLi256ELi8ELb1ELb1ELb0ELi1EEEvPT0_PT_PfS4_S4_S4_diiiiiiib.kd
    .uniform_work_group_size: 1
    .uses_dynamic_stack: false
    .vgpr_count:     25
    .vgpr_spill_count: 0
    .wavefront_size: 32
    .workgroup_processor_mode: 1
  - .args:
      - .address_space:  global
        .offset:         0
        .size:           8
        .value_kind:     global_buffer
      - .address_space:  global
        .offset:         8
        .size:           8
        .value_kind:     global_buffer
      - .address_space:  global
        .offset:         16
        .size:           8
        .value_kind:     global_buffer
      - .address_space:  global
        .offset:         24
        .size:           8
        .value_kind:     global_buffer
      - .address_space:  global
        .offset:         32
        .size:           8
        .value_kind:     global_buffer
      - .address_space:  global
        .offset:         40
        .size:           8
        .value_kind:     global_buffer
      - .offset:         48
        .size:           8
        .value_kind:     by_value
      - .offset:         56
        .size:           4
        .value_kind:     by_value
      - .offset:         60
        .size:           4
        .value_kind:     by_value
      - .offset:         64
        .size:           4
        .value_kind:     by_value
      - .offset:         68
        .size:           4
        .value_kind:     by_value
      - .offset:         72
        .size:           4
        .value_kind:     by_value
      - .offset:         76
        .size:           4
        .value_kind:     by_value
      - .offset:         80
        .size:           4
        .value_kind:     by_value
      - .offset:         84
        .size:           1
        .value_kind:     by_value
    .group_segment_fixed_size: 64
    .kernarg_segment_align: 8
    .kernarg_segment_size: 88
    .language:       OpenCL C
    .language_version:
      - 2
      - 0
    .max_flat_workgroup_size: 1024
    .name:           _ZN5aiter24add_rmsnorm_quant_kernelItaLi256ELi8ELb1ELb1ELb0ELi1EEEvPT0_PT_PfS4_S4_S4_diiiiiiib
    .private_segment_fixed_size: 0
    .sgpr_count:     38
    .sgpr_spill_count: 0
    .symbol:         _ZN5aiter24add_rmsnorm_quant_kernelItaLi256ELi8ELb1ELb1ELb0ELi1EEEvPT0_PT_PfS4_S4_S4_diiiiiiib.kd
    .uniform_work_group_size: 1
    .uses_dynamic_stack: false
    .vgpr_count:     23
    .vgpr_spill_count: 0
    .wavefront_size: 32
    .workgroup_processor_mode: 1
  - .args:
      - .address_space:  global
        .offset:         0
        .size:           8
        .value_kind:     global_buffer
      - .address_space:  global
        .offset:         8
        .size:           8
        .value_kind:     global_buffer
      - .address_space:  global
        .offset:         16
        .size:           8
        .value_kind:     global_buffer
      - .address_space:  global
        .offset:         24
        .size:           8
        .value_kind:     global_buffer
      - .address_space:  global
        .offset:         32
        .size:           8
        .value_kind:     global_buffer
      - .address_space:  global
        .offset:         40
        .size:           8
        .value_kind:     global_buffer
      - .offset:         48
        .size:           8
        .value_kind:     by_value
      - .offset:         56
        .size:           4
        .value_kind:     by_value
      - .offset:         60
        .size:           4
        .value_kind:     by_value
      - .offset:         64
        .size:           4
        .value_kind:     by_value
      - .offset:         68
        .size:           4
        .value_kind:     by_value
      - .offset:         72
        .size:           4
        .value_kind:     by_value
      - .offset:         76
        .size:           4
        .value_kind:     by_value
      - .offset:         80
        .size:           4
        .value_kind:     by_value
      - .offset:         84
        .size:           1
        .value_kind:     by_value
    .group_segment_fixed_size: 64
    .kernarg_segment_align: 8
    .kernarg_segment_size: 88
    .language:       OpenCL C
    .language_version:
      - 2
      - 0
    .max_flat_workgroup_size: 1024
    .name:           _ZN5aiter24add_rmsnorm_quant_kernelIDF16_aLi256ELi16ELb1ELb1ELb1ELi1EEEvPT0_PT_PfS4_S4_S4_diiiiiiib
    .private_segment_fixed_size: 0
    .sgpr_count:     42
    .sgpr_spill_count: 0
    .symbol:         _ZN5aiter24add_rmsnorm_quant_kernelIDF16_aLi256ELi16ELb1ELb1ELb1ELi1EEEvPT0_PT_PfS4_S4_S4_diiiiiiib.kd
    .uniform_work_group_size: 1
    .uses_dynamic_stack: false
    .vgpr_count:     48
    .vgpr_spill_count: 0
    .wavefront_size: 32
    .workgroup_processor_mode: 1
  - .args:
      - .address_space:  global
        .offset:         0
        .size:           8
        .value_kind:     global_buffer
      - .address_space:  global
        .offset:         8
        .size:           8
        .value_kind:     global_buffer
      - .address_space:  global
        .offset:         16
        .size:           8
        .value_kind:     global_buffer
      - .address_space:  global
        .offset:         24
        .size:           8
        .value_kind:     global_buffer
      - .address_space:  global
        .offset:         32
        .size:           8
        .value_kind:     global_buffer
      - .address_space:  global
        .offset:         40
        .size:           8
        .value_kind:     global_buffer
      - .offset:         48
        .size:           8
        .value_kind:     by_value
      - .offset:         56
        .size:           4
        .value_kind:     by_value
      - .offset:         60
        .size:           4
        .value_kind:     by_value
      - .offset:         64
        .size:           4
        .value_kind:     by_value
      - .offset:         68
        .size:           4
        .value_kind:     by_value
      - .offset:         72
        .size:           4
        .value_kind:     by_value
      - .offset:         76
        .size:           4
        .value_kind:     by_value
      - .offset:         80
        .size:           4
        .value_kind:     by_value
      - .offset:         84
        .size:           1
        .value_kind:     by_value
    .group_segment_fixed_size: 64
    .kernarg_segment_align: 8
    .kernarg_segment_size: 88
    .language:       OpenCL C
    .language_version:
      - 2
      - 0
    .max_flat_workgroup_size: 1024
    .name:           _ZN5aiter24add_rmsnorm_quant_kernelItaLi256ELi16ELb1ELb1ELb1ELi1EEEvPT0_PT_PfS4_S4_S4_diiiiiiib
    .private_segment_fixed_size: 0
    .sgpr_count:     42
    .sgpr_spill_count: 0
    .symbol:         _ZN5aiter24add_rmsnorm_quant_kernelItaLi256ELi16ELb1ELb1ELb1ELi1EEEvPT0_PT_PfS4_S4_S4_diiiiiiib.kd
    .uniform_work_group_size: 1
    .uses_dynamic_stack: false
    .vgpr_count:     43
    .vgpr_spill_count: 0
    .wavefront_size: 32
    .workgroup_processor_mode: 1
  - .args:
      - .address_space:  global
        .offset:         0
        .size:           8
        .value_kind:     global_buffer
      - .address_space:  global
        .offset:         8
        .size:           8
        .value_kind:     global_buffer
      - .address_space:  global
        .offset:         16
        .size:           8
        .value_kind:     global_buffer
      - .address_space:  global
        .offset:         24
        .size:           8
        .value_kind:     global_buffer
      - .address_space:  global
        .offset:         32
        .size:           8
        .value_kind:     global_buffer
      - .address_space:  global
        .offset:         40
        .size:           8
        .value_kind:     global_buffer
      - .offset:         48
        .size:           8
        .value_kind:     by_value
      - .offset:         56
        .size:           4
        .value_kind:     by_value
      - .offset:         60
        .size:           4
        .value_kind:     by_value
      - .offset:         64
        .size:           4
        .value_kind:     by_value
      - .offset:         68
        .size:           4
        .value_kind:     by_value
      - .offset:         72
        .size:           4
        .value_kind:     by_value
      - .offset:         76
        .size:           4
        .value_kind:     by_value
      - .offset:         80
        .size:           4
        .value_kind:     by_value
      - .offset:         84
        .size:           1
        .value_kind:     by_value
    .group_segment_fixed_size: 64
    .kernarg_segment_align: 8
    .kernarg_segment_size: 88
    .language:       OpenCL C
    .language_version:
      - 2
      - 0
    .max_flat_workgroup_size: 1024
    .name:           _ZN5aiter24add_rmsnorm_quant_kernelIDF16_aLi256ELi16ELb1ELb1ELb0ELi1EEEvPT0_PT_PfS4_S4_S4_diiiiiiib
    .private_segment_fixed_size: 0
    .sgpr_count:     38
    .sgpr_spill_count: 0
    .symbol:         _ZN5aiter24add_rmsnorm_quant_kernelIDF16_aLi256ELi16ELb1ELb1ELb0ELi1EEEvPT0_PT_PfS4_S4_S4_diiiiiiib.kd
    .uniform_work_group_size: 1
    .uses_dynamic_stack: false
    .vgpr_count:     46
    .vgpr_spill_count: 0
    .wavefront_size: 32
    .workgroup_processor_mode: 1
  - .args:
      - .address_space:  global
        .offset:         0
        .size:           8
        .value_kind:     global_buffer
      - .address_space:  global
        .offset:         8
        .size:           8
        .value_kind:     global_buffer
      - .address_space:  global
        .offset:         16
        .size:           8
        .value_kind:     global_buffer
      - .address_space:  global
        .offset:         24
        .size:           8
        .value_kind:     global_buffer
      - .address_space:  global
        .offset:         32
        .size:           8
        .value_kind:     global_buffer
      - .address_space:  global
        .offset:         40
        .size:           8
        .value_kind:     global_buffer
      - .offset:         48
        .size:           8
        .value_kind:     by_value
      - .offset:         56
        .size:           4
        .value_kind:     by_value
      - .offset:         60
        .size:           4
        .value_kind:     by_value
      - .offset:         64
        .size:           4
        .value_kind:     by_value
      - .offset:         68
        .size:           4
        .value_kind:     by_value
      - .offset:         72
        .size:           4
        .value_kind:     by_value
      - .offset:         76
        .size:           4
        .value_kind:     by_value
      - .offset:         80
        .size:           4
        .value_kind:     by_value
      - .offset:         84
        .size:           1
        .value_kind:     by_value
    .group_segment_fixed_size: 64
    .kernarg_segment_align: 8
    .kernarg_segment_size: 88
    .language:       OpenCL C
    .language_version:
      - 2
      - 0
    .max_flat_workgroup_size: 1024
    .name:           _ZN5aiter24add_rmsnorm_quant_kernelItaLi256ELi16ELb1ELb1ELb0ELi1EEEvPT0_PT_PfS4_S4_S4_diiiiiiib
    .private_segment_fixed_size: 0
    .sgpr_count:     38
    .sgpr_spill_count: 0
    .symbol:         _ZN5aiter24add_rmsnorm_quant_kernelItaLi256ELi16ELb1ELb1ELb0ELi1EEEvPT0_PT_PfS4_S4_S4_diiiiiiib.kd
    .uniform_work_group_size: 1
    .uses_dynamic_stack: false
    .vgpr_count:     43
    .vgpr_spill_count: 0
    .wavefront_size: 32
    .workgroup_processor_mode: 1
  - .args:
      - .address_space:  global
        .offset:         0
        .size:           8
        .value_kind:     global_buffer
      - .address_space:  global
        .offset:         8
        .size:           8
        .value_kind:     global_buffer
      - .address_space:  global
        .offset:         16
        .size:           8
        .value_kind:     global_buffer
      - .address_space:  global
        .offset:         24
        .size:           8
        .value_kind:     global_buffer
      - .address_space:  global
        .offset:         32
        .size:           8
        .value_kind:     global_buffer
      - .address_space:  global
        .offset:         40
        .size:           8
        .value_kind:     global_buffer
      - .offset:         48
        .size:           8
        .value_kind:     by_value
      - .offset:         56
        .size:           4
        .value_kind:     by_value
      - .offset:         60
        .size:           4
        .value_kind:     by_value
      - .offset:         64
        .size:           4
        .value_kind:     by_value
      - .offset:         68
        .size:           4
        .value_kind:     by_value
      - .offset:         72
        .size:           4
        .value_kind:     by_value
      - .offset:         76
        .size:           4
        .value_kind:     by_value
      - .offset:         80
        .size:           4
        .value_kind:     by_value
      - .offset:         84
        .size:           1
        .value_kind:     by_value
    .group_segment_fixed_size: 64
    .kernarg_segment_align: 8
    .kernarg_segment_size: 88
    .language:       OpenCL C
    .language_version:
      - 2
      - 0
    .max_flat_workgroup_size: 1024
    .name:           _ZN5aiter24add_rmsnorm_quant_kernelIDF16_aLi256ELi24ELb1ELb1ELb1ELi1EEEvPT0_PT_PfS4_S4_S4_diiiiiiib
    .private_segment_fixed_size: 0
    .sgpr_count:     42
    .sgpr_spill_count: 0
    .symbol:         _ZN5aiter24add_rmsnorm_quant_kernelIDF16_aLi256ELi24ELb1ELb1ELb1ELi1EEEvPT0_PT_PfS4_S4_S4_diiiiiiib.kd
    .uniform_work_group_size: 1
    .uses_dynamic_stack: false
    .vgpr_count:     66
    .vgpr_spill_count: 0
    .wavefront_size: 32
    .workgroup_processor_mode: 1
  - .args:
      - .address_space:  global
        .offset:         0
        .size:           8
        .value_kind:     global_buffer
      - .address_space:  global
        .offset:         8
        .size:           8
        .value_kind:     global_buffer
      - .address_space:  global
        .offset:         16
        .size:           8
        .value_kind:     global_buffer
      - .address_space:  global
        .offset:         24
        .size:           8
        .value_kind:     global_buffer
      - .address_space:  global
        .offset:         32
        .size:           8
        .value_kind:     global_buffer
      - .address_space:  global
        .offset:         40
        .size:           8
        .value_kind:     global_buffer
      - .offset:         48
        .size:           8
        .value_kind:     by_value
      - .offset:         56
        .size:           4
        .value_kind:     by_value
      - .offset:         60
        .size:           4
        .value_kind:     by_value
      - .offset:         64
        .size:           4
        .value_kind:     by_value
      - .offset:         68
        .size:           4
        .value_kind:     by_value
      - .offset:         72
        .size:           4
        .value_kind:     by_value
      - .offset:         76
        .size:           4
        .value_kind:     by_value
      - .offset:         80
        .size:           4
        .value_kind:     by_value
      - .offset:         84
        .size:           1
        .value_kind:     by_value
    .group_segment_fixed_size: 64
    .kernarg_segment_align: 8
    .kernarg_segment_size: 88
    .language:       OpenCL C
    .language_version:
      - 2
      - 0
    .max_flat_workgroup_size: 1024
    .name:           _ZN5aiter24add_rmsnorm_quant_kernelItaLi256ELi24ELb1ELb1ELb1ELi1EEEvPT0_PT_PfS4_S4_S4_diiiiiiib
    .private_segment_fixed_size: 0
    .sgpr_count:     42
    .sgpr_spill_count: 0
    .symbol:         _ZN5aiter24add_rmsnorm_quant_kernelItaLi256ELi24ELb1ELb1ELb1ELi1EEEvPT0_PT_PfS4_S4_S4_diiiiiiib.kd
    .uniform_work_group_size: 1
    .uses_dynamic_stack: false
    .vgpr_count:     61
    .vgpr_spill_count: 0
    .wavefront_size: 32
    .workgroup_processor_mode: 1
  - .args:
      - .address_space:  global
        .offset:         0
        .size:           8
        .value_kind:     global_buffer
      - .address_space:  global
        .offset:         8
        .size:           8
        .value_kind:     global_buffer
      - .address_space:  global
        .offset:         16
        .size:           8
        .value_kind:     global_buffer
      - .address_space:  global
        .offset:         24
        .size:           8
        .value_kind:     global_buffer
      - .address_space:  global
        .offset:         32
        .size:           8
        .value_kind:     global_buffer
      - .address_space:  global
        .offset:         40
        .size:           8
        .value_kind:     global_buffer
      - .offset:         48
        .size:           8
        .value_kind:     by_value
      - .offset:         56
        .size:           4
        .value_kind:     by_value
      - .offset:         60
        .size:           4
        .value_kind:     by_value
      - .offset:         64
        .size:           4
        .value_kind:     by_value
      - .offset:         68
        .size:           4
        .value_kind:     by_value
      - .offset:         72
        .size:           4
        .value_kind:     by_value
      - .offset:         76
        .size:           4
        .value_kind:     by_value
      - .offset:         80
        .size:           4
        .value_kind:     by_value
      - .offset:         84
        .size:           1
        .value_kind:     by_value
    .group_segment_fixed_size: 64
    .kernarg_segment_align: 8
    .kernarg_segment_size: 88
    .language:       OpenCL C
    .language_version:
      - 2
      - 0
    .max_flat_workgroup_size: 1024
    .name:           _ZN5aiter24add_rmsnorm_quant_kernelIDF16_aLi256ELi24ELb1ELb1ELb0ELi1EEEvPT0_PT_PfS4_S4_S4_diiiiiiib
    .private_segment_fixed_size: 0
    .sgpr_count:     42
    .sgpr_spill_count: 0
    .symbol:         _ZN5aiter24add_rmsnorm_quant_kernelIDF16_aLi256ELi24ELb1ELb1ELb0ELi1EEEvPT0_PT_PfS4_S4_S4_diiiiiiib.kd
    .uniform_work_group_size: 1
    .uses_dynamic_stack: false
    .vgpr_count:     65
    .vgpr_spill_count: 0
    .wavefront_size: 32
    .workgroup_processor_mode: 1
  - .args:
      - .address_space:  global
        .offset:         0
        .size:           8
        .value_kind:     global_buffer
      - .address_space:  global
        .offset:         8
        .size:           8
        .value_kind:     global_buffer
      - .address_space:  global
        .offset:         16
        .size:           8
        .value_kind:     global_buffer
      - .address_space:  global
        .offset:         24
        .size:           8
        .value_kind:     global_buffer
      - .address_space:  global
        .offset:         32
        .size:           8
        .value_kind:     global_buffer
      - .address_space:  global
        .offset:         40
        .size:           8
        .value_kind:     global_buffer
      - .offset:         48
        .size:           8
        .value_kind:     by_value
      - .offset:         56
        .size:           4
        .value_kind:     by_value
      - .offset:         60
        .size:           4
        .value_kind:     by_value
      - .offset:         64
        .size:           4
        .value_kind:     by_value
      - .offset:         68
        .size:           4
        .value_kind:     by_value
      - .offset:         72
        .size:           4
        .value_kind:     by_value
      - .offset:         76
        .size:           4
        .value_kind:     by_value
      - .offset:         80
        .size:           4
        .value_kind:     by_value
      - .offset:         84
        .size:           1
        .value_kind:     by_value
    .group_segment_fixed_size: 64
    .kernarg_segment_align: 8
    .kernarg_segment_size: 88
    .language:       OpenCL C
    .language_version:
      - 2
      - 0
    .max_flat_workgroup_size: 1024
    .name:           _ZN5aiter24add_rmsnorm_quant_kernelItaLi256ELi24ELb1ELb1ELb0ELi1EEEvPT0_PT_PfS4_S4_S4_diiiiiiib
    .private_segment_fixed_size: 0
    .sgpr_count:     42
    .sgpr_spill_count: 0
    .symbol:         _ZN5aiter24add_rmsnorm_quant_kernelItaLi256ELi24ELb1ELb1ELb0ELi1EEEvPT0_PT_PfS4_S4_S4_diiiiiiib.kd
    .uniform_work_group_size: 1
    .uses_dynamic_stack: false
    .vgpr_count:     61
    .vgpr_spill_count: 0
    .wavefront_size: 32
    .workgroup_processor_mode: 1
  - .args:
      - .address_space:  global
        .offset:         0
        .size:           8
        .value_kind:     global_buffer
      - .address_space:  global
        .offset:         8
        .size:           8
        .value_kind:     global_buffer
      - .address_space:  global
        .offset:         16
        .size:           8
        .value_kind:     global_buffer
      - .address_space:  global
        .offset:         24
        .size:           8
        .value_kind:     global_buffer
      - .address_space:  global
        .offset:         32
        .size:           8
        .value_kind:     global_buffer
      - .address_space:  global
        .offset:         40
        .size:           8
        .value_kind:     global_buffer
      - .offset:         48
        .size:           8
        .value_kind:     by_value
      - .offset:         56
        .size:           4
        .value_kind:     by_value
      - .offset:         60
        .size:           4
        .value_kind:     by_value
      - .offset:         64
        .size:           4
        .value_kind:     by_value
      - .offset:         68
        .size:           4
        .value_kind:     by_value
      - .offset:         72
        .size:           4
        .value_kind:     by_value
      - .offset:         76
        .size:           4
        .value_kind:     by_value
      - .offset:         80
        .size:           4
        .value_kind:     by_value
      - .offset:         84
        .size:           1
        .value_kind:     by_value
    .group_segment_fixed_size: 64
    .kernarg_segment_align: 8
    .kernarg_segment_size: 88
    .language:       OpenCL C
    .language_version:
      - 2
      - 0
    .max_flat_workgroup_size: 1024
    .name:           _ZN5aiter24add_rmsnorm_quant_kernelIDF16_aLi256ELi32ELb1ELb1ELb1ELi1EEEvPT0_PT_PfS4_S4_S4_diiiiiiib
    .private_segment_fixed_size: 0
    .sgpr_count:     42
    .sgpr_spill_count: 0
    .symbol:         _ZN5aiter24add_rmsnorm_quant_kernelIDF16_aLi256ELi32ELb1ELb1ELb1ELi1EEEvPT0_PT_PfS4_S4_S4_diiiiiiib.kd
    .uniform_work_group_size: 1
    .uses_dynamic_stack: false
    .vgpr_count:     87
    .vgpr_spill_count: 0
    .wavefront_size: 32
    .workgroup_processor_mode: 1
  - .args:
      - .address_space:  global
        .offset:         0
        .size:           8
        .value_kind:     global_buffer
      - .address_space:  global
        .offset:         8
        .size:           8
        .value_kind:     global_buffer
      - .address_space:  global
        .offset:         16
        .size:           8
        .value_kind:     global_buffer
      - .address_space:  global
        .offset:         24
        .size:           8
        .value_kind:     global_buffer
      - .address_space:  global
        .offset:         32
        .size:           8
        .value_kind:     global_buffer
      - .address_space:  global
        .offset:         40
        .size:           8
        .value_kind:     global_buffer
      - .offset:         48
        .size:           8
        .value_kind:     by_value
      - .offset:         56
        .size:           4
        .value_kind:     by_value
      - .offset:         60
        .size:           4
        .value_kind:     by_value
      - .offset:         64
        .size:           4
        .value_kind:     by_value
      - .offset:         68
        .size:           4
        .value_kind:     by_value
      - .offset:         72
        .size:           4
        .value_kind:     by_value
      - .offset:         76
        .size:           4
        .value_kind:     by_value
      - .offset:         80
        .size:           4
        .value_kind:     by_value
      - .offset:         84
        .size:           1
        .value_kind:     by_value
    .group_segment_fixed_size: 64
    .kernarg_segment_align: 8
    .kernarg_segment_size: 88
    .language:       OpenCL C
    .language_version:
      - 2
      - 0
    .max_flat_workgroup_size: 1024
    .name:           _ZN5aiter24add_rmsnorm_quant_kernelItaLi256ELi32ELb1ELb1ELb1ELi1EEEvPT0_PT_PfS4_S4_S4_diiiiiiib
    .private_segment_fixed_size: 0
    .sgpr_count:     42
    .sgpr_spill_count: 0
    .symbol:         _ZN5aiter24add_rmsnorm_quant_kernelItaLi256ELi32ELb1ELb1ELb1ELi1EEEvPT0_PT_PfS4_S4_S4_diiiiiiib.kd
    .uniform_work_group_size: 1
    .uses_dynamic_stack: false
    .vgpr_count:     82
    .vgpr_spill_count: 0
    .wavefront_size: 32
    .workgroup_processor_mode: 1
  - .args:
      - .address_space:  global
        .offset:         0
        .size:           8
        .value_kind:     global_buffer
      - .address_space:  global
        .offset:         8
        .size:           8
        .value_kind:     global_buffer
      - .address_space:  global
        .offset:         16
        .size:           8
        .value_kind:     global_buffer
      - .address_space:  global
        .offset:         24
        .size:           8
        .value_kind:     global_buffer
      - .address_space:  global
        .offset:         32
        .size:           8
        .value_kind:     global_buffer
      - .address_space:  global
        .offset:         40
        .size:           8
        .value_kind:     global_buffer
      - .offset:         48
        .size:           8
        .value_kind:     by_value
      - .offset:         56
        .size:           4
        .value_kind:     by_value
      - .offset:         60
        .size:           4
        .value_kind:     by_value
      - .offset:         64
        .size:           4
        .value_kind:     by_value
      - .offset:         68
        .size:           4
        .value_kind:     by_value
      - .offset:         72
        .size:           4
        .value_kind:     by_value
      - .offset:         76
        .size:           4
        .value_kind:     by_value
      - .offset:         80
        .size:           4
        .value_kind:     by_value
      - .offset:         84
        .size:           1
        .value_kind:     by_value
    .group_segment_fixed_size: 64
    .kernarg_segment_align: 8
    .kernarg_segment_size: 88
    .language:       OpenCL C
    .language_version:
      - 2
      - 0
    .max_flat_workgroup_size: 1024
    .name:           _ZN5aiter24add_rmsnorm_quant_kernelIDF16_aLi256ELi32ELb1ELb1ELb0ELi1EEEvPT0_PT_PfS4_S4_S4_diiiiiiib
    .private_segment_fixed_size: 0
    .sgpr_count:     42
    .sgpr_spill_count: 0
    .symbol:         _ZN5aiter24add_rmsnorm_quant_kernelIDF16_aLi256ELi32ELb1ELb1ELb0ELi1EEEvPT0_PT_PfS4_S4_S4_diiiiiiib.kd
    .uniform_work_group_size: 1
    .uses_dynamic_stack: false
    .vgpr_count:     85
    .vgpr_spill_count: 0
    .wavefront_size: 32
    .workgroup_processor_mode: 1
  - .args:
      - .address_space:  global
        .offset:         0
        .size:           8
        .value_kind:     global_buffer
      - .address_space:  global
        .offset:         8
        .size:           8
        .value_kind:     global_buffer
      - .address_space:  global
        .offset:         16
        .size:           8
        .value_kind:     global_buffer
      - .address_space:  global
        .offset:         24
        .size:           8
        .value_kind:     global_buffer
      - .address_space:  global
        .offset:         32
        .size:           8
        .value_kind:     global_buffer
      - .address_space:  global
        .offset:         40
        .size:           8
        .value_kind:     global_buffer
      - .offset:         48
        .size:           8
        .value_kind:     by_value
      - .offset:         56
        .size:           4
        .value_kind:     by_value
      - .offset:         60
        .size:           4
        .value_kind:     by_value
      - .offset:         64
        .size:           4
        .value_kind:     by_value
      - .offset:         68
        .size:           4
        .value_kind:     by_value
      - .offset:         72
        .size:           4
        .value_kind:     by_value
      - .offset:         76
        .size:           4
        .value_kind:     by_value
      - .offset:         80
        .size:           4
        .value_kind:     by_value
      - .offset:         84
        .size:           1
        .value_kind:     by_value
    .group_segment_fixed_size: 64
    .kernarg_segment_align: 8
    .kernarg_segment_size: 88
    .language:       OpenCL C
    .language_version:
      - 2
      - 0
    .max_flat_workgroup_size: 1024
    .name:           _ZN5aiter24add_rmsnorm_quant_kernelItaLi256ELi32ELb1ELb1ELb0ELi1EEEvPT0_PT_PfS4_S4_S4_diiiiiiib
    .private_segment_fixed_size: 0
    .sgpr_count:     42
    .sgpr_spill_count: 0
    .symbol:         _ZN5aiter24add_rmsnorm_quant_kernelItaLi256ELi32ELb1ELb1ELb0ELi1EEEvPT0_PT_PfS4_S4_S4_diiiiiiib.kd
    .uniform_work_group_size: 1
    .uses_dynamic_stack: false
    .vgpr_count:     80
    .vgpr_spill_count: 0
    .wavefront_size: 32
    .workgroup_processor_mode: 1
  - .args:
      - .address_space:  global
        .offset:         0
        .size:           8
        .value_kind:     global_buffer
      - .address_space:  global
        .offset:         8
        .size:           8
        .value_kind:     global_buffer
      - .address_space:  global
        .offset:         16
        .size:           8
        .value_kind:     global_buffer
      - .address_space:  global
        .offset:         24
        .size:           8
        .value_kind:     global_buffer
      - .address_space:  global
        .offset:         32
        .size:           8
        .value_kind:     global_buffer
      - .address_space:  global
        .offset:         40
        .size:           8
        .value_kind:     global_buffer
      - .offset:         48
        .size:           8
        .value_kind:     by_value
      - .offset:         56
        .size:           4
        .value_kind:     by_value
      - .offset:         60
        .size:           4
        .value_kind:     by_value
      - .offset:         64
        .size:           4
        .value_kind:     by_value
      - .offset:         68
        .size:           4
        .value_kind:     by_value
      - .offset:         72
        .size:           4
        .value_kind:     by_value
      - .offset:         76
        .size:           4
        .value_kind:     by_value
      - .offset:         80
        .size:           4
        .value_kind:     by_value
      - .offset:         84
        .size:           1
        .value_kind:     by_value
    .group_segment_fixed_size: 128
    .kernarg_segment_align: 8
    .kernarg_segment_size: 88
    .language:       OpenCL C
    .language_version:
      - 2
      - 0
    .max_flat_workgroup_size: 1024
    .name:           _ZN5aiter24add_rmsnorm_quant_kernelIDF16_aLi512ELi16ELb1ELb1ELb1ELi1EEEvPT0_PT_PfS4_S4_S4_diiiiiiib
    .private_segment_fixed_size: 0
    .sgpr_count:     42
    .sgpr_spill_count: 0
    .symbol:         _ZN5aiter24add_rmsnorm_quant_kernelIDF16_aLi512ELi16ELb1ELb1ELb1ELi1EEEvPT0_PT_PfS4_S4_S4_diiiiiiib.kd
    .uniform_work_group_size: 1
    .uses_dynamic_stack: false
    .vgpr_count:     48
    .vgpr_spill_count: 0
    .wavefront_size: 32
    .workgroup_processor_mode: 1
  - .args:
      - .address_space:  global
        .offset:         0
        .size:           8
        .value_kind:     global_buffer
      - .address_space:  global
        .offset:         8
        .size:           8
        .value_kind:     global_buffer
      - .address_space:  global
        .offset:         16
        .size:           8
        .value_kind:     global_buffer
      - .address_space:  global
        .offset:         24
        .size:           8
        .value_kind:     global_buffer
      - .address_space:  global
        .offset:         32
        .size:           8
        .value_kind:     global_buffer
      - .address_space:  global
        .offset:         40
        .size:           8
        .value_kind:     global_buffer
      - .offset:         48
        .size:           8
        .value_kind:     by_value
      - .offset:         56
        .size:           4
        .value_kind:     by_value
      - .offset:         60
        .size:           4
        .value_kind:     by_value
      - .offset:         64
        .size:           4
        .value_kind:     by_value
      - .offset:         68
        .size:           4
        .value_kind:     by_value
      - .offset:         72
        .size:           4
        .value_kind:     by_value
      - .offset:         76
        .size:           4
        .value_kind:     by_value
      - .offset:         80
        .size:           4
        .value_kind:     by_value
      - .offset:         84
        .size:           1
        .value_kind:     by_value
    .group_segment_fixed_size: 128
    .kernarg_segment_align: 8
    .kernarg_segment_size: 88
    .language:       OpenCL C
    .language_version:
      - 2
      - 0
    .max_flat_workgroup_size: 1024
    .name:           _ZN5aiter24add_rmsnorm_quant_kernelItaLi512ELi16ELb1ELb1ELb1ELi1EEEvPT0_PT_PfS4_S4_S4_diiiiiiib
    .private_segment_fixed_size: 0
    .sgpr_count:     42
    .sgpr_spill_count: 0
    .symbol:         _ZN5aiter24add_rmsnorm_quant_kernelItaLi512ELi16ELb1ELb1ELb1ELi1EEEvPT0_PT_PfS4_S4_S4_diiiiiiib.kd
    .uniform_work_group_size: 1
    .uses_dynamic_stack: false
    .vgpr_count:     43
    .vgpr_spill_count: 0
    .wavefront_size: 32
    .workgroup_processor_mode: 1
  - .args:
      - .address_space:  global
        .offset:         0
        .size:           8
        .value_kind:     global_buffer
      - .address_space:  global
        .offset:         8
        .size:           8
        .value_kind:     global_buffer
      - .address_space:  global
        .offset:         16
        .size:           8
        .value_kind:     global_buffer
      - .address_space:  global
        .offset:         24
        .size:           8
        .value_kind:     global_buffer
      - .address_space:  global
        .offset:         32
        .size:           8
        .value_kind:     global_buffer
      - .address_space:  global
        .offset:         40
        .size:           8
        .value_kind:     global_buffer
      - .offset:         48
        .size:           8
        .value_kind:     by_value
      - .offset:         56
        .size:           4
        .value_kind:     by_value
      - .offset:         60
        .size:           4
        .value_kind:     by_value
      - .offset:         64
        .size:           4
        .value_kind:     by_value
      - .offset:         68
        .size:           4
        .value_kind:     by_value
      - .offset:         72
        .size:           4
        .value_kind:     by_value
      - .offset:         76
        .size:           4
        .value_kind:     by_value
      - .offset:         80
        .size:           4
        .value_kind:     by_value
      - .offset:         84
        .size:           1
        .value_kind:     by_value
    .group_segment_fixed_size: 128
    .kernarg_segment_align: 8
    .kernarg_segment_size: 88
    .language:       OpenCL C
    .language_version:
      - 2
      - 0
    .max_flat_workgroup_size: 1024
    .name:           _ZN5aiter24add_rmsnorm_quant_kernelIDF16_aLi512ELi16ELb1ELb1ELb0ELi1EEEvPT0_PT_PfS4_S4_S4_diiiiiiib
    .private_segment_fixed_size: 0
    .sgpr_count:     38
    .sgpr_spill_count: 0
    .symbol:         _ZN5aiter24add_rmsnorm_quant_kernelIDF16_aLi512ELi16ELb1ELb1ELb0ELi1EEEvPT0_PT_PfS4_S4_S4_diiiiiiib.kd
    .uniform_work_group_size: 1
    .uses_dynamic_stack: false
    .vgpr_count:     46
    .vgpr_spill_count: 0
    .wavefront_size: 32
    .workgroup_processor_mode: 1
  - .args:
      - .address_space:  global
        .offset:         0
        .size:           8
        .value_kind:     global_buffer
      - .address_space:  global
        .offset:         8
        .size:           8
        .value_kind:     global_buffer
      - .address_space:  global
        .offset:         16
        .size:           8
        .value_kind:     global_buffer
      - .address_space:  global
        .offset:         24
        .size:           8
        .value_kind:     global_buffer
      - .address_space:  global
        .offset:         32
        .size:           8
        .value_kind:     global_buffer
      - .address_space:  global
        .offset:         40
        .size:           8
        .value_kind:     global_buffer
      - .offset:         48
        .size:           8
        .value_kind:     by_value
      - .offset:         56
        .size:           4
        .value_kind:     by_value
      - .offset:         60
        .size:           4
        .value_kind:     by_value
      - .offset:         64
        .size:           4
        .value_kind:     by_value
      - .offset:         68
        .size:           4
        .value_kind:     by_value
      - .offset:         72
        .size:           4
        .value_kind:     by_value
      - .offset:         76
        .size:           4
        .value_kind:     by_value
      - .offset:         80
        .size:           4
        .value_kind:     by_value
      - .offset:         84
        .size:           1
        .value_kind:     by_value
    .group_segment_fixed_size: 128
    .kernarg_segment_align: 8
    .kernarg_segment_size: 88
    .language:       OpenCL C
    .language_version:
      - 2
      - 0
    .max_flat_workgroup_size: 1024
    .name:           _ZN5aiter24add_rmsnorm_quant_kernelItaLi512ELi16ELb1ELb1ELb0ELi1EEEvPT0_PT_PfS4_S4_S4_diiiiiiib
    .private_segment_fixed_size: 0
    .sgpr_count:     38
    .sgpr_spill_count: 0
    .symbol:         _ZN5aiter24add_rmsnorm_quant_kernelItaLi512ELi16ELb1ELb1ELb0ELi1EEEvPT0_PT_PfS4_S4_S4_diiiiiiib.kd
    .uniform_work_group_size: 1
    .uses_dynamic_stack: false
    .vgpr_count:     43
    .vgpr_spill_count: 0
    .wavefront_size: 32
    .workgroup_processor_mode: 1
  - .args:
      - .address_space:  global
        .offset:         0
        .size:           8
        .value_kind:     global_buffer
      - .address_space:  global
        .offset:         8
        .size:           8
        .value_kind:     global_buffer
      - .address_space:  global
        .offset:         16
        .size:           8
        .value_kind:     global_buffer
      - .address_space:  global
        .offset:         24
        .size:           8
        .value_kind:     global_buffer
      - .address_space:  global
        .offset:         32
        .size:           8
        .value_kind:     global_buffer
      - .address_space:  global
        .offset:         40
        .size:           8
        .value_kind:     global_buffer
      - .offset:         48
        .size:           8
        .value_kind:     by_value
      - .offset:         56
        .size:           4
        .value_kind:     by_value
      - .offset:         60
        .size:           4
        .value_kind:     by_value
      - .offset:         64
        .size:           4
        .value_kind:     by_value
      - .offset:         68
        .size:           4
        .value_kind:     by_value
      - .offset:         72
        .size:           4
        .value_kind:     by_value
      - .offset:         76
        .size:           4
        .value_kind:     by_value
      - .offset:         80
        .size:           4
        .value_kind:     by_value
      - .offset:         84
        .size:           1
        .value_kind:     by_value
    .group_segment_fixed_size: 256
    .kernarg_segment_align: 8
    .kernarg_segment_size: 88
    .language:       OpenCL C
    .language_version:
      - 2
      - 0
    .max_flat_workgroup_size: 1024
    .name:           _ZN5aiter24add_rmsnorm_quant_kernelIDF16_aLi1024ELi8ELb1ELb1ELb1ELi1EEEvPT0_PT_PfS4_S4_S4_diiiiiiib
    .private_segment_fixed_size: 0
    .sgpr_count:     38
    .sgpr_spill_count: 0
    .symbol:         _ZN5aiter24add_rmsnorm_quant_kernelIDF16_aLi1024ELi8ELb1ELb1ELb1ELi1EEEvPT0_PT_PfS4_S4_S4_diiiiiiib.kd
    .uniform_work_group_size: 1
    .uses_dynamic_stack: false
    .vgpr_count:     25
    .vgpr_spill_count: 0
    .wavefront_size: 32
    .workgroup_processor_mode: 1
  - .args:
      - .address_space:  global
        .offset:         0
        .size:           8
        .value_kind:     global_buffer
      - .address_space:  global
        .offset:         8
        .size:           8
        .value_kind:     global_buffer
      - .address_space:  global
        .offset:         16
        .size:           8
        .value_kind:     global_buffer
      - .address_space:  global
        .offset:         24
        .size:           8
        .value_kind:     global_buffer
      - .address_space:  global
        .offset:         32
        .size:           8
        .value_kind:     global_buffer
      - .address_space:  global
        .offset:         40
        .size:           8
        .value_kind:     global_buffer
      - .offset:         48
        .size:           8
        .value_kind:     by_value
      - .offset:         56
        .size:           4
        .value_kind:     by_value
      - .offset:         60
        .size:           4
        .value_kind:     by_value
      - .offset:         64
        .size:           4
        .value_kind:     by_value
      - .offset:         68
        .size:           4
        .value_kind:     by_value
      - .offset:         72
        .size:           4
        .value_kind:     by_value
      - .offset:         76
        .size:           4
        .value_kind:     by_value
      - .offset:         80
        .size:           4
        .value_kind:     by_value
      - .offset:         84
        .size:           1
        .value_kind:     by_value
    .group_segment_fixed_size: 256
    .kernarg_segment_align: 8
    .kernarg_segment_size: 88
    .language:       OpenCL C
    .language_version:
      - 2
      - 0
    .max_flat_workgroup_size: 1024
    .name:           _ZN5aiter24add_rmsnorm_quant_kernelItaLi1024ELi8ELb1ELb1ELb1ELi1EEEvPT0_PT_PfS4_S4_S4_diiiiiiib
    .private_segment_fixed_size: 0
    .sgpr_count:     38
    .sgpr_spill_count: 0
    .symbol:         _ZN5aiter24add_rmsnorm_quant_kernelItaLi1024ELi8ELb1ELb1ELb1ELi1EEEvPT0_PT_PfS4_S4_S4_diiiiiiib.kd
    .uniform_work_group_size: 1
    .uses_dynamic_stack: false
    .vgpr_count:     23
    .vgpr_spill_count: 0
    .wavefront_size: 32
    .workgroup_processor_mode: 1
  - .args:
      - .address_space:  global
        .offset:         0
        .size:           8
        .value_kind:     global_buffer
      - .address_space:  global
        .offset:         8
        .size:           8
        .value_kind:     global_buffer
      - .address_space:  global
        .offset:         16
        .size:           8
        .value_kind:     global_buffer
      - .address_space:  global
        .offset:         24
        .size:           8
        .value_kind:     global_buffer
      - .address_space:  global
        .offset:         32
        .size:           8
        .value_kind:     global_buffer
      - .address_space:  global
        .offset:         40
        .size:           8
        .value_kind:     global_buffer
      - .offset:         48
        .size:           8
        .value_kind:     by_value
      - .offset:         56
        .size:           4
        .value_kind:     by_value
      - .offset:         60
        .size:           4
        .value_kind:     by_value
      - .offset:         64
        .size:           4
        .value_kind:     by_value
      - .offset:         68
        .size:           4
        .value_kind:     by_value
      - .offset:         72
        .size:           4
        .value_kind:     by_value
      - .offset:         76
        .size:           4
        .value_kind:     by_value
      - .offset:         80
        .size:           4
        .value_kind:     by_value
      - .offset:         84
        .size:           1
        .value_kind:     by_value
    .group_segment_fixed_size: 256
    .kernarg_segment_align: 8
    .kernarg_segment_size: 88
    .language:       OpenCL C
    .language_version:
      - 2
      - 0
    .max_flat_workgroup_size: 1024
    .name:           _ZN5aiter24add_rmsnorm_quant_kernelIDF16_aLi1024ELi8ELb1ELb1ELb0ELi1EEEvPT0_PT_PfS4_S4_S4_diiiiiiib
    .private_segment_fixed_size: 0
    .sgpr_count:     38
    .sgpr_spill_count: 0
    .symbol:         _ZN5aiter24add_rmsnorm_quant_kernelIDF16_aLi1024ELi8ELb1ELb1ELb0ELi1EEEvPT0_PT_PfS4_S4_S4_diiiiiiib.kd
    .uniform_work_group_size: 1
    .uses_dynamic_stack: false
    .vgpr_count:     25
    .vgpr_spill_count: 0
    .wavefront_size: 32
    .workgroup_processor_mode: 1
  - .args:
      - .address_space:  global
        .offset:         0
        .size:           8
        .value_kind:     global_buffer
      - .address_space:  global
        .offset:         8
        .size:           8
        .value_kind:     global_buffer
      - .address_space:  global
        .offset:         16
        .size:           8
        .value_kind:     global_buffer
      - .address_space:  global
        .offset:         24
        .size:           8
        .value_kind:     global_buffer
      - .address_space:  global
        .offset:         32
        .size:           8
        .value_kind:     global_buffer
      - .address_space:  global
        .offset:         40
        .size:           8
        .value_kind:     global_buffer
      - .offset:         48
        .size:           8
        .value_kind:     by_value
      - .offset:         56
        .size:           4
        .value_kind:     by_value
      - .offset:         60
        .size:           4
        .value_kind:     by_value
      - .offset:         64
        .size:           4
        .value_kind:     by_value
      - .offset:         68
        .size:           4
        .value_kind:     by_value
      - .offset:         72
        .size:           4
        .value_kind:     by_value
      - .offset:         76
        .size:           4
        .value_kind:     by_value
      - .offset:         80
        .size:           4
        .value_kind:     by_value
      - .offset:         84
        .size:           1
        .value_kind:     by_value
    .group_segment_fixed_size: 256
    .kernarg_segment_align: 8
    .kernarg_segment_size: 88
    .language:       OpenCL C
    .language_version:
      - 2
      - 0
    .max_flat_workgroup_size: 1024
    .name:           _ZN5aiter24add_rmsnorm_quant_kernelItaLi1024ELi8ELb1ELb1ELb0ELi1EEEvPT0_PT_PfS4_S4_S4_diiiiiiib
    .private_segment_fixed_size: 0
    .sgpr_count:     38
    .sgpr_spill_count: 0
    .symbol:         _ZN5aiter24add_rmsnorm_quant_kernelItaLi1024ELi8ELb1ELb1ELb0ELi1EEEvPT0_PT_PfS4_S4_S4_diiiiiiib.kd
    .uniform_work_group_size: 1
    .uses_dynamic_stack: false
    .vgpr_count:     23
    .vgpr_spill_count: 0
    .wavefront_size: 32
    .workgroup_processor_mode: 1
  - .args:
      - .address_space:  global
        .offset:         0
        .size:           8
        .value_kind:     global_buffer
      - .address_space:  global
        .offset:         8
        .size:           8
        .value_kind:     global_buffer
      - .address_space:  global
        .offset:         16
        .size:           8
        .value_kind:     global_buffer
      - .address_space:  global
        .offset:         24
        .size:           8
        .value_kind:     global_buffer
      - .address_space:  global
        .offset:         32
        .size:           8
        .value_kind:     global_buffer
      - .address_space:  global
        .offset:         40
        .size:           8
        .value_kind:     global_buffer
      - .offset:         48
        .size:           8
        .value_kind:     by_value
      - .offset:         56
        .size:           4
        .value_kind:     by_value
      - .offset:         60
        .size:           4
        .value_kind:     by_value
      - .offset:         64
        .size:           4
        .value_kind:     by_value
      - .offset:         68
        .size:           4
        .value_kind:     by_value
      - .offset:         72
        .size:           4
        .value_kind:     by_value
      - .offset:         76
        .size:           4
        .value_kind:     by_value
      - .offset:         80
        .size:           4
        .value_kind:     by_value
      - .offset:         84
        .size:           1
        .value_kind:     by_value
    .group_segment_fixed_size: 16
    .kernarg_segment_align: 8
    .kernarg_segment_size: 88
    .language:       OpenCL C
    .language_version:
      - 2
      - 0
    .max_flat_workgroup_size: 1024
    .name:           _ZN5aiter24add_rmsnorm_quant_kernelIDF16_DB8_Li64ELi8ELb0ELb1ELb1ELi1EEEvPT0_PT_PfS5_S5_S5_diiiiiiib
    .private_segment_fixed_size: 0
    .sgpr_count:     31
    .sgpr_spill_count: 0
    .symbol:         _ZN5aiter24add_rmsnorm_quant_kernelIDF16_DB8_Li64ELi8ELb0ELb1ELb1ELi1EEEvPT0_PT_PfS5_S5_S5_diiiiiiib.kd
    .uniform_work_group_size: 1
    .uses_dynamic_stack: false
    .vgpr_count:     23
    .vgpr_spill_count: 0
    .wavefront_size: 32
    .workgroup_processor_mode: 1
  - .args:
      - .address_space:  global
        .offset:         0
        .size:           8
        .value_kind:     global_buffer
      - .address_space:  global
        .offset:         8
        .size:           8
        .value_kind:     global_buffer
      - .address_space:  global
        .offset:         16
        .size:           8
        .value_kind:     global_buffer
      - .address_space:  global
        .offset:         24
        .size:           8
        .value_kind:     global_buffer
      - .address_space:  global
        .offset:         32
        .size:           8
        .value_kind:     global_buffer
      - .address_space:  global
        .offset:         40
        .size:           8
        .value_kind:     global_buffer
      - .offset:         48
        .size:           8
        .value_kind:     by_value
      - .offset:         56
        .size:           4
        .value_kind:     by_value
      - .offset:         60
        .size:           4
        .value_kind:     by_value
      - .offset:         64
        .size:           4
        .value_kind:     by_value
      - .offset:         68
        .size:           4
        .value_kind:     by_value
      - .offset:         72
        .size:           4
        .value_kind:     by_value
      - .offset:         76
        .size:           4
        .value_kind:     by_value
      - .offset:         80
        .size:           4
        .value_kind:     by_value
      - .offset:         84
        .size:           1
        .value_kind:     by_value
    .group_segment_fixed_size: 16
    .kernarg_segment_align: 8
    .kernarg_segment_size: 88
    .language:       OpenCL C
    .language_version:
      - 2
      - 0
    .max_flat_workgroup_size: 1024
    .name:           _ZN5aiter24add_rmsnorm_quant_kernelItDB8_Li64ELi8ELb0ELb1ELb1ELi1EEEvPT0_PT_PfS5_S5_S5_diiiiiiib
    .private_segment_fixed_size: 0
    .sgpr_count:     31
    .sgpr_spill_count: 0
    .symbol:         _ZN5aiter24add_rmsnorm_quant_kernelItDB8_Li64ELi8ELb0ELb1ELb1ELi1EEEvPT0_PT_PfS5_S5_S5_diiiiiiib.kd
    .uniform_work_group_size: 1
    .uses_dynamic_stack: false
    .vgpr_count:     23
    .vgpr_spill_count: 0
    .wavefront_size: 32
    .workgroup_processor_mode: 1
  - .args:
      - .address_space:  global
        .offset:         0
        .size:           8
        .value_kind:     global_buffer
      - .address_space:  global
        .offset:         8
        .size:           8
        .value_kind:     global_buffer
      - .address_space:  global
        .offset:         16
        .size:           8
        .value_kind:     global_buffer
      - .address_space:  global
        .offset:         24
        .size:           8
        .value_kind:     global_buffer
      - .address_space:  global
        .offset:         32
        .size:           8
        .value_kind:     global_buffer
      - .address_space:  global
        .offset:         40
        .size:           8
        .value_kind:     global_buffer
      - .offset:         48
        .size:           8
        .value_kind:     by_value
      - .offset:         56
        .size:           4
        .value_kind:     by_value
      - .offset:         60
        .size:           4
        .value_kind:     by_value
      - .offset:         64
        .size:           4
        .value_kind:     by_value
      - .offset:         68
        .size:           4
        .value_kind:     by_value
      - .offset:         72
        .size:           4
        .value_kind:     by_value
      - .offset:         76
        .size:           4
        .value_kind:     by_value
      - .offset:         80
        .size:           4
        .value_kind:     by_value
      - .offset:         84
        .size:           1
        .value_kind:     by_value
    .group_segment_fixed_size: 16
    .kernarg_segment_align: 8
    .kernarg_segment_size: 88
    .language:       OpenCL C
    .language_version:
      - 2
      - 0
    .max_flat_workgroup_size: 1024
    .name:           _ZN5aiter24add_rmsnorm_quant_kernelIDF16_DB8_Li64ELi8ELb0ELb1ELb0ELi1EEEvPT0_PT_PfS5_S5_S5_diiiiiiib
    .private_segment_fixed_size: 0
    .sgpr_count:     31
    .sgpr_spill_count: 0
    .symbol:         _ZN5aiter24add_rmsnorm_quant_kernelIDF16_DB8_Li64ELi8ELb0ELb1ELb0ELi1EEEvPT0_PT_PfS5_S5_S5_diiiiiiib.kd
    .uniform_work_group_size: 1
    .uses_dynamic_stack: false
    .vgpr_count:     23
    .vgpr_spill_count: 0
    .wavefront_size: 32
    .workgroup_processor_mode: 1
  - .args:
      - .address_space:  global
        .offset:         0
        .size:           8
        .value_kind:     global_buffer
      - .address_space:  global
        .offset:         8
        .size:           8
        .value_kind:     global_buffer
      - .address_space:  global
        .offset:         16
        .size:           8
        .value_kind:     global_buffer
      - .address_space:  global
        .offset:         24
        .size:           8
        .value_kind:     global_buffer
      - .address_space:  global
        .offset:         32
        .size:           8
        .value_kind:     global_buffer
      - .address_space:  global
        .offset:         40
        .size:           8
        .value_kind:     global_buffer
      - .offset:         48
        .size:           8
        .value_kind:     by_value
      - .offset:         56
        .size:           4
        .value_kind:     by_value
      - .offset:         60
        .size:           4
        .value_kind:     by_value
      - .offset:         64
        .size:           4
        .value_kind:     by_value
      - .offset:         68
        .size:           4
        .value_kind:     by_value
      - .offset:         72
        .size:           4
        .value_kind:     by_value
      - .offset:         76
        .size:           4
        .value_kind:     by_value
      - .offset:         80
        .size:           4
        .value_kind:     by_value
      - .offset:         84
        .size:           1
        .value_kind:     by_value
    .group_segment_fixed_size: 16
    .kernarg_segment_align: 8
    .kernarg_segment_size: 88
    .language:       OpenCL C
    .language_version:
      - 2
      - 0
    .max_flat_workgroup_size: 1024
    .name:           _ZN5aiter24add_rmsnorm_quant_kernelItDB8_Li64ELi8ELb0ELb1ELb0ELi1EEEvPT0_PT_PfS5_S5_S5_diiiiiiib
    .private_segment_fixed_size: 0
    .sgpr_count:     31
    .sgpr_spill_count: 0
    .symbol:         _ZN5aiter24add_rmsnorm_quant_kernelItDB8_Li64ELi8ELb0ELb1ELb0ELi1EEEvPT0_PT_PfS5_S5_S5_diiiiiiib.kd
    .uniform_work_group_size: 1
    .uses_dynamic_stack: false
    .vgpr_count:     23
    .vgpr_spill_count: 0
    .wavefront_size: 32
    .workgroup_processor_mode: 1
  - .args:
      - .address_space:  global
        .offset:         0
        .size:           8
        .value_kind:     global_buffer
      - .address_space:  global
        .offset:         8
        .size:           8
        .value_kind:     global_buffer
      - .address_space:  global
        .offset:         16
        .size:           8
        .value_kind:     global_buffer
      - .address_space:  global
        .offset:         24
        .size:           8
        .value_kind:     global_buffer
      - .address_space:  global
        .offset:         32
        .size:           8
        .value_kind:     global_buffer
      - .address_space:  global
        .offset:         40
        .size:           8
        .value_kind:     global_buffer
      - .offset:         48
        .size:           8
        .value_kind:     by_value
      - .offset:         56
        .size:           4
        .value_kind:     by_value
      - .offset:         60
        .size:           4
        .value_kind:     by_value
      - .offset:         64
        .size:           4
        .value_kind:     by_value
      - .offset:         68
        .size:           4
        .value_kind:     by_value
      - .offset:         72
        .size:           4
        .value_kind:     by_value
      - .offset:         76
        .size:           4
        .value_kind:     by_value
      - .offset:         80
        .size:           4
        .value_kind:     by_value
      - .offset:         84
        .size:           1
        .value_kind:     by_value
    .group_segment_fixed_size: 32
    .kernarg_segment_align: 8
    .kernarg_segment_size: 88
    .language:       OpenCL C
    .language_version:
      - 2
      - 0
    .max_flat_workgroup_size: 1024
    .name:           _ZN5aiter24add_rmsnorm_quant_kernelIDF16_DB8_Li128ELi8ELb0ELb1ELb1ELi1EEEvPT0_PT_PfS5_S5_S5_diiiiiiib
    .private_segment_fixed_size: 0
    .sgpr_count:     31
    .sgpr_spill_count: 0
    .symbol:         _ZN5aiter24add_rmsnorm_quant_kernelIDF16_DB8_Li128ELi8ELb0ELb1ELb1ELi1EEEvPT0_PT_PfS5_S5_S5_diiiiiiib.kd
    .uniform_work_group_size: 1
    .uses_dynamic_stack: false
    .vgpr_count:     23
    .vgpr_spill_count: 0
    .wavefront_size: 32
    .workgroup_processor_mode: 1
  - .args:
      - .address_space:  global
        .offset:         0
        .size:           8
        .value_kind:     global_buffer
      - .address_space:  global
        .offset:         8
        .size:           8
        .value_kind:     global_buffer
      - .address_space:  global
        .offset:         16
        .size:           8
        .value_kind:     global_buffer
      - .address_space:  global
        .offset:         24
        .size:           8
        .value_kind:     global_buffer
      - .address_space:  global
        .offset:         32
        .size:           8
        .value_kind:     global_buffer
      - .address_space:  global
        .offset:         40
        .size:           8
        .value_kind:     global_buffer
      - .offset:         48
        .size:           8
        .value_kind:     by_value
      - .offset:         56
        .size:           4
        .value_kind:     by_value
      - .offset:         60
        .size:           4
        .value_kind:     by_value
      - .offset:         64
        .size:           4
        .value_kind:     by_value
      - .offset:         68
        .size:           4
        .value_kind:     by_value
      - .offset:         72
        .size:           4
        .value_kind:     by_value
      - .offset:         76
        .size:           4
        .value_kind:     by_value
      - .offset:         80
        .size:           4
        .value_kind:     by_value
      - .offset:         84
        .size:           1
        .value_kind:     by_value
    .group_segment_fixed_size: 32
    .kernarg_segment_align: 8
    .kernarg_segment_size: 88
    .language:       OpenCL C
    .language_version:
      - 2
      - 0
    .max_flat_workgroup_size: 1024
    .name:           _ZN5aiter24add_rmsnorm_quant_kernelItDB8_Li128ELi8ELb0ELb1ELb1ELi1EEEvPT0_PT_PfS5_S5_S5_diiiiiiib
    .private_segment_fixed_size: 0
    .sgpr_count:     31
    .sgpr_spill_count: 0
    .symbol:         _ZN5aiter24add_rmsnorm_quant_kernelItDB8_Li128ELi8ELb0ELb1ELb1ELi1EEEvPT0_PT_PfS5_S5_S5_diiiiiiib.kd
    .uniform_work_group_size: 1
    .uses_dynamic_stack: false
    .vgpr_count:     23
    .vgpr_spill_count: 0
    .wavefront_size: 32
    .workgroup_processor_mode: 1
  - .args:
      - .address_space:  global
        .offset:         0
        .size:           8
        .value_kind:     global_buffer
      - .address_space:  global
        .offset:         8
        .size:           8
        .value_kind:     global_buffer
      - .address_space:  global
        .offset:         16
        .size:           8
        .value_kind:     global_buffer
      - .address_space:  global
        .offset:         24
        .size:           8
        .value_kind:     global_buffer
      - .address_space:  global
        .offset:         32
        .size:           8
        .value_kind:     global_buffer
      - .address_space:  global
        .offset:         40
        .size:           8
        .value_kind:     global_buffer
      - .offset:         48
        .size:           8
        .value_kind:     by_value
      - .offset:         56
        .size:           4
        .value_kind:     by_value
      - .offset:         60
        .size:           4
        .value_kind:     by_value
      - .offset:         64
        .size:           4
        .value_kind:     by_value
      - .offset:         68
        .size:           4
        .value_kind:     by_value
      - .offset:         72
        .size:           4
        .value_kind:     by_value
      - .offset:         76
        .size:           4
        .value_kind:     by_value
      - .offset:         80
        .size:           4
        .value_kind:     by_value
      - .offset:         84
        .size:           1
        .value_kind:     by_value
    .group_segment_fixed_size: 32
    .kernarg_segment_align: 8
    .kernarg_segment_size: 88
    .language:       OpenCL C
    .language_version:
      - 2
      - 0
    .max_flat_workgroup_size: 1024
    .name:           _ZN5aiter24add_rmsnorm_quant_kernelIDF16_DB8_Li128ELi8ELb0ELb1ELb0ELi1EEEvPT0_PT_PfS5_S5_S5_diiiiiiib
    .private_segment_fixed_size: 0
    .sgpr_count:     31
    .sgpr_spill_count: 0
    .symbol:         _ZN5aiter24add_rmsnorm_quant_kernelIDF16_DB8_Li128ELi8ELb0ELb1ELb0ELi1EEEvPT0_PT_PfS5_S5_S5_diiiiiiib.kd
    .uniform_work_group_size: 1
    .uses_dynamic_stack: false
    .vgpr_count:     23
    .vgpr_spill_count: 0
    .wavefront_size: 32
    .workgroup_processor_mode: 1
  - .args:
      - .address_space:  global
        .offset:         0
        .size:           8
        .value_kind:     global_buffer
      - .address_space:  global
        .offset:         8
        .size:           8
        .value_kind:     global_buffer
      - .address_space:  global
        .offset:         16
        .size:           8
        .value_kind:     global_buffer
      - .address_space:  global
        .offset:         24
        .size:           8
        .value_kind:     global_buffer
      - .address_space:  global
        .offset:         32
        .size:           8
        .value_kind:     global_buffer
      - .address_space:  global
        .offset:         40
        .size:           8
        .value_kind:     global_buffer
      - .offset:         48
        .size:           8
        .value_kind:     by_value
      - .offset:         56
        .size:           4
        .value_kind:     by_value
      - .offset:         60
        .size:           4
        .value_kind:     by_value
      - .offset:         64
        .size:           4
        .value_kind:     by_value
      - .offset:         68
        .size:           4
        .value_kind:     by_value
      - .offset:         72
        .size:           4
        .value_kind:     by_value
      - .offset:         76
        .size:           4
        .value_kind:     by_value
      - .offset:         80
        .size:           4
        .value_kind:     by_value
      - .offset:         84
        .size:           1
        .value_kind:     by_value
    .group_segment_fixed_size: 32
    .kernarg_segment_align: 8
    .kernarg_segment_size: 88
    .language:       OpenCL C
    .language_version:
      - 2
      - 0
    .max_flat_workgroup_size: 1024
    .name:           _ZN5aiter24add_rmsnorm_quant_kernelItDB8_Li128ELi8ELb0ELb1ELb0ELi1EEEvPT0_PT_PfS5_S5_S5_diiiiiiib
    .private_segment_fixed_size: 0
    .sgpr_count:     31
    .sgpr_spill_count: 0
    .symbol:         _ZN5aiter24add_rmsnorm_quant_kernelItDB8_Li128ELi8ELb0ELb1ELb0ELi1EEEvPT0_PT_PfS5_S5_S5_diiiiiiib.kd
    .uniform_work_group_size: 1
    .uses_dynamic_stack: false
    .vgpr_count:     23
    .vgpr_spill_count: 0
    .wavefront_size: 32
    .workgroup_processor_mode: 1
  - .args:
      - .address_space:  global
        .offset:         0
        .size:           8
        .value_kind:     global_buffer
      - .address_space:  global
        .offset:         8
        .size:           8
        .value_kind:     global_buffer
      - .address_space:  global
        .offset:         16
        .size:           8
        .value_kind:     global_buffer
      - .address_space:  global
        .offset:         24
        .size:           8
        .value_kind:     global_buffer
      - .address_space:  global
        .offset:         32
        .size:           8
        .value_kind:     global_buffer
      - .address_space:  global
        .offset:         40
        .size:           8
        .value_kind:     global_buffer
      - .offset:         48
        .size:           8
        .value_kind:     by_value
      - .offset:         56
        .size:           4
        .value_kind:     by_value
      - .offset:         60
        .size:           4
        .value_kind:     by_value
      - .offset:         64
        .size:           4
        .value_kind:     by_value
      - .offset:         68
        .size:           4
        .value_kind:     by_value
      - .offset:         72
        .size:           4
        .value_kind:     by_value
      - .offset:         76
        .size:           4
        .value_kind:     by_value
      - .offset:         80
        .size:           4
        .value_kind:     by_value
      - .offset:         84
        .size:           1
        .value_kind:     by_value
    .group_segment_fixed_size: 64
    .kernarg_segment_align: 8
    .kernarg_segment_size: 88
    .language:       OpenCL C
    .language_version:
      - 2
      - 0
    .max_flat_workgroup_size: 1024
    .name:           _ZN5aiter24add_rmsnorm_quant_kernelIDF16_DB8_Li256ELi8ELb0ELb1ELb1ELi1EEEvPT0_PT_PfS5_S5_S5_diiiiiiib
    .private_segment_fixed_size: 0
    .sgpr_count:     31
    .sgpr_spill_count: 0
    .symbol:         _ZN5aiter24add_rmsnorm_quant_kernelIDF16_DB8_Li256ELi8ELb0ELb1ELb1ELi1EEEvPT0_PT_PfS5_S5_S5_diiiiiiib.kd
    .uniform_work_group_size: 1
    .uses_dynamic_stack: false
    .vgpr_count:     23
    .vgpr_spill_count: 0
    .wavefront_size: 32
    .workgroup_processor_mode: 1
  - .args:
      - .address_space:  global
        .offset:         0
        .size:           8
        .value_kind:     global_buffer
      - .address_space:  global
        .offset:         8
        .size:           8
        .value_kind:     global_buffer
      - .address_space:  global
        .offset:         16
        .size:           8
        .value_kind:     global_buffer
      - .address_space:  global
        .offset:         24
        .size:           8
        .value_kind:     global_buffer
      - .address_space:  global
        .offset:         32
        .size:           8
        .value_kind:     global_buffer
      - .address_space:  global
        .offset:         40
        .size:           8
        .value_kind:     global_buffer
      - .offset:         48
        .size:           8
        .value_kind:     by_value
      - .offset:         56
        .size:           4
        .value_kind:     by_value
      - .offset:         60
        .size:           4
        .value_kind:     by_value
      - .offset:         64
        .size:           4
        .value_kind:     by_value
      - .offset:         68
        .size:           4
        .value_kind:     by_value
      - .offset:         72
        .size:           4
        .value_kind:     by_value
      - .offset:         76
        .size:           4
        .value_kind:     by_value
      - .offset:         80
        .size:           4
        .value_kind:     by_value
      - .offset:         84
        .size:           1
        .value_kind:     by_value
    .group_segment_fixed_size: 64
    .kernarg_segment_align: 8
    .kernarg_segment_size: 88
    .language:       OpenCL C
    .language_version:
      - 2
      - 0
    .max_flat_workgroup_size: 1024
    .name:           _ZN5aiter24add_rmsnorm_quant_kernelItDB8_Li256ELi8ELb0ELb1ELb1ELi1EEEvPT0_PT_PfS5_S5_S5_diiiiiiib
    .private_segment_fixed_size: 0
    .sgpr_count:     31
    .sgpr_spill_count: 0
    .symbol:         _ZN5aiter24add_rmsnorm_quant_kernelItDB8_Li256ELi8ELb0ELb1ELb1ELi1EEEvPT0_PT_PfS5_S5_S5_diiiiiiib.kd
    .uniform_work_group_size: 1
    .uses_dynamic_stack: false
    .vgpr_count:     23
    .vgpr_spill_count: 0
    .wavefront_size: 32
    .workgroup_processor_mode: 1
  - .args:
      - .address_space:  global
        .offset:         0
        .size:           8
        .value_kind:     global_buffer
      - .address_space:  global
        .offset:         8
        .size:           8
        .value_kind:     global_buffer
      - .address_space:  global
        .offset:         16
        .size:           8
        .value_kind:     global_buffer
      - .address_space:  global
        .offset:         24
        .size:           8
        .value_kind:     global_buffer
      - .address_space:  global
        .offset:         32
        .size:           8
        .value_kind:     global_buffer
      - .address_space:  global
        .offset:         40
        .size:           8
        .value_kind:     global_buffer
      - .offset:         48
        .size:           8
        .value_kind:     by_value
      - .offset:         56
        .size:           4
        .value_kind:     by_value
      - .offset:         60
        .size:           4
        .value_kind:     by_value
      - .offset:         64
        .size:           4
        .value_kind:     by_value
      - .offset:         68
        .size:           4
        .value_kind:     by_value
      - .offset:         72
        .size:           4
        .value_kind:     by_value
      - .offset:         76
        .size:           4
        .value_kind:     by_value
      - .offset:         80
        .size:           4
        .value_kind:     by_value
      - .offset:         84
        .size:           1
        .value_kind:     by_value
    .group_segment_fixed_size: 64
    .kernarg_segment_align: 8
    .kernarg_segment_size: 88
    .language:       OpenCL C
    .language_version:
      - 2
      - 0
    .max_flat_workgroup_size: 1024
    .name:           _ZN5aiter24add_rmsnorm_quant_kernelIDF16_DB8_Li256ELi8ELb0ELb1ELb0ELi1EEEvPT0_PT_PfS5_S5_S5_diiiiiiib
    .private_segment_fixed_size: 0
    .sgpr_count:     31
    .sgpr_spill_count: 0
    .symbol:         _ZN5aiter24add_rmsnorm_quant_kernelIDF16_DB8_Li256ELi8ELb0ELb1ELb0ELi1EEEvPT0_PT_PfS5_S5_S5_diiiiiiib.kd
    .uniform_work_group_size: 1
    .uses_dynamic_stack: false
    .vgpr_count:     23
    .vgpr_spill_count: 0
    .wavefront_size: 32
    .workgroup_processor_mode: 1
  - .args:
      - .address_space:  global
        .offset:         0
        .size:           8
        .value_kind:     global_buffer
      - .address_space:  global
        .offset:         8
        .size:           8
        .value_kind:     global_buffer
      - .address_space:  global
        .offset:         16
        .size:           8
        .value_kind:     global_buffer
      - .address_space:  global
        .offset:         24
        .size:           8
        .value_kind:     global_buffer
      - .address_space:  global
        .offset:         32
        .size:           8
        .value_kind:     global_buffer
      - .address_space:  global
        .offset:         40
        .size:           8
        .value_kind:     global_buffer
      - .offset:         48
        .size:           8
        .value_kind:     by_value
      - .offset:         56
        .size:           4
        .value_kind:     by_value
      - .offset:         60
        .size:           4
        .value_kind:     by_value
      - .offset:         64
        .size:           4
        .value_kind:     by_value
      - .offset:         68
        .size:           4
        .value_kind:     by_value
      - .offset:         72
        .size:           4
        .value_kind:     by_value
      - .offset:         76
        .size:           4
        .value_kind:     by_value
      - .offset:         80
        .size:           4
        .value_kind:     by_value
      - .offset:         84
        .size:           1
        .value_kind:     by_value
    .group_segment_fixed_size: 64
    .kernarg_segment_align: 8
    .kernarg_segment_size: 88
    .language:       OpenCL C
    .language_version:
      - 2
      - 0
    .max_flat_workgroup_size: 1024
    .name:           _ZN5aiter24add_rmsnorm_quant_kernelItDB8_Li256ELi8ELb0ELb1ELb0ELi1EEEvPT0_PT_PfS5_S5_S5_diiiiiiib
    .private_segment_fixed_size: 0
    .sgpr_count:     31
    .sgpr_spill_count: 0
    .symbol:         _ZN5aiter24add_rmsnorm_quant_kernelItDB8_Li256ELi8ELb0ELb1ELb0ELi1EEEvPT0_PT_PfS5_S5_S5_diiiiiiib.kd
    .uniform_work_group_size: 1
    .uses_dynamic_stack: false
    .vgpr_count:     23
    .vgpr_spill_count: 0
    .wavefront_size: 32
    .workgroup_processor_mode: 1
  - .args:
      - .address_space:  global
        .offset:         0
        .size:           8
        .value_kind:     global_buffer
      - .address_space:  global
        .offset:         8
        .size:           8
        .value_kind:     global_buffer
      - .address_space:  global
        .offset:         16
        .size:           8
        .value_kind:     global_buffer
      - .address_space:  global
        .offset:         24
        .size:           8
        .value_kind:     global_buffer
      - .address_space:  global
        .offset:         32
        .size:           8
        .value_kind:     global_buffer
      - .address_space:  global
        .offset:         40
        .size:           8
        .value_kind:     global_buffer
      - .offset:         48
        .size:           8
        .value_kind:     by_value
      - .offset:         56
        .size:           4
        .value_kind:     by_value
      - .offset:         60
        .size:           4
        .value_kind:     by_value
      - .offset:         64
        .size:           4
        .value_kind:     by_value
      - .offset:         68
        .size:           4
        .value_kind:     by_value
      - .offset:         72
        .size:           4
        .value_kind:     by_value
      - .offset:         76
        .size:           4
        .value_kind:     by_value
      - .offset:         80
        .size:           4
        .value_kind:     by_value
      - .offset:         84
        .size:           1
        .value_kind:     by_value
    .group_segment_fixed_size: 64
    .kernarg_segment_align: 8
    .kernarg_segment_size: 88
    .language:       OpenCL C
    .language_version:
      - 2
      - 0
    .max_flat_workgroup_size: 1024
    .name:           _ZN5aiter24add_rmsnorm_quant_kernelIDF16_DB8_Li256ELi16ELb0ELb1ELb1ELi1EEEvPT0_PT_PfS5_S5_S5_diiiiiiib
    .private_segment_fixed_size: 0
    .sgpr_count:     31
    .sgpr_spill_count: 0
    .symbol:         _ZN5aiter24add_rmsnorm_quant_kernelIDF16_DB8_Li256ELi16ELb0ELb1ELb1ELi1EEEvPT0_PT_PfS5_S5_S5_diiiiiiib.kd
    .uniform_work_group_size: 1
    .uses_dynamic_stack: false
    .vgpr_count:     43
    .vgpr_spill_count: 0
    .wavefront_size: 32
    .workgroup_processor_mode: 1
  - .args:
      - .address_space:  global
        .offset:         0
        .size:           8
        .value_kind:     global_buffer
      - .address_space:  global
        .offset:         8
        .size:           8
        .value_kind:     global_buffer
      - .address_space:  global
        .offset:         16
        .size:           8
        .value_kind:     global_buffer
      - .address_space:  global
        .offset:         24
        .size:           8
        .value_kind:     global_buffer
      - .address_space:  global
        .offset:         32
        .size:           8
        .value_kind:     global_buffer
      - .address_space:  global
        .offset:         40
        .size:           8
        .value_kind:     global_buffer
      - .offset:         48
        .size:           8
        .value_kind:     by_value
      - .offset:         56
        .size:           4
        .value_kind:     by_value
      - .offset:         60
        .size:           4
        .value_kind:     by_value
      - .offset:         64
        .size:           4
        .value_kind:     by_value
      - .offset:         68
        .size:           4
        .value_kind:     by_value
      - .offset:         72
        .size:           4
        .value_kind:     by_value
      - .offset:         76
        .size:           4
        .value_kind:     by_value
      - .offset:         80
        .size:           4
        .value_kind:     by_value
      - .offset:         84
        .size:           1
        .value_kind:     by_value
    .group_segment_fixed_size: 64
    .kernarg_segment_align: 8
    .kernarg_segment_size: 88
    .language:       OpenCL C
    .language_version:
      - 2
      - 0
    .max_flat_workgroup_size: 1024
    .name:           _ZN5aiter24add_rmsnorm_quant_kernelItDB8_Li256ELi16ELb0ELb1ELb1ELi1EEEvPT0_PT_PfS5_S5_S5_diiiiiiib
    .private_segment_fixed_size: 0
    .sgpr_count:     31
    .sgpr_spill_count: 0
    .symbol:         _ZN5aiter24add_rmsnorm_quant_kernelItDB8_Li256ELi16ELb0ELb1ELb1ELi1EEEvPT0_PT_PfS5_S5_S5_diiiiiiib.kd
    .uniform_work_group_size: 1
    .uses_dynamic_stack: false
    .vgpr_count:     42
    .vgpr_spill_count: 0
    .wavefront_size: 32
    .workgroup_processor_mode: 1
  - .args:
      - .address_space:  global
        .offset:         0
        .size:           8
        .value_kind:     global_buffer
      - .address_space:  global
        .offset:         8
        .size:           8
        .value_kind:     global_buffer
      - .address_space:  global
        .offset:         16
        .size:           8
        .value_kind:     global_buffer
      - .address_space:  global
        .offset:         24
        .size:           8
        .value_kind:     global_buffer
      - .address_space:  global
        .offset:         32
        .size:           8
        .value_kind:     global_buffer
      - .address_space:  global
        .offset:         40
        .size:           8
        .value_kind:     global_buffer
      - .offset:         48
        .size:           8
        .value_kind:     by_value
      - .offset:         56
        .size:           4
        .value_kind:     by_value
      - .offset:         60
        .size:           4
        .value_kind:     by_value
      - .offset:         64
        .size:           4
        .value_kind:     by_value
      - .offset:         68
        .size:           4
        .value_kind:     by_value
      - .offset:         72
        .size:           4
        .value_kind:     by_value
      - .offset:         76
        .size:           4
        .value_kind:     by_value
      - .offset:         80
        .size:           4
        .value_kind:     by_value
      - .offset:         84
        .size:           1
        .value_kind:     by_value
    .group_segment_fixed_size: 64
    .kernarg_segment_align: 8
    .kernarg_segment_size: 88
    .language:       OpenCL C
    .language_version:
      - 2
      - 0
    .max_flat_workgroup_size: 1024
    .name:           _ZN5aiter24add_rmsnorm_quant_kernelIDF16_DB8_Li256ELi16ELb0ELb1ELb0ELi1EEEvPT0_PT_PfS5_S5_S5_diiiiiiib
    .private_segment_fixed_size: 0
    .sgpr_count:     31
    .sgpr_spill_count: 0
    .symbol:         _ZN5aiter24add_rmsnorm_quant_kernelIDF16_DB8_Li256ELi16ELb0ELb1ELb0ELi1EEEvPT0_PT_PfS5_S5_S5_diiiiiiib.kd
    .uniform_work_group_size: 1
    .uses_dynamic_stack: false
    .vgpr_count:     42
    .vgpr_spill_count: 0
    .wavefront_size: 32
    .workgroup_processor_mode: 1
  - .args:
      - .address_space:  global
        .offset:         0
        .size:           8
        .value_kind:     global_buffer
      - .address_space:  global
        .offset:         8
        .size:           8
        .value_kind:     global_buffer
      - .address_space:  global
        .offset:         16
        .size:           8
        .value_kind:     global_buffer
      - .address_space:  global
        .offset:         24
        .size:           8
        .value_kind:     global_buffer
      - .address_space:  global
        .offset:         32
        .size:           8
        .value_kind:     global_buffer
      - .address_space:  global
        .offset:         40
        .size:           8
        .value_kind:     global_buffer
      - .offset:         48
        .size:           8
        .value_kind:     by_value
      - .offset:         56
        .size:           4
        .value_kind:     by_value
      - .offset:         60
        .size:           4
        .value_kind:     by_value
      - .offset:         64
        .size:           4
        .value_kind:     by_value
      - .offset:         68
        .size:           4
        .value_kind:     by_value
      - .offset:         72
        .size:           4
        .value_kind:     by_value
      - .offset:         76
        .size:           4
        .value_kind:     by_value
      - .offset:         80
        .size:           4
        .value_kind:     by_value
      - .offset:         84
        .size:           1
        .value_kind:     by_value
    .group_segment_fixed_size: 64
    .kernarg_segment_align: 8
    .kernarg_segment_size: 88
    .language:       OpenCL C
    .language_version:
      - 2
      - 0
    .max_flat_workgroup_size: 1024
    .name:           _ZN5aiter24add_rmsnorm_quant_kernelItDB8_Li256ELi16ELb0ELb1ELb0ELi1EEEvPT0_PT_PfS5_S5_S5_diiiiiiib
    .private_segment_fixed_size: 0
    .sgpr_count:     31
    .sgpr_spill_count: 0
    .symbol:         _ZN5aiter24add_rmsnorm_quant_kernelItDB8_Li256ELi16ELb0ELb1ELb0ELi1EEEvPT0_PT_PfS5_S5_S5_diiiiiiib.kd
    .uniform_work_group_size: 1
    .uses_dynamic_stack: false
    .vgpr_count:     41
    .vgpr_spill_count: 0
    .wavefront_size: 32
    .workgroup_processor_mode: 1
  - .args:
      - .address_space:  global
        .offset:         0
        .size:           8
        .value_kind:     global_buffer
      - .address_space:  global
        .offset:         8
        .size:           8
        .value_kind:     global_buffer
      - .address_space:  global
        .offset:         16
        .size:           8
        .value_kind:     global_buffer
      - .address_space:  global
        .offset:         24
        .size:           8
        .value_kind:     global_buffer
      - .address_space:  global
        .offset:         32
        .size:           8
        .value_kind:     global_buffer
      - .address_space:  global
        .offset:         40
        .size:           8
        .value_kind:     global_buffer
      - .offset:         48
        .size:           8
        .value_kind:     by_value
      - .offset:         56
        .size:           4
        .value_kind:     by_value
      - .offset:         60
        .size:           4
        .value_kind:     by_value
      - .offset:         64
        .size:           4
        .value_kind:     by_value
      - .offset:         68
        .size:           4
        .value_kind:     by_value
      - .offset:         72
        .size:           4
        .value_kind:     by_value
      - .offset:         76
        .size:           4
        .value_kind:     by_value
      - .offset:         80
        .size:           4
        .value_kind:     by_value
      - .offset:         84
        .size:           1
        .value_kind:     by_value
    .group_segment_fixed_size: 64
    .kernarg_segment_align: 8
    .kernarg_segment_size: 88
    .language:       OpenCL C
    .language_version:
      - 2
      - 0
    .max_flat_workgroup_size: 1024
    .name:           _ZN5aiter24add_rmsnorm_quant_kernelIDF16_DB8_Li256ELi24ELb0ELb1ELb1ELi1EEEvPT0_PT_PfS5_S5_S5_diiiiiiib
    .private_segment_fixed_size: 0
    .sgpr_count:     31
    .sgpr_spill_count: 0
    .symbol:         _ZN5aiter24add_rmsnorm_quant_kernelIDF16_DB8_Li256ELi24ELb0ELb1ELb1ELi1EEEvPT0_PT_PfS5_S5_S5_diiiiiiib.kd
    .uniform_work_group_size: 1
    .uses_dynamic_stack: false
    .vgpr_count:     60
    .vgpr_spill_count: 0
    .wavefront_size: 32
    .workgroup_processor_mode: 1
  - .args:
      - .address_space:  global
        .offset:         0
        .size:           8
        .value_kind:     global_buffer
      - .address_space:  global
        .offset:         8
        .size:           8
        .value_kind:     global_buffer
      - .address_space:  global
        .offset:         16
        .size:           8
        .value_kind:     global_buffer
      - .address_space:  global
        .offset:         24
        .size:           8
        .value_kind:     global_buffer
      - .address_space:  global
        .offset:         32
        .size:           8
        .value_kind:     global_buffer
      - .address_space:  global
        .offset:         40
        .size:           8
        .value_kind:     global_buffer
      - .offset:         48
        .size:           8
        .value_kind:     by_value
      - .offset:         56
        .size:           4
        .value_kind:     by_value
      - .offset:         60
        .size:           4
        .value_kind:     by_value
      - .offset:         64
        .size:           4
        .value_kind:     by_value
      - .offset:         68
        .size:           4
        .value_kind:     by_value
      - .offset:         72
        .size:           4
        .value_kind:     by_value
      - .offset:         76
        .size:           4
        .value_kind:     by_value
      - .offset:         80
        .size:           4
        .value_kind:     by_value
      - .offset:         84
        .size:           1
        .value_kind:     by_value
    .group_segment_fixed_size: 64
    .kernarg_segment_align: 8
    .kernarg_segment_size: 88
    .language:       OpenCL C
    .language_version:
      - 2
      - 0
    .max_flat_workgroup_size: 1024
    .name:           _ZN5aiter24add_rmsnorm_quant_kernelItDB8_Li256ELi24ELb0ELb1ELb1ELi1EEEvPT0_PT_PfS5_S5_S5_diiiiiiib
    .private_segment_fixed_size: 0
    .sgpr_count:     31
    .sgpr_spill_count: 0
    .symbol:         _ZN5aiter24add_rmsnorm_quant_kernelItDB8_Li256ELi24ELb0ELb1ELb1ELi1EEEvPT0_PT_PfS5_S5_S5_diiiiiiib.kd
    .uniform_work_group_size: 1
    .uses_dynamic_stack: false
    .vgpr_count:     59
    .vgpr_spill_count: 0
    .wavefront_size: 32
    .workgroup_processor_mode: 1
  - .args:
      - .address_space:  global
        .offset:         0
        .size:           8
        .value_kind:     global_buffer
      - .address_space:  global
        .offset:         8
        .size:           8
        .value_kind:     global_buffer
      - .address_space:  global
        .offset:         16
        .size:           8
        .value_kind:     global_buffer
      - .address_space:  global
        .offset:         24
        .size:           8
        .value_kind:     global_buffer
      - .address_space:  global
        .offset:         32
        .size:           8
        .value_kind:     global_buffer
      - .address_space:  global
        .offset:         40
        .size:           8
        .value_kind:     global_buffer
      - .offset:         48
        .size:           8
        .value_kind:     by_value
      - .offset:         56
        .size:           4
        .value_kind:     by_value
      - .offset:         60
        .size:           4
        .value_kind:     by_value
      - .offset:         64
        .size:           4
        .value_kind:     by_value
      - .offset:         68
        .size:           4
        .value_kind:     by_value
      - .offset:         72
        .size:           4
        .value_kind:     by_value
      - .offset:         76
        .size:           4
        .value_kind:     by_value
      - .offset:         80
        .size:           4
        .value_kind:     by_value
      - .offset:         84
        .size:           1
        .value_kind:     by_value
    .group_segment_fixed_size: 64
    .kernarg_segment_align: 8
    .kernarg_segment_size: 88
    .language:       OpenCL C
    .language_version:
      - 2
      - 0
    .max_flat_workgroup_size: 1024
    .name:           _ZN5aiter24add_rmsnorm_quant_kernelIDF16_DB8_Li256ELi24ELb0ELb1ELb0ELi1EEEvPT0_PT_PfS5_S5_S5_diiiiiiib
    .private_segment_fixed_size: 0
    .sgpr_count:     31
    .sgpr_spill_count: 0
    .symbol:         _ZN5aiter24add_rmsnorm_quant_kernelIDF16_DB8_Li256ELi24ELb0ELb1ELb0ELi1EEEvPT0_PT_PfS5_S5_S5_diiiiiiib.kd
    .uniform_work_group_size: 1
    .uses_dynamic_stack: false
    .vgpr_count:     60
    .vgpr_spill_count: 0
    .wavefront_size: 32
    .workgroup_processor_mode: 1
  - .args:
      - .address_space:  global
        .offset:         0
        .size:           8
        .value_kind:     global_buffer
      - .address_space:  global
        .offset:         8
        .size:           8
        .value_kind:     global_buffer
      - .address_space:  global
        .offset:         16
        .size:           8
        .value_kind:     global_buffer
      - .address_space:  global
        .offset:         24
        .size:           8
        .value_kind:     global_buffer
      - .address_space:  global
        .offset:         32
        .size:           8
        .value_kind:     global_buffer
      - .address_space:  global
        .offset:         40
        .size:           8
        .value_kind:     global_buffer
      - .offset:         48
        .size:           8
        .value_kind:     by_value
      - .offset:         56
        .size:           4
        .value_kind:     by_value
      - .offset:         60
        .size:           4
        .value_kind:     by_value
      - .offset:         64
        .size:           4
        .value_kind:     by_value
      - .offset:         68
        .size:           4
        .value_kind:     by_value
      - .offset:         72
        .size:           4
        .value_kind:     by_value
      - .offset:         76
        .size:           4
        .value_kind:     by_value
      - .offset:         80
        .size:           4
        .value_kind:     by_value
      - .offset:         84
        .size:           1
        .value_kind:     by_value
    .group_segment_fixed_size: 64
    .kernarg_segment_align: 8
    .kernarg_segment_size: 88
    .language:       OpenCL C
    .language_version:
      - 2
      - 0
    .max_flat_workgroup_size: 1024
    .name:           _ZN5aiter24add_rmsnorm_quant_kernelItDB8_Li256ELi24ELb0ELb1ELb0ELi1EEEvPT0_PT_PfS5_S5_S5_diiiiiiib
    .private_segment_fixed_size: 0
    .sgpr_count:     31
    .sgpr_spill_count: 0
    .symbol:         _ZN5aiter24add_rmsnorm_quant_kernelItDB8_Li256ELi24ELb0ELb1ELb0ELi1EEEvPT0_PT_PfS5_S5_S5_diiiiiiib.kd
    .uniform_work_group_size: 1
    .uses_dynamic_stack: false
    .vgpr_count:     59
    .vgpr_spill_count: 0
    .wavefront_size: 32
    .workgroup_processor_mode: 1
  - .args:
      - .address_space:  global
        .offset:         0
        .size:           8
        .value_kind:     global_buffer
      - .address_space:  global
        .offset:         8
        .size:           8
        .value_kind:     global_buffer
      - .address_space:  global
        .offset:         16
        .size:           8
        .value_kind:     global_buffer
      - .address_space:  global
        .offset:         24
        .size:           8
        .value_kind:     global_buffer
      - .address_space:  global
        .offset:         32
        .size:           8
        .value_kind:     global_buffer
      - .address_space:  global
        .offset:         40
        .size:           8
        .value_kind:     global_buffer
      - .offset:         48
        .size:           8
        .value_kind:     by_value
      - .offset:         56
        .size:           4
        .value_kind:     by_value
      - .offset:         60
        .size:           4
        .value_kind:     by_value
      - .offset:         64
        .size:           4
        .value_kind:     by_value
      - .offset:         68
        .size:           4
        .value_kind:     by_value
      - .offset:         72
        .size:           4
        .value_kind:     by_value
      - .offset:         76
        .size:           4
        .value_kind:     by_value
      - .offset:         80
        .size:           4
        .value_kind:     by_value
      - .offset:         84
        .size:           1
        .value_kind:     by_value
    .group_segment_fixed_size: 64
    .kernarg_segment_align: 8
    .kernarg_segment_size: 88
    .language:       OpenCL C
    .language_version:
      - 2
      - 0
    .max_flat_workgroup_size: 1024
    .name:           _ZN5aiter24add_rmsnorm_quant_kernelIDF16_DB8_Li256ELi32ELb0ELb1ELb1ELi1EEEvPT0_PT_PfS5_S5_S5_diiiiiiib
    .private_segment_fixed_size: 0
    .sgpr_count:     31
    .sgpr_spill_count: 0
    .symbol:         _ZN5aiter24add_rmsnorm_quant_kernelIDF16_DB8_Li256ELi32ELb0ELb1ELb1ELi1EEEvPT0_PT_PfS5_S5_S5_diiiiiiib.kd
    .uniform_work_group_size: 1
    .uses_dynamic_stack: false
    .vgpr_count:     80
    .vgpr_spill_count: 0
    .wavefront_size: 32
    .workgroup_processor_mode: 1
  - .args:
      - .address_space:  global
        .offset:         0
        .size:           8
        .value_kind:     global_buffer
      - .address_space:  global
        .offset:         8
        .size:           8
        .value_kind:     global_buffer
      - .address_space:  global
        .offset:         16
        .size:           8
        .value_kind:     global_buffer
      - .address_space:  global
        .offset:         24
        .size:           8
        .value_kind:     global_buffer
      - .address_space:  global
        .offset:         32
        .size:           8
        .value_kind:     global_buffer
      - .address_space:  global
        .offset:         40
        .size:           8
        .value_kind:     global_buffer
      - .offset:         48
        .size:           8
        .value_kind:     by_value
      - .offset:         56
        .size:           4
        .value_kind:     by_value
      - .offset:         60
        .size:           4
        .value_kind:     by_value
      - .offset:         64
        .size:           4
        .value_kind:     by_value
      - .offset:         68
        .size:           4
        .value_kind:     by_value
      - .offset:         72
        .size:           4
        .value_kind:     by_value
      - .offset:         76
        .size:           4
        .value_kind:     by_value
      - .offset:         80
        .size:           4
        .value_kind:     by_value
      - .offset:         84
        .size:           1
        .value_kind:     by_value
    .group_segment_fixed_size: 64
    .kernarg_segment_align: 8
    .kernarg_segment_size: 88
    .language:       OpenCL C
    .language_version:
      - 2
      - 0
    .max_flat_workgroup_size: 1024
    .name:           _ZN5aiter24add_rmsnorm_quant_kernelItDB8_Li256ELi32ELb0ELb1ELb1ELi1EEEvPT0_PT_PfS5_S5_S5_diiiiiiib
    .private_segment_fixed_size: 0
    .sgpr_count:     31
    .sgpr_spill_count: 0
    .symbol:         _ZN5aiter24add_rmsnorm_quant_kernelItDB8_Li256ELi32ELb0ELb1ELb1ELi1EEEvPT0_PT_PfS5_S5_S5_diiiiiiib.kd
    .uniform_work_group_size: 1
    .uses_dynamic_stack: false
    .vgpr_count:     78
    .vgpr_spill_count: 0
    .wavefront_size: 32
    .workgroup_processor_mode: 1
  - .args:
      - .address_space:  global
        .offset:         0
        .size:           8
        .value_kind:     global_buffer
      - .address_space:  global
        .offset:         8
        .size:           8
        .value_kind:     global_buffer
      - .address_space:  global
        .offset:         16
        .size:           8
        .value_kind:     global_buffer
      - .address_space:  global
        .offset:         24
        .size:           8
        .value_kind:     global_buffer
      - .address_space:  global
        .offset:         32
        .size:           8
        .value_kind:     global_buffer
      - .address_space:  global
        .offset:         40
        .size:           8
        .value_kind:     global_buffer
      - .offset:         48
        .size:           8
        .value_kind:     by_value
      - .offset:         56
        .size:           4
        .value_kind:     by_value
      - .offset:         60
        .size:           4
        .value_kind:     by_value
      - .offset:         64
        .size:           4
        .value_kind:     by_value
      - .offset:         68
        .size:           4
        .value_kind:     by_value
      - .offset:         72
        .size:           4
        .value_kind:     by_value
      - .offset:         76
        .size:           4
        .value_kind:     by_value
      - .offset:         80
        .size:           4
        .value_kind:     by_value
      - .offset:         84
        .size:           1
        .value_kind:     by_value
    .group_segment_fixed_size: 64
    .kernarg_segment_align: 8
    .kernarg_segment_size: 88
    .language:       OpenCL C
    .language_version:
      - 2
      - 0
    .max_flat_workgroup_size: 1024
    .name:           _ZN5aiter24add_rmsnorm_quant_kernelIDF16_DB8_Li256ELi32ELb0ELb1ELb0ELi1EEEvPT0_PT_PfS5_S5_S5_diiiiiiib
    .private_segment_fixed_size: 0
    .sgpr_count:     31
    .sgpr_spill_count: 0
    .symbol:         _ZN5aiter24add_rmsnorm_quant_kernelIDF16_DB8_Li256ELi32ELb0ELb1ELb0ELi1EEEvPT0_PT_PfS5_S5_S5_diiiiiiib.kd
    .uniform_work_group_size: 1
    .uses_dynamic_stack: false
    .vgpr_count:     79
    .vgpr_spill_count: 0
    .wavefront_size: 32
    .workgroup_processor_mode: 1
  - .args:
      - .address_space:  global
        .offset:         0
        .size:           8
        .value_kind:     global_buffer
      - .address_space:  global
        .offset:         8
        .size:           8
        .value_kind:     global_buffer
      - .address_space:  global
        .offset:         16
        .size:           8
        .value_kind:     global_buffer
      - .address_space:  global
        .offset:         24
        .size:           8
        .value_kind:     global_buffer
      - .address_space:  global
        .offset:         32
        .size:           8
        .value_kind:     global_buffer
      - .address_space:  global
        .offset:         40
        .size:           8
        .value_kind:     global_buffer
      - .offset:         48
        .size:           8
        .value_kind:     by_value
      - .offset:         56
        .size:           4
        .value_kind:     by_value
      - .offset:         60
        .size:           4
        .value_kind:     by_value
      - .offset:         64
        .size:           4
        .value_kind:     by_value
      - .offset:         68
        .size:           4
        .value_kind:     by_value
      - .offset:         72
        .size:           4
        .value_kind:     by_value
      - .offset:         76
        .size:           4
        .value_kind:     by_value
      - .offset:         80
        .size:           4
        .value_kind:     by_value
      - .offset:         84
        .size:           1
        .value_kind:     by_value
    .group_segment_fixed_size: 64
    .kernarg_segment_align: 8
    .kernarg_segment_size: 88
    .language:       OpenCL C
    .language_version:
      - 2
      - 0
    .max_flat_workgroup_size: 1024
    .name:           _ZN5aiter24add_rmsnorm_quant_kernelItDB8_Li256ELi32ELb0ELb1ELb0ELi1EEEvPT0_PT_PfS5_S5_S5_diiiiiiib
    .private_segment_fixed_size: 0
    .sgpr_count:     31
    .sgpr_spill_count: 0
    .symbol:         _ZN5aiter24add_rmsnorm_quant_kernelItDB8_Li256ELi32ELb0ELb1ELb0ELi1EEEvPT0_PT_PfS5_S5_S5_diiiiiiib.kd
    .uniform_work_group_size: 1
    .uses_dynamic_stack: false
    .vgpr_count:     77
    .vgpr_spill_count: 0
    .wavefront_size: 32
    .workgroup_processor_mode: 1
  - .args:
      - .address_space:  global
        .offset:         0
        .size:           8
        .value_kind:     global_buffer
      - .address_space:  global
        .offset:         8
        .size:           8
        .value_kind:     global_buffer
      - .address_space:  global
        .offset:         16
        .size:           8
        .value_kind:     global_buffer
      - .address_space:  global
        .offset:         24
        .size:           8
        .value_kind:     global_buffer
      - .address_space:  global
        .offset:         32
        .size:           8
        .value_kind:     global_buffer
      - .address_space:  global
        .offset:         40
        .size:           8
        .value_kind:     global_buffer
      - .offset:         48
        .size:           8
        .value_kind:     by_value
      - .offset:         56
        .size:           4
        .value_kind:     by_value
      - .offset:         60
        .size:           4
        .value_kind:     by_value
      - .offset:         64
        .size:           4
        .value_kind:     by_value
      - .offset:         68
        .size:           4
        .value_kind:     by_value
      - .offset:         72
        .size:           4
        .value_kind:     by_value
      - .offset:         76
        .size:           4
        .value_kind:     by_value
      - .offset:         80
        .size:           4
        .value_kind:     by_value
      - .offset:         84
        .size:           1
        .value_kind:     by_value
    .group_segment_fixed_size: 16
    .kernarg_segment_align: 8
    .kernarg_segment_size: 88
    .language:       OpenCL C
    .language_version:
      - 2
      - 0
    .max_flat_workgroup_size: 1024
    .name:           _ZN5aiter24add_rmsnorm_quant_kernelIDF16_aLi64ELi8ELb0ELb1ELb1ELi1EEEvPT0_PT_PfS4_S4_S4_diiiiiiib
    .private_segment_fixed_size: 0
    .sgpr_count:     31
    .sgpr_spill_count: 0
    .symbol:         _ZN5aiter24add_rmsnorm_quant_kernelIDF16_aLi64ELi8ELb0ELb1ELb1ELi1EEEvPT0_PT_PfS4_S4_S4_diiiiiiib.kd
    .uniform_work_group_size: 1
    .uses_dynamic_stack: false
    .vgpr_count:     23
    .vgpr_spill_count: 0
    .wavefront_size: 32
    .workgroup_processor_mode: 1
  - .args:
      - .address_space:  global
        .offset:         0
        .size:           8
        .value_kind:     global_buffer
      - .address_space:  global
        .offset:         8
        .size:           8
        .value_kind:     global_buffer
      - .address_space:  global
        .offset:         16
        .size:           8
        .value_kind:     global_buffer
      - .address_space:  global
        .offset:         24
        .size:           8
        .value_kind:     global_buffer
      - .address_space:  global
        .offset:         32
        .size:           8
        .value_kind:     global_buffer
      - .address_space:  global
        .offset:         40
        .size:           8
        .value_kind:     global_buffer
      - .offset:         48
        .size:           8
        .value_kind:     by_value
      - .offset:         56
        .size:           4
        .value_kind:     by_value
      - .offset:         60
        .size:           4
        .value_kind:     by_value
      - .offset:         64
        .size:           4
        .value_kind:     by_value
      - .offset:         68
        .size:           4
        .value_kind:     by_value
      - .offset:         72
        .size:           4
        .value_kind:     by_value
      - .offset:         76
        .size:           4
        .value_kind:     by_value
      - .offset:         80
        .size:           4
        .value_kind:     by_value
      - .offset:         84
        .size:           1
        .value_kind:     by_value
    .group_segment_fixed_size: 16
    .kernarg_segment_align: 8
    .kernarg_segment_size: 88
    .language:       OpenCL C
    .language_version:
      - 2
      - 0
    .max_flat_workgroup_size: 1024
    .name:           _ZN5aiter24add_rmsnorm_quant_kernelItaLi64ELi8ELb0ELb1ELb1ELi1EEEvPT0_PT_PfS4_S4_S4_diiiiiiib
    .private_segment_fixed_size: 0
    .sgpr_count:     31
    .sgpr_spill_count: 0
    .symbol:         _ZN5aiter24add_rmsnorm_quant_kernelItaLi64ELi8ELb0ELb1ELb1ELi1EEEvPT0_PT_PfS4_S4_S4_diiiiiiib.kd
    .uniform_work_group_size: 1
    .uses_dynamic_stack: false
    .vgpr_count:     23
    .vgpr_spill_count: 0
    .wavefront_size: 32
    .workgroup_processor_mode: 1
  - .args:
      - .address_space:  global
        .offset:         0
        .size:           8
        .value_kind:     global_buffer
      - .address_space:  global
        .offset:         8
        .size:           8
        .value_kind:     global_buffer
      - .address_space:  global
        .offset:         16
        .size:           8
        .value_kind:     global_buffer
      - .address_space:  global
        .offset:         24
        .size:           8
        .value_kind:     global_buffer
      - .address_space:  global
        .offset:         32
        .size:           8
        .value_kind:     global_buffer
      - .address_space:  global
        .offset:         40
        .size:           8
        .value_kind:     global_buffer
      - .offset:         48
        .size:           8
        .value_kind:     by_value
      - .offset:         56
        .size:           4
        .value_kind:     by_value
      - .offset:         60
        .size:           4
        .value_kind:     by_value
      - .offset:         64
        .size:           4
        .value_kind:     by_value
      - .offset:         68
        .size:           4
        .value_kind:     by_value
      - .offset:         72
        .size:           4
        .value_kind:     by_value
      - .offset:         76
        .size:           4
        .value_kind:     by_value
      - .offset:         80
        .size:           4
        .value_kind:     by_value
      - .offset:         84
        .size:           1
        .value_kind:     by_value
    .group_segment_fixed_size: 16
    .kernarg_segment_align: 8
    .kernarg_segment_size: 88
    .language:       OpenCL C
    .language_version:
      - 2
      - 0
    .max_flat_workgroup_size: 1024
    .name:           _ZN5aiter24add_rmsnorm_quant_kernelIDF16_aLi64ELi8ELb0ELb1ELb0ELi1EEEvPT0_PT_PfS4_S4_S4_diiiiiiib
    .private_segment_fixed_size: 0
    .sgpr_count:     31
    .sgpr_spill_count: 0
    .symbol:         _ZN5aiter24add_rmsnorm_quant_kernelIDF16_aLi64ELi8ELb0ELb1ELb0ELi1EEEvPT0_PT_PfS4_S4_S4_diiiiiiib.kd
    .uniform_work_group_size: 1
    .uses_dynamic_stack: false
    .vgpr_count:     23
    .vgpr_spill_count: 0
    .wavefront_size: 32
    .workgroup_processor_mode: 1
  - .args:
      - .address_space:  global
        .offset:         0
        .size:           8
        .value_kind:     global_buffer
      - .address_space:  global
        .offset:         8
        .size:           8
        .value_kind:     global_buffer
      - .address_space:  global
        .offset:         16
        .size:           8
        .value_kind:     global_buffer
      - .address_space:  global
        .offset:         24
        .size:           8
        .value_kind:     global_buffer
      - .address_space:  global
        .offset:         32
        .size:           8
        .value_kind:     global_buffer
      - .address_space:  global
        .offset:         40
        .size:           8
        .value_kind:     global_buffer
      - .offset:         48
        .size:           8
        .value_kind:     by_value
      - .offset:         56
        .size:           4
        .value_kind:     by_value
      - .offset:         60
        .size:           4
        .value_kind:     by_value
      - .offset:         64
        .size:           4
        .value_kind:     by_value
      - .offset:         68
        .size:           4
        .value_kind:     by_value
      - .offset:         72
        .size:           4
        .value_kind:     by_value
      - .offset:         76
        .size:           4
        .value_kind:     by_value
      - .offset:         80
        .size:           4
        .value_kind:     by_value
      - .offset:         84
        .size:           1
        .value_kind:     by_value
    .group_segment_fixed_size: 16
    .kernarg_segment_align: 8
    .kernarg_segment_size: 88
    .language:       OpenCL C
    .language_version:
      - 2
      - 0
    .max_flat_workgroup_size: 1024
    .name:           _ZN5aiter24add_rmsnorm_quant_kernelItaLi64ELi8ELb0ELb1ELb0ELi1EEEvPT0_PT_PfS4_S4_S4_diiiiiiib
    .private_segment_fixed_size: 0
    .sgpr_count:     31
    .sgpr_spill_count: 0
    .symbol:         _ZN5aiter24add_rmsnorm_quant_kernelItaLi64ELi8ELb0ELb1ELb0ELi1EEEvPT0_PT_PfS4_S4_S4_diiiiiiib.kd
    .uniform_work_group_size: 1
    .uses_dynamic_stack: false
    .vgpr_count:     23
    .vgpr_spill_count: 0
    .wavefront_size: 32
    .workgroup_processor_mode: 1
  - .args:
      - .address_space:  global
        .offset:         0
        .size:           8
        .value_kind:     global_buffer
      - .address_space:  global
        .offset:         8
        .size:           8
        .value_kind:     global_buffer
      - .address_space:  global
        .offset:         16
        .size:           8
        .value_kind:     global_buffer
      - .address_space:  global
        .offset:         24
        .size:           8
        .value_kind:     global_buffer
      - .address_space:  global
        .offset:         32
        .size:           8
        .value_kind:     global_buffer
      - .address_space:  global
        .offset:         40
        .size:           8
        .value_kind:     global_buffer
      - .offset:         48
        .size:           8
        .value_kind:     by_value
      - .offset:         56
        .size:           4
        .value_kind:     by_value
      - .offset:         60
        .size:           4
        .value_kind:     by_value
      - .offset:         64
        .size:           4
        .value_kind:     by_value
      - .offset:         68
        .size:           4
        .value_kind:     by_value
      - .offset:         72
        .size:           4
        .value_kind:     by_value
      - .offset:         76
        .size:           4
        .value_kind:     by_value
      - .offset:         80
        .size:           4
        .value_kind:     by_value
      - .offset:         84
        .size:           1
        .value_kind:     by_value
    .group_segment_fixed_size: 32
    .kernarg_segment_align: 8
    .kernarg_segment_size: 88
    .language:       OpenCL C
    .language_version:
      - 2
      - 0
    .max_flat_workgroup_size: 1024
    .name:           _ZN5aiter24add_rmsnorm_quant_kernelIDF16_aLi128ELi8ELb0ELb1ELb1ELi1EEEvPT0_PT_PfS4_S4_S4_diiiiiiib
    .private_segment_fixed_size: 0
    .sgpr_count:     31
    .sgpr_spill_count: 0
    .symbol:         _ZN5aiter24add_rmsnorm_quant_kernelIDF16_aLi128ELi8ELb0ELb1ELb1ELi1EEEvPT0_PT_PfS4_S4_S4_diiiiiiib.kd
    .uniform_work_group_size: 1
    .uses_dynamic_stack: false
    .vgpr_count:     23
    .vgpr_spill_count: 0
    .wavefront_size: 32
    .workgroup_processor_mode: 1
  - .args:
      - .address_space:  global
        .offset:         0
        .size:           8
        .value_kind:     global_buffer
      - .address_space:  global
        .offset:         8
        .size:           8
        .value_kind:     global_buffer
      - .address_space:  global
        .offset:         16
        .size:           8
        .value_kind:     global_buffer
      - .address_space:  global
        .offset:         24
        .size:           8
        .value_kind:     global_buffer
      - .address_space:  global
        .offset:         32
        .size:           8
        .value_kind:     global_buffer
      - .address_space:  global
        .offset:         40
        .size:           8
        .value_kind:     global_buffer
      - .offset:         48
        .size:           8
        .value_kind:     by_value
      - .offset:         56
        .size:           4
        .value_kind:     by_value
      - .offset:         60
        .size:           4
        .value_kind:     by_value
      - .offset:         64
        .size:           4
        .value_kind:     by_value
      - .offset:         68
        .size:           4
        .value_kind:     by_value
      - .offset:         72
        .size:           4
        .value_kind:     by_value
      - .offset:         76
        .size:           4
        .value_kind:     by_value
      - .offset:         80
        .size:           4
        .value_kind:     by_value
      - .offset:         84
        .size:           1
        .value_kind:     by_value
    .group_segment_fixed_size: 32
    .kernarg_segment_align: 8
    .kernarg_segment_size: 88
    .language:       OpenCL C
    .language_version:
      - 2
      - 0
    .max_flat_workgroup_size: 1024
    .name:           _ZN5aiter24add_rmsnorm_quant_kernelItaLi128ELi8ELb0ELb1ELb1ELi1EEEvPT0_PT_PfS4_S4_S4_diiiiiiib
    .private_segment_fixed_size: 0
    .sgpr_count:     31
    .sgpr_spill_count: 0
    .symbol:         _ZN5aiter24add_rmsnorm_quant_kernelItaLi128ELi8ELb0ELb1ELb1ELi1EEEvPT0_PT_PfS4_S4_S4_diiiiiiib.kd
    .uniform_work_group_size: 1
    .uses_dynamic_stack: false
    .vgpr_count:     23
    .vgpr_spill_count: 0
    .wavefront_size: 32
    .workgroup_processor_mode: 1
  - .args:
      - .address_space:  global
        .offset:         0
        .size:           8
        .value_kind:     global_buffer
      - .address_space:  global
        .offset:         8
        .size:           8
        .value_kind:     global_buffer
      - .address_space:  global
        .offset:         16
        .size:           8
        .value_kind:     global_buffer
      - .address_space:  global
        .offset:         24
        .size:           8
        .value_kind:     global_buffer
      - .address_space:  global
        .offset:         32
        .size:           8
        .value_kind:     global_buffer
      - .address_space:  global
        .offset:         40
        .size:           8
        .value_kind:     global_buffer
      - .offset:         48
        .size:           8
        .value_kind:     by_value
      - .offset:         56
        .size:           4
        .value_kind:     by_value
      - .offset:         60
        .size:           4
        .value_kind:     by_value
      - .offset:         64
        .size:           4
        .value_kind:     by_value
      - .offset:         68
        .size:           4
        .value_kind:     by_value
      - .offset:         72
        .size:           4
        .value_kind:     by_value
      - .offset:         76
        .size:           4
        .value_kind:     by_value
      - .offset:         80
        .size:           4
        .value_kind:     by_value
      - .offset:         84
        .size:           1
        .value_kind:     by_value
    .group_segment_fixed_size: 32
    .kernarg_segment_align: 8
    .kernarg_segment_size: 88
    .language:       OpenCL C
    .language_version:
      - 2
      - 0
    .max_flat_workgroup_size: 1024
    .name:           _ZN5aiter24add_rmsnorm_quant_kernelIDF16_aLi128ELi8ELb0ELb1ELb0ELi1EEEvPT0_PT_PfS4_S4_S4_diiiiiiib
    .private_segment_fixed_size: 0
    .sgpr_count:     31
    .sgpr_spill_count: 0
    .symbol:         _ZN5aiter24add_rmsnorm_quant_kernelIDF16_aLi128ELi8ELb0ELb1ELb0ELi1EEEvPT0_PT_PfS4_S4_S4_diiiiiiib.kd
    .uniform_work_group_size: 1
    .uses_dynamic_stack: false
    .vgpr_count:     23
    .vgpr_spill_count: 0
    .wavefront_size: 32
    .workgroup_processor_mode: 1
  - .args:
      - .address_space:  global
        .offset:         0
        .size:           8
        .value_kind:     global_buffer
      - .address_space:  global
        .offset:         8
        .size:           8
        .value_kind:     global_buffer
      - .address_space:  global
        .offset:         16
        .size:           8
        .value_kind:     global_buffer
      - .address_space:  global
        .offset:         24
        .size:           8
        .value_kind:     global_buffer
      - .address_space:  global
        .offset:         32
        .size:           8
        .value_kind:     global_buffer
      - .address_space:  global
        .offset:         40
        .size:           8
        .value_kind:     global_buffer
      - .offset:         48
        .size:           8
        .value_kind:     by_value
      - .offset:         56
        .size:           4
        .value_kind:     by_value
      - .offset:         60
        .size:           4
        .value_kind:     by_value
      - .offset:         64
        .size:           4
        .value_kind:     by_value
      - .offset:         68
        .size:           4
        .value_kind:     by_value
      - .offset:         72
        .size:           4
        .value_kind:     by_value
      - .offset:         76
        .size:           4
        .value_kind:     by_value
      - .offset:         80
        .size:           4
        .value_kind:     by_value
      - .offset:         84
        .size:           1
        .value_kind:     by_value
    .group_segment_fixed_size: 32
    .kernarg_segment_align: 8
    .kernarg_segment_size: 88
    .language:       OpenCL C
    .language_version:
      - 2
      - 0
    .max_flat_workgroup_size: 1024
    .name:           _ZN5aiter24add_rmsnorm_quant_kernelItaLi128ELi8ELb0ELb1ELb0ELi1EEEvPT0_PT_PfS4_S4_S4_diiiiiiib
    .private_segment_fixed_size: 0
    .sgpr_count:     31
    .sgpr_spill_count: 0
    .symbol:         _ZN5aiter24add_rmsnorm_quant_kernelItaLi128ELi8ELb0ELb1ELb0ELi1EEEvPT0_PT_PfS4_S4_S4_diiiiiiib.kd
    .uniform_work_group_size: 1
    .uses_dynamic_stack: false
    .vgpr_count:     23
    .vgpr_spill_count: 0
    .wavefront_size: 32
    .workgroup_processor_mode: 1
  - .args:
      - .address_space:  global
        .offset:         0
        .size:           8
        .value_kind:     global_buffer
      - .address_space:  global
        .offset:         8
        .size:           8
        .value_kind:     global_buffer
      - .address_space:  global
        .offset:         16
        .size:           8
        .value_kind:     global_buffer
      - .address_space:  global
        .offset:         24
        .size:           8
        .value_kind:     global_buffer
      - .address_space:  global
        .offset:         32
        .size:           8
        .value_kind:     global_buffer
      - .address_space:  global
        .offset:         40
        .size:           8
        .value_kind:     global_buffer
      - .offset:         48
        .size:           8
        .value_kind:     by_value
      - .offset:         56
        .size:           4
        .value_kind:     by_value
      - .offset:         60
        .size:           4
        .value_kind:     by_value
      - .offset:         64
        .size:           4
        .value_kind:     by_value
      - .offset:         68
        .size:           4
        .value_kind:     by_value
      - .offset:         72
        .size:           4
        .value_kind:     by_value
      - .offset:         76
        .size:           4
        .value_kind:     by_value
      - .offset:         80
        .size:           4
        .value_kind:     by_value
      - .offset:         84
        .size:           1
        .value_kind:     by_value
    .group_segment_fixed_size: 64
    .kernarg_segment_align: 8
    .kernarg_segment_size: 88
    .language:       OpenCL C
    .language_version:
      - 2
      - 0
    .max_flat_workgroup_size: 1024
    .name:           _ZN5aiter24add_rmsnorm_quant_kernelIDF16_aLi256ELi8ELb0ELb1ELb1ELi1EEEvPT0_PT_PfS4_S4_S4_diiiiiiib
    .private_segment_fixed_size: 0
    .sgpr_count:     31
    .sgpr_spill_count: 0
    .symbol:         _ZN5aiter24add_rmsnorm_quant_kernelIDF16_aLi256ELi8ELb0ELb1ELb1ELi1EEEvPT0_PT_PfS4_S4_S4_diiiiiiib.kd
    .uniform_work_group_size: 1
    .uses_dynamic_stack: false
    .vgpr_count:     23
    .vgpr_spill_count: 0
    .wavefront_size: 32
    .workgroup_processor_mode: 1
  - .args:
      - .address_space:  global
        .offset:         0
        .size:           8
        .value_kind:     global_buffer
      - .address_space:  global
        .offset:         8
        .size:           8
        .value_kind:     global_buffer
      - .address_space:  global
        .offset:         16
        .size:           8
        .value_kind:     global_buffer
      - .address_space:  global
        .offset:         24
        .size:           8
        .value_kind:     global_buffer
      - .address_space:  global
        .offset:         32
        .size:           8
        .value_kind:     global_buffer
      - .address_space:  global
        .offset:         40
        .size:           8
        .value_kind:     global_buffer
      - .offset:         48
        .size:           8
        .value_kind:     by_value
      - .offset:         56
        .size:           4
        .value_kind:     by_value
      - .offset:         60
        .size:           4
        .value_kind:     by_value
      - .offset:         64
        .size:           4
        .value_kind:     by_value
      - .offset:         68
        .size:           4
        .value_kind:     by_value
      - .offset:         72
        .size:           4
        .value_kind:     by_value
      - .offset:         76
        .size:           4
        .value_kind:     by_value
      - .offset:         80
        .size:           4
        .value_kind:     by_value
      - .offset:         84
        .size:           1
        .value_kind:     by_value
    .group_segment_fixed_size: 64
    .kernarg_segment_align: 8
    .kernarg_segment_size: 88
    .language:       OpenCL C
    .language_version:
      - 2
      - 0
    .max_flat_workgroup_size: 1024
    .name:           _ZN5aiter24add_rmsnorm_quant_kernelItaLi256ELi8ELb0ELb1ELb1ELi1EEEvPT0_PT_PfS4_S4_S4_diiiiiiib
    .private_segment_fixed_size: 0
    .sgpr_count:     31
    .sgpr_spill_count: 0
    .symbol:         _ZN5aiter24add_rmsnorm_quant_kernelItaLi256ELi8ELb0ELb1ELb1ELi1EEEvPT0_PT_PfS4_S4_S4_diiiiiiib.kd
    .uniform_work_group_size: 1
    .uses_dynamic_stack: false
    .vgpr_count:     23
    .vgpr_spill_count: 0
    .wavefront_size: 32
    .workgroup_processor_mode: 1
  - .args:
      - .address_space:  global
        .offset:         0
        .size:           8
        .value_kind:     global_buffer
      - .address_space:  global
        .offset:         8
        .size:           8
        .value_kind:     global_buffer
      - .address_space:  global
        .offset:         16
        .size:           8
        .value_kind:     global_buffer
      - .address_space:  global
        .offset:         24
        .size:           8
        .value_kind:     global_buffer
      - .address_space:  global
        .offset:         32
        .size:           8
        .value_kind:     global_buffer
      - .address_space:  global
        .offset:         40
        .size:           8
        .value_kind:     global_buffer
      - .offset:         48
        .size:           8
        .value_kind:     by_value
      - .offset:         56
        .size:           4
        .value_kind:     by_value
      - .offset:         60
        .size:           4
        .value_kind:     by_value
      - .offset:         64
        .size:           4
        .value_kind:     by_value
      - .offset:         68
        .size:           4
        .value_kind:     by_value
      - .offset:         72
        .size:           4
        .value_kind:     by_value
      - .offset:         76
        .size:           4
        .value_kind:     by_value
      - .offset:         80
        .size:           4
        .value_kind:     by_value
      - .offset:         84
        .size:           1
        .value_kind:     by_value
    .group_segment_fixed_size: 64
    .kernarg_segment_align: 8
    .kernarg_segment_size: 88
    .language:       OpenCL C
    .language_version:
      - 2
      - 0
    .max_flat_workgroup_size: 1024
    .name:           _ZN5aiter24add_rmsnorm_quant_kernelIDF16_aLi256ELi8ELb0ELb1ELb0ELi1EEEvPT0_PT_PfS4_S4_S4_diiiiiiib
    .private_segment_fixed_size: 0
    .sgpr_count:     31
    .sgpr_spill_count: 0
    .symbol:         _ZN5aiter24add_rmsnorm_quant_kernelIDF16_aLi256ELi8ELb0ELb1ELb0ELi1EEEvPT0_PT_PfS4_S4_S4_diiiiiiib.kd
    .uniform_work_group_size: 1
    .uses_dynamic_stack: false
    .vgpr_count:     23
    .vgpr_spill_count: 0
    .wavefront_size: 32
    .workgroup_processor_mode: 1
  - .args:
      - .address_space:  global
        .offset:         0
        .size:           8
        .value_kind:     global_buffer
      - .address_space:  global
        .offset:         8
        .size:           8
        .value_kind:     global_buffer
      - .address_space:  global
        .offset:         16
        .size:           8
        .value_kind:     global_buffer
      - .address_space:  global
        .offset:         24
        .size:           8
        .value_kind:     global_buffer
      - .address_space:  global
        .offset:         32
        .size:           8
        .value_kind:     global_buffer
      - .address_space:  global
        .offset:         40
        .size:           8
        .value_kind:     global_buffer
      - .offset:         48
        .size:           8
        .value_kind:     by_value
      - .offset:         56
        .size:           4
        .value_kind:     by_value
      - .offset:         60
        .size:           4
        .value_kind:     by_value
      - .offset:         64
        .size:           4
        .value_kind:     by_value
      - .offset:         68
        .size:           4
        .value_kind:     by_value
      - .offset:         72
        .size:           4
        .value_kind:     by_value
      - .offset:         76
        .size:           4
        .value_kind:     by_value
      - .offset:         80
        .size:           4
        .value_kind:     by_value
      - .offset:         84
        .size:           1
        .value_kind:     by_value
    .group_segment_fixed_size: 64
    .kernarg_segment_align: 8
    .kernarg_segment_size: 88
    .language:       OpenCL C
    .language_version:
      - 2
      - 0
    .max_flat_workgroup_size: 1024
    .name:           _ZN5aiter24add_rmsnorm_quant_kernelItaLi256ELi8ELb0ELb1ELb0ELi1EEEvPT0_PT_PfS4_S4_S4_diiiiiiib
    .private_segment_fixed_size: 0
    .sgpr_count:     31
    .sgpr_spill_count: 0
    .symbol:         _ZN5aiter24add_rmsnorm_quant_kernelItaLi256ELi8ELb0ELb1ELb0ELi1EEEvPT0_PT_PfS4_S4_S4_diiiiiiib.kd
    .uniform_work_group_size: 1
    .uses_dynamic_stack: false
    .vgpr_count:     23
    .vgpr_spill_count: 0
    .wavefront_size: 32
    .workgroup_processor_mode: 1
  - .args:
      - .address_space:  global
        .offset:         0
        .size:           8
        .value_kind:     global_buffer
      - .address_space:  global
        .offset:         8
        .size:           8
        .value_kind:     global_buffer
      - .address_space:  global
        .offset:         16
        .size:           8
        .value_kind:     global_buffer
      - .address_space:  global
        .offset:         24
        .size:           8
        .value_kind:     global_buffer
      - .address_space:  global
        .offset:         32
        .size:           8
        .value_kind:     global_buffer
      - .address_space:  global
        .offset:         40
        .size:           8
        .value_kind:     global_buffer
      - .offset:         48
        .size:           8
        .value_kind:     by_value
      - .offset:         56
        .size:           4
        .value_kind:     by_value
      - .offset:         60
        .size:           4
        .value_kind:     by_value
      - .offset:         64
        .size:           4
        .value_kind:     by_value
      - .offset:         68
        .size:           4
        .value_kind:     by_value
      - .offset:         72
        .size:           4
        .value_kind:     by_value
      - .offset:         76
        .size:           4
        .value_kind:     by_value
      - .offset:         80
        .size:           4
        .value_kind:     by_value
      - .offset:         84
        .size:           1
        .value_kind:     by_value
    .group_segment_fixed_size: 64
    .kernarg_segment_align: 8
    .kernarg_segment_size: 88
    .language:       OpenCL C
    .language_version:
      - 2
      - 0
    .max_flat_workgroup_size: 1024
    .name:           _ZN5aiter24add_rmsnorm_quant_kernelIDF16_aLi256ELi16ELb0ELb1ELb1ELi1EEEvPT0_PT_PfS4_S4_S4_diiiiiiib
    .private_segment_fixed_size: 0
    .sgpr_count:     31
    .sgpr_spill_count: 0
    .symbol:         _ZN5aiter24add_rmsnorm_quant_kernelIDF16_aLi256ELi16ELb0ELb1ELb1ELi1EEEvPT0_PT_PfS4_S4_S4_diiiiiiib.kd
    .uniform_work_group_size: 1
    .uses_dynamic_stack: false
    .vgpr_count:     43
    .vgpr_spill_count: 0
    .wavefront_size: 32
    .workgroup_processor_mode: 1
  - .args:
      - .address_space:  global
        .offset:         0
        .size:           8
        .value_kind:     global_buffer
      - .address_space:  global
        .offset:         8
        .size:           8
        .value_kind:     global_buffer
      - .address_space:  global
        .offset:         16
        .size:           8
        .value_kind:     global_buffer
      - .address_space:  global
        .offset:         24
        .size:           8
        .value_kind:     global_buffer
      - .address_space:  global
        .offset:         32
        .size:           8
        .value_kind:     global_buffer
      - .address_space:  global
        .offset:         40
        .size:           8
        .value_kind:     global_buffer
      - .offset:         48
        .size:           8
        .value_kind:     by_value
      - .offset:         56
        .size:           4
        .value_kind:     by_value
      - .offset:         60
        .size:           4
        .value_kind:     by_value
      - .offset:         64
        .size:           4
        .value_kind:     by_value
      - .offset:         68
        .size:           4
        .value_kind:     by_value
      - .offset:         72
        .size:           4
        .value_kind:     by_value
      - .offset:         76
        .size:           4
        .value_kind:     by_value
      - .offset:         80
        .size:           4
        .value_kind:     by_value
      - .offset:         84
        .size:           1
        .value_kind:     by_value
    .group_segment_fixed_size: 64
    .kernarg_segment_align: 8
    .kernarg_segment_size: 88
    .language:       OpenCL C
    .language_version:
      - 2
      - 0
    .max_flat_workgroup_size: 1024
    .name:           _ZN5aiter24add_rmsnorm_quant_kernelItaLi256ELi16ELb0ELb1ELb1ELi1EEEvPT0_PT_PfS4_S4_S4_diiiiiiib
    .private_segment_fixed_size: 0
    .sgpr_count:     31
    .sgpr_spill_count: 0
    .symbol:         _ZN5aiter24add_rmsnorm_quant_kernelItaLi256ELi16ELb0ELb1ELb1ELi1EEEvPT0_PT_PfS4_S4_S4_diiiiiiib.kd
    .uniform_work_group_size: 1
    .uses_dynamic_stack: false
    .vgpr_count:     43
    .vgpr_spill_count: 0
    .wavefront_size: 32
    .workgroup_processor_mode: 1
  - .args:
      - .address_space:  global
        .offset:         0
        .size:           8
        .value_kind:     global_buffer
      - .address_space:  global
        .offset:         8
        .size:           8
        .value_kind:     global_buffer
      - .address_space:  global
        .offset:         16
        .size:           8
        .value_kind:     global_buffer
      - .address_space:  global
        .offset:         24
        .size:           8
        .value_kind:     global_buffer
      - .address_space:  global
        .offset:         32
        .size:           8
        .value_kind:     global_buffer
      - .address_space:  global
        .offset:         40
        .size:           8
        .value_kind:     global_buffer
      - .offset:         48
        .size:           8
        .value_kind:     by_value
      - .offset:         56
        .size:           4
        .value_kind:     by_value
      - .offset:         60
        .size:           4
        .value_kind:     by_value
      - .offset:         64
        .size:           4
        .value_kind:     by_value
      - .offset:         68
        .size:           4
        .value_kind:     by_value
      - .offset:         72
        .size:           4
        .value_kind:     by_value
      - .offset:         76
        .size:           4
        .value_kind:     by_value
      - .offset:         80
        .size:           4
        .value_kind:     by_value
      - .offset:         84
        .size:           1
        .value_kind:     by_value
    .group_segment_fixed_size: 64
    .kernarg_segment_align: 8
    .kernarg_segment_size: 88
    .language:       OpenCL C
    .language_version:
      - 2
      - 0
    .max_flat_workgroup_size: 1024
    .name:           _ZN5aiter24add_rmsnorm_quant_kernelIDF16_aLi256ELi16ELb0ELb1ELb0ELi1EEEvPT0_PT_PfS4_S4_S4_diiiiiiib
    .private_segment_fixed_size: 0
    .sgpr_count:     31
    .sgpr_spill_count: 0
    .symbol:         _ZN5aiter24add_rmsnorm_quant_kernelIDF16_aLi256ELi16ELb0ELb1ELb0ELi1EEEvPT0_PT_PfS4_S4_S4_diiiiiiib.kd
    .uniform_work_group_size: 1
    .uses_dynamic_stack: false
    .vgpr_count:     42
    .vgpr_spill_count: 0
    .wavefront_size: 32
    .workgroup_processor_mode: 1
  - .args:
      - .address_space:  global
        .offset:         0
        .size:           8
        .value_kind:     global_buffer
      - .address_space:  global
        .offset:         8
        .size:           8
        .value_kind:     global_buffer
      - .address_space:  global
        .offset:         16
        .size:           8
        .value_kind:     global_buffer
      - .address_space:  global
        .offset:         24
        .size:           8
        .value_kind:     global_buffer
      - .address_space:  global
        .offset:         32
        .size:           8
        .value_kind:     global_buffer
      - .address_space:  global
        .offset:         40
        .size:           8
        .value_kind:     global_buffer
      - .offset:         48
        .size:           8
        .value_kind:     by_value
      - .offset:         56
        .size:           4
        .value_kind:     by_value
      - .offset:         60
        .size:           4
        .value_kind:     by_value
      - .offset:         64
        .size:           4
        .value_kind:     by_value
      - .offset:         68
        .size:           4
        .value_kind:     by_value
      - .offset:         72
        .size:           4
        .value_kind:     by_value
      - .offset:         76
        .size:           4
        .value_kind:     by_value
      - .offset:         80
        .size:           4
        .value_kind:     by_value
      - .offset:         84
        .size:           1
        .value_kind:     by_value
    .group_segment_fixed_size: 64
    .kernarg_segment_align: 8
    .kernarg_segment_size: 88
    .language:       OpenCL C
    .language_version:
      - 2
      - 0
    .max_flat_workgroup_size: 1024
    .name:           _ZN5aiter24add_rmsnorm_quant_kernelItaLi256ELi16ELb0ELb1ELb0ELi1EEEvPT0_PT_PfS4_S4_S4_diiiiiiib
    .private_segment_fixed_size: 0
    .sgpr_count:     31
    .sgpr_spill_count: 0
    .symbol:         _ZN5aiter24add_rmsnorm_quant_kernelItaLi256ELi16ELb0ELb1ELb0ELi1EEEvPT0_PT_PfS4_S4_S4_diiiiiiib.kd
    .uniform_work_group_size: 1
    .uses_dynamic_stack: false
    .vgpr_count:     43
    .vgpr_spill_count: 0
    .wavefront_size: 32
    .workgroup_processor_mode: 1
  - .args:
      - .address_space:  global
        .offset:         0
        .size:           8
        .value_kind:     global_buffer
      - .address_space:  global
        .offset:         8
        .size:           8
        .value_kind:     global_buffer
      - .address_space:  global
        .offset:         16
        .size:           8
        .value_kind:     global_buffer
      - .address_space:  global
        .offset:         24
        .size:           8
        .value_kind:     global_buffer
      - .address_space:  global
        .offset:         32
        .size:           8
        .value_kind:     global_buffer
      - .address_space:  global
        .offset:         40
        .size:           8
        .value_kind:     global_buffer
      - .offset:         48
        .size:           8
        .value_kind:     by_value
      - .offset:         56
        .size:           4
        .value_kind:     by_value
      - .offset:         60
        .size:           4
        .value_kind:     by_value
      - .offset:         64
        .size:           4
        .value_kind:     by_value
      - .offset:         68
        .size:           4
        .value_kind:     by_value
      - .offset:         72
        .size:           4
        .value_kind:     by_value
      - .offset:         76
        .size:           4
        .value_kind:     by_value
      - .offset:         80
        .size:           4
        .value_kind:     by_value
      - .offset:         84
        .size:           1
        .value_kind:     by_value
    .group_segment_fixed_size: 64
    .kernarg_segment_align: 8
    .kernarg_segment_size: 88
    .language:       OpenCL C
    .language_version:
      - 2
      - 0
    .max_flat_workgroup_size: 1024
    .name:           _ZN5aiter24add_rmsnorm_quant_kernelIDF16_aLi256ELi24ELb0ELb1ELb1ELi1EEEvPT0_PT_PfS4_S4_S4_diiiiiiib
    .private_segment_fixed_size: 0
    .sgpr_count:     31
    .sgpr_spill_count: 0
    .symbol:         _ZN5aiter24add_rmsnorm_quant_kernelIDF16_aLi256ELi24ELb0ELb1ELb1ELi1EEEvPT0_PT_PfS4_S4_S4_diiiiiiib.kd
    .uniform_work_group_size: 1
    .uses_dynamic_stack: false
    .vgpr_count:     60
    .vgpr_spill_count: 0
    .wavefront_size: 32
    .workgroup_processor_mode: 1
  - .args:
      - .address_space:  global
        .offset:         0
        .size:           8
        .value_kind:     global_buffer
      - .address_space:  global
        .offset:         8
        .size:           8
        .value_kind:     global_buffer
      - .address_space:  global
        .offset:         16
        .size:           8
        .value_kind:     global_buffer
      - .address_space:  global
        .offset:         24
        .size:           8
        .value_kind:     global_buffer
      - .address_space:  global
        .offset:         32
        .size:           8
        .value_kind:     global_buffer
      - .address_space:  global
        .offset:         40
        .size:           8
        .value_kind:     global_buffer
      - .offset:         48
        .size:           8
        .value_kind:     by_value
      - .offset:         56
        .size:           4
        .value_kind:     by_value
      - .offset:         60
        .size:           4
        .value_kind:     by_value
      - .offset:         64
        .size:           4
        .value_kind:     by_value
      - .offset:         68
        .size:           4
        .value_kind:     by_value
      - .offset:         72
        .size:           4
        .value_kind:     by_value
      - .offset:         76
        .size:           4
        .value_kind:     by_value
      - .offset:         80
        .size:           4
        .value_kind:     by_value
      - .offset:         84
        .size:           1
        .value_kind:     by_value
    .group_segment_fixed_size: 64
    .kernarg_segment_align: 8
    .kernarg_segment_size: 88
    .language:       OpenCL C
    .language_version:
      - 2
      - 0
    .max_flat_workgroup_size: 1024
    .name:           _ZN5aiter24add_rmsnorm_quant_kernelItaLi256ELi24ELb0ELb1ELb1ELi1EEEvPT0_PT_PfS4_S4_S4_diiiiiiib
    .private_segment_fixed_size: 0
    .sgpr_count:     31
    .sgpr_spill_count: 0
    .symbol:         _ZN5aiter24add_rmsnorm_quant_kernelItaLi256ELi24ELb0ELb1ELb1ELi1EEEvPT0_PT_PfS4_S4_S4_diiiiiiib.kd
    .uniform_work_group_size: 1
    .uses_dynamic_stack: false
    .vgpr_count:     59
    .vgpr_spill_count: 0
    .wavefront_size: 32
    .workgroup_processor_mode: 1
  - .args:
      - .address_space:  global
        .offset:         0
        .size:           8
        .value_kind:     global_buffer
      - .address_space:  global
        .offset:         8
        .size:           8
        .value_kind:     global_buffer
      - .address_space:  global
        .offset:         16
        .size:           8
        .value_kind:     global_buffer
      - .address_space:  global
        .offset:         24
        .size:           8
        .value_kind:     global_buffer
      - .address_space:  global
        .offset:         32
        .size:           8
        .value_kind:     global_buffer
      - .address_space:  global
        .offset:         40
        .size:           8
        .value_kind:     global_buffer
      - .offset:         48
        .size:           8
        .value_kind:     by_value
      - .offset:         56
        .size:           4
        .value_kind:     by_value
      - .offset:         60
        .size:           4
        .value_kind:     by_value
      - .offset:         64
        .size:           4
        .value_kind:     by_value
      - .offset:         68
        .size:           4
        .value_kind:     by_value
      - .offset:         72
        .size:           4
        .value_kind:     by_value
      - .offset:         76
        .size:           4
        .value_kind:     by_value
      - .offset:         80
        .size:           4
        .value_kind:     by_value
      - .offset:         84
        .size:           1
        .value_kind:     by_value
    .group_segment_fixed_size: 64
    .kernarg_segment_align: 8
    .kernarg_segment_size: 88
    .language:       OpenCL C
    .language_version:
      - 2
      - 0
    .max_flat_workgroup_size: 1024
    .name:           _ZN5aiter24add_rmsnorm_quant_kernelIDF16_aLi256ELi24ELb0ELb1ELb0ELi1EEEvPT0_PT_PfS4_S4_S4_diiiiiiib
    .private_segment_fixed_size: 0
    .sgpr_count:     31
    .sgpr_spill_count: 0
    .symbol:         _ZN5aiter24add_rmsnorm_quant_kernelIDF16_aLi256ELi24ELb0ELb1ELb0ELi1EEEvPT0_PT_PfS4_S4_S4_diiiiiiib.kd
    .uniform_work_group_size: 1
    .uses_dynamic_stack: false
    .vgpr_count:     60
    .vgpr_spill_count: 0
    .wavefront_size: 32
    .workgroup_processor_mode: 1
  - .args:
      - .address_space:  global
        .offset:         0
        .size:           8
        .value_kind:     global_buffer
      - .address_space:  global
        .offset:         8
        .size:           8
        .value_kind:     global_buffer
      - .address_space:  global
        .offset:         16
        .size:           8
        .value_kind:     global_buffer
      - .address_space:  global
        .offset:         24
        .size:           8
        .value_kind:     global_buffer
      - .address_space:  global
        .offset:         32
        .size:           8
        .value_kind:     global_buffer
      - .address_space:  global
        .offset:         40
        .size:           8
        .value_kind:     global_buffer
      - .offset:         48
        .size:           8
        .value_kind:     by_value
      - .offset:         56
        .size:           4
        .value_kind:     by_value
      - .offset:         60
        .size:           4
        .value_kind:     by_value
      - .offset:         64
        .size:           4
        .value_kind:     by_value
      - .offset:         68
        .size:           4
        .value_kind:     by_value
      - .offset:         72
        .size:           4
        .value_kind:     by_value
      - .offset:         76
        .size:           4
        .value_kind:     by_value
      - .offset:         80
        .size:           4
        .value_kind:     by_value
      - .offset:         84
        .size:           1
        .value_kind:     by_value
    .group_segment_fixed_size: 64
    .kernarg_segment_align: 8
    .kernarg_segment_size: 88
    .language:       OpenCL C
    .language_version:
      - 2
      - 0
    .max_flat_workgroup_size: 1024
    .name:           _ZN5aiter24add_rmsnorm_quant_kernelItaLi256ELi24ELb0ELb1ELb0ELi1EEEvPT0_PT_PfS4_S4_S4_diiiiiiib
    .private_segment_fixed_size: 0
    .sgpr_count:     31
    .sgpr_spill_count: 0
    .symbol:         _ZN5aiter24add_rmsnorm_quant_kernelItaLi256ELi24ELb0ELb1ELb0ELi1EEEvPT0_PT_PfS4_S4_S4_diiiiiiib.kd
    .uniform_work_group_size: 1
    .uses_dynamic_stack: false
    .vgpr_count:     61
    .vgpr_spill_count: 0
    .wavefront_size: 32
    .workgroup_processor_mode: 1
  - .args:
      - .address_space:  global
        .offset:         0
        .size:           8
        .value_kind:     global_buffer
      - .address_space:  global
        .offset:         8
        .size:           8
        .value_kind:     global_buffer
      - .address_space:  global
        .offset:         16
        .size:           8
        .value_kind:     global_buffer
      - .address_space:  global
        .offset:         24
        .size:           8
        .value_kind:     global_buffer
      - .address_space:  global
        .offset:         32
        .size:           8
        .value_kind:     global_buffer
      - .address_space:  global
        .offset:         40
        .size:           8
        .value_kind:     global_buffer
      - .offset:         48
        .size:           8
        .value_kind:     by_value
      - .offset:         56
        .size:           4
        .value_kind:     by_value
      - .offset:         60
        .size:           4
        .value_kind:     by_value
      - .offset:         64
        .size:           4
        .value_kind:     by_value
      - .offset:         68
        .size:           4
        .value_kind:     by_value
      - .offset:         72
        .size:           4
        .value_kind:     by_value
      - .offset:         76
        .size:           4
        .value_kind:     by_value
      - .offset:         80
        .size:           4
        .value_kind:     by_value
      - .offset:         84
        .size:           1
        .value_kind:     by_value
    .group_segment_fixed_size: 64
    .kernarg_segment_align: 8
    .kernarg_segment_size: 88
    .language:       OpenCL C
    .language_version:
      - 2
      - 0
    .max_flat_workgroup_size: 1024
    .name:           _ZN5aiter24add_rmsnorm_quant_kernelIDF16_aLi256ELi32ELb0ELb1ELb1ELi1EEEvPT0_PT_PfS4_S4_S4_diiiiiiib
    .private_segment_fixed_size: 0
    .sgpr_count:     31
    .sgpr_spill_count: 0
    .symbol:         _ZN5aiter24add_rmsnorm_quant_kernelIDF16_aLi256ELi32ELb0ELb1ELb1ELi1EEEvPT0_PT_PfS4_S4_S4_diiiiiiib.kd
    .uniform_work_group_size: 1
    .uses_dynamic_stack: false
    .vgpr_count:     80
    .vgpr_spill_count: 0
    .wavefront_size: 32
    .workgroup_processor_mode: 1
  - .args:
      - .address_space:  global
        .offset:         0
        .size:           8
        .value_kind:     global_buffer
      - .address_space:  global
        .offset:         8
        .size:           8
        .value_kind:     global_buffer
      - .address_space:  global
        .offset:         16
        .size:           8
        .value_kind:     global_buffer
      - .address_space:  global
        .offset:         24
        .size:           8
        .value_kind:     global_buffer
      - .address_space:  global
        .offset:         32
        .size:           8
        .value_kind:     global_buffer
      - .address_space:  global
        .offset:         40
        .size:           8
        .value_kind:     global_buffer
      - .offset:         48
        .size:           8
        .value_kind:     by_value
      - .offset:         56
        .size:           4
        .value_kind:     by_value
      - .offset:         60
        .size:           4
        .value_kind:     by_value
      - .offset:         64
        .size:           4
        .value_kind:     by_value
      - .offset:         68
        .size:           4
        .value_kind:     by_value
      - .offset:         72
        .size:           4
        .value_kind:     by_value
      - .offset:         76
        .size:           4
        .value_kind:     by_value
      - .offset:         80
        .size:           4
        .value_kind:     by_value
      - .offset:         84
        .size:           1
        .value_kind:     by_value
    .group_segment_fixed_size: 64
    .kernarg_segment_align: 8
    .kernarg_segment_size: 88
    .language:       OpenCL C
    .language_version:
      - 2
      - 0
    .max_flat_workgroup_size: 1024
    .name:           _ZN5aiter24add_rmsnorm_quant_kernelItaLi256ELi32ELb0ELb1ELb1ELi1EEEvPT0_PT_PfS4_S4_S4_diiiiiiib
    .private_segment_fixed_size: 0
    .sgpr_count:     31
    .sgpr_spill_count: 0
    .symbol:         _ZN5aiter24add_rmsnorm_quant_kernelItaLi256ELi32ELb0ELb1ELb1ELi1EEEvPT0_PT_PfS4_S4_S4_diiiiiiib.kd
    .uniform_work_group_size: 1
    .uses_dynamic_stack: false
    .vgpr_count:     78
    .vgpr_spill_count: 0
    .wavefront_size: 32
    .workgroup_processor_mode: 1
  - .args:
      - .address_space:  global
        .offset:         0
        .size:           8
        .value_kind:     global_buffer
      - .address_space:  global
        .offset:         8
        .size:           8
        .value_kind:     global_buffer
      - .address_space:  global
        .offset:         16
        .size:           8
        .value_kind:     global_buffer
      - .address_space:  global
        .offset:         24
        .size:           8
        .value_kind:     global_buffer
      - .address_space:  global
        .offset:         32
        .size:           8
        .value_kind:     global_buffer
      - .address_space:  global
        .offset:         40
        .size:           8
        .value_kind:     global_buffer
      - .offset:         48
        .size:           8
        .value_kind:     by_value
      - .offset:         56
        .size:           4
        .value_kind:     by_value
      - .offset:         60
        .size:           4
        .value_kind:     by_value
      - .offset:         64
        .size:           4
        .value_kind:     by_value
      - .offset:         68
        .size:           4
        .value_kind:     by_value
      - .offset:         72
        .size:           4
        .value_kind:     by_value
      - .offset:         76
        .size:           4
        .value_kind:     by_value
      - .offset:         80
        .size:           4
        .value_kind:     by_value
      - .offset:         84
        .size:           1
        .value_kind:     by_value
    .group_segment_fixed_size: 64
    .kernarg_segment_align: 8
    .kernarg_segment_size: 88
    .language:       OpenCL C
    .language_version:
      - 2
      - 0
    .max_flat_workgroup_size: 1024
    .name:           _ZN5aiter24add_rmsnorm_quant_kernelIDF16_aLi256ELi32ELb0ELb1ELb0ELi1EEEvPT0_PT_PfS4_S4_S4_diiiiiiib
    .private_segment_fixed_size: 0
    .sgpr_count:     31
    .sgpr_spill_count: 0
    .symbol:         _ZN5aiter24add_rmsnorm_quant_kernelIDF16_aLi256ELi32ELb0ELb1ELb0ELi1EEEvPT0_PT_PfS4_S4_S4_diiiiiiib.kd
    .uniform_work_group_size: 1
    .uses_dynamic_stack: false
    .vgpr_count:     80
    .vgpr_spill_count: 0
    .wavefront_size: 32
    .workgroup_processor_mode: 1
  - .args:
      - .address_space:  global
        .offset:         0
        .size:           8
        .value_kind:     global_buffer
      - .address_space:  global
        .offset:         8
        .size:           8
        .value_kind:     global_buffer
      - .address_space:  global
        .offset:         16
        .size:           8
        .value_kind:     global_buffer
      - .address_space:  global
        .offset:         24
        .size:           8
        .value_kind:     global_buffer
      - .address_space:  global
        .offset:         32
        .size:           8
        .value_kind:     global_buffer
      - .address_space:  global
        .offset:         40
        .size:           8
        .value_kind:     global_buffer
      - .offset:         48
        .size:           8
        .value_kind:     by_value
      - .offset:         56
        .size:           4
        .value_kind:     by_value
      - .offset:         60
        .size:           4
        .value_kind:     by_value
      - .offset:         64
        .size:           4
        .value_kind:     by_value
      - .offset:         68
        .size:           4
        .value_kind:     by_value
      - .offset:         72
        .size:           4
        .value_kind:     by_value
      - .offset:         76
        .size:           4
        .value_kind:     by_value
      - .offset:         80
        .size:           4
        .value_kind:     by_value
      - .offset:         84
        .size:           1
        .value_kind:     by_value
    .group_segment_fixed_size: 64
    .kernarg_segment_align: 8
    .kernarg_segment_size: 88
    .language:       OpenCL C
    .language_version:
      - 2
      - 0
    .max_flat_workgroup_size: 1024
    .name:           _ZN5aiter24add_rmsnorm_quant_kernelItaLi256ELi32ELb0ELb1ELb0ELi1EEEvPT0_PT_PfS4_S4_S4_diiiiiiib
    .private_segment_fixed_size: 0
    .sgpr_count:     31
    .sgpr_spill_count: 0
    .symbol:         _ZN5aiter24add_rmsnorm_quant_kernelItaLi256ELi32ELb0ELb1ELb0ELi1EEEvPT0_PT_PfS4_S4_S4_diiiiiiib.kd
    .uniform_work_group_size: 1
    .uses_dynamic_stack: false
    .vgpr_count:     77
    .vgpr_spill_count: 0
    .wavefront_size: 32
    .workgroup_processor_mode: 1
  - .args:
      - .address_space:  global
        .offset:         0
        .size:           8
        .value_kind:     global_buffer
      - .address_space:  global
        .offset:         8
        .size:           8
        .value_kind:     global_buffer
      - .address_space:  global
        .offset:         16
        .size:           8
        .value_kind:     global_buffer
      - .address_space:  global
        .offset:         24
        .size:           8
        .value_kind:     global_buffer
      - .address_space:  global
        .offset:         32
        .size:           8
        .value_kind:     global_buffer
      - .address_space:  global
        .offset:         40
        .size:           8
        .value_kind:     global_buffer
      - .offset:         48
        .size:           8
        .value_kind:     by_value
      - .offset:         56
        .size:           4
        .value_kind:     by_value
      - .offset:         60
        .size:           4
        .value_kind:     by_value
      - .offset:         64
        .size:           4
        .value_kind:     by_value
      - .offset:         68
        .size:           4
        .value_kind:     by_value
      - .offset:         72
        .size:           4
        .value_kind:     by_value
      - .offset:         76
        .size:           4
        .value_kind:     by_value
      - .offset:         80
        .size:           4
        .value_kind:     by_value
      - .offset:         84
        .size:           1
        .value_kind:     by_value
    .group_segment_fixed_size: 8
    .kernarg_segment_align: 8
    .kernarg_segment_size: 88
    .language:       OpenCL C
    .language_version:
      - 2
      - 0
    .max_flat_workgroup_size: 1024
    .name:           _ZN5aiter24add_rmsnorm_quant_kernelIDF16_DF16_Li64ELi8ELb1ELb0ELb1ELi1EEEvPT0_PT_PfS4_S4_S4_diiiiiiib
    .private_segment_fixed_size: 0
    .sgpr_count:     24
    .sgpr_spill_count: 0
    .symbol:         _ZN5aiter24add_rmsnorm_quant_kernelIDF16_DF16_Li64ELi8ELb1ELb0ELb1ELi1EEEvPT0_PT_PfS4_S4_S4_diiiiiiib.kd
    .uniform_work_group_size: 1
    .uses_dynamic_stack: false
    .vgpr_count:     25
    .vgpr_spill_count: 0
    .wavefront_size: 32
    .workgroup_processor_mode: 1
  - .args:
      - .address_space:  global
        .offset:         0
        .size:           8
        .value_kind:     global_buffer
      - .address_space:  global
        .offset:         8
        .size:           8
        .value_kind:     global_buffer
      - .address_space:  global
        .offset:         16
        .size:           8
        .value_kind:     global_buffer
      - .address_space:  global
        .offset:         24
        .size:           8
        .value_kind:     global_buffer
      - .address_space:  global
        .offset:         32
        .size:           8
        .value_kind:     global_buffer
      - .address_space:  global
        .offset:         40
        .size:           8
        .value_kind:     global_buffer
      - .offset:         48
        .size:           8
        .value_kind:     by_value
      - .offset:         56
        .size:           4
        .value_kind:     by_value
      - .offset:         60
        .size:           4
        .value_kind:     by_value
      - .offset:         64
        .size:           4
        .value_kind:     by_value
      - .offset:         68
        .size:           4
        .value_kind:     by_value
      - .offset:         72
        .size:           4
        .value_kind:     by_value
      - .offset:         76
        .size:           4
        .value_kind:     by_value
      - .offset:         80
        .size:           4
        .value_kind:     by_value
      - .offset:         84
        .size:           1
        .value_kind:     by_value
    .group_segment_fixed_size: 8
    .kernarg_segment_align: 8
    .kernarg_segment_size: 88
    .language:       OpenCL C
    .language_version:
      - 2
      - 0
    .max_flat_workgroup_size: 1024
    .name:           _ZN5aiter24add_rmsnorm_quant_kernelIttLi64ELi8ELb1ELb0ELb1ELi1EEEvPT0_PT_PfS4_S4_S4_diiiiiiib
    .private_segment_fixed_size: 0
    .sgpr_count:     24
    .sgpr_spill_count: 0
    .symbol:         _ZN5aiter24add_rmsnorm_quant_kernelIttLi64ELi8ELb1ELb0ELb1ELi1EEEvPT0_PT_PfS4_S4_S4_diiiiiiib.kd
    .uniform_work_group_size: 1
    .uses_dynamic_stack: false
    .vgpr_count:     21
    .vgpr_spill_count: 0
    .wavefront_size: 32
    .workgroup_processor_mode: 1
  - .args:
      - .address_space:  global
        .offset:         0
        .size:           8
        .value_kind:     global_buffer
      - .address_space:  global
        .offset:         8
        .size:           8
        .value_kind:     global_buffer
      - .address_space:  global
        .offset:         16
        .size:           8
        .value_kind:     global_buffer
      - .address_space:  global
        .offset:         24
        .size:           8
        .value_kind:     global_buffer
      - .address_space:  global
        .offset:         32
        .size:           8
        .value_kind:     global_buffer
      - .address_space:  global
        .offset:         40
        .size:           8
        .value_kind:     global_buffer
      - .offset:         48
        .size:           8
        .value_kind:     by_value
      - .offset:         56
        .size:           4
        .value_kind:     by_value
      - .offset:         60
        .size:           4
        .value_kind:     by_value
      - .offset:         64
        .size:           4
        .value_kind:     by_value
      - .offset:         68
        .size:           4
        .value_kind:     by_value
      - .offset:         72
        .size:           4
        .value_kind:     by_value
      - .offset:         76
        .size:           4
        .value_kind:     by_value
      - .offset:         80
        .size:           4
        .value_kind:     by_value
      - .offset:         84
        .size:           1
        .value_kind:     by_value
    .group_segment_fixed_size: 8
    .kernarg_segment_align: 8
    .kernarg_segment_size: 88
    .language:       OpenCL C
    .language_version:
      - 2
      - 0
    .max_flat_workgroup_size: 1024
    .name:           _ZN5aiter24add_rmsnorm_quant_kernelIDF16_DF16_Li64ELi8ELb1ELb0ELb0ELi1EEEvPT0_PT_PfS4_S4_S4_diiiiiiib
    .private_segment_fixed_size: 0
    .sgpr_count:     24
    .sgpr_spill_count: 0
    .symbol:         _ZN5aiter24add_rmsnorm_quant_kernelIDF16_DF16_Li64ELi8ELb1ELb0ELb0ELi1EEEvPT0_PT_PfS4_S4_S4_diiiiiiib.kd
    .uniform_work_group_size: 1
    .uses_dynamic_stack: false
    .vgpr_count:     25
    .vgpr_spill_count: 0
    .wavefront_size: 32
    .workgroup_processor_mode: 1
  - .args:
      - .address_space:  global
        .offset:         0
        .size:           8
        .value_kind:     global_buffer
      - .address_space:  global
        .offset:         8
        .size:           8
        .value_kind:     global_buffer
      - .address_space:  global
        .offset:         16
        .size:           8
        .value_kind:     global_buffer
      - .address_space:  global
        .offset:         24
        .size:           8
        .value_kind:     global_buffer
      - .address_space:  global
        .offset:         32
        .size:           8
        .value_kind:     global_buffer
      - .address_space:  global
        .offset:         40
        .size:           8
        .value_kind:     global_buffer
      - .offset:         48
        .size:           8
        .value_kind:     by_value
      - .offset:         56
        .size:           4
        .value_kind:     by_value
      - .offset:         60
        .size:           4
        .value_kind:     by_value
      - .offset:         64
        .size:           4
        .value_kind:     by_value
      - .offset:         68
        .size:           4
        .value_kind:     by_value
      - .offset:         72
        .size:           4
        .value_kind:     by_value
      - .offset:         76
        .size:           4
        .value_kind:     by_value
      - .offset:         80
        .size:           4
        .value_kind:     by_value
      - .offset:         84
        .size:           1
        .value_kind:     by_value
    .group_segment_fixed_size: 8
    .kernarg_segment_align: 8
    .kernarg_segment_size: 88
    .language:       OpenCL C
    .language_version:
      - 2
      - 0
    .max_flat_workgroup_size: 1024
    .name:           _ZN5aiter24add_rmsnorm_quant_kernelIttLi64ELi8ELb1ELb0ELb0ELi1EEEvPT0_PT_PfS4_S4_S4_diiiiiiib
    .private_segment_fixed_size: 0
    .sgpr_count:     24
    .sgpr_spill_count: 0
    .symbol:         _ZN5aiter24add_rmsnorm_quant_kernelIttLi64ELi8ELb1ELb0ELb0ELi1EEEvPT0_PT_PfS4_S4_S4_diiiiiiib.kd
    .uniform_work_group_size: 1
    .uses_dynamic_stack: false
    .vgpr_count:     21
    .vgpr_spill_count: 0
    .wavefront_size: 32
    .workgroup_processor_mode: 1
  - .args:
      - .address_space:  global
        .offset:         0
        .size:           8
        .value_kind:     global_buffer
      - .address_space:  global
        .offset:         8
        .size:           8
        .value_kind:     global_buffer
      - .address_space:  global
        .offset:         16
        .size:           8
        .value_kind:     global_buffer
      - .address_space:  global
        .offset:         24
        .size:           8
        .value_kind:     global_buffer
      - .address_space:  global
        .offset:         32
        .size:           8
        .value_kind:     global_buffer
      - .address_space:  global
        .offset:         40
        .size:           8
        .value_kind:     global_buffer
      - .offset:         48
        .size:           8
        .value_kind:     by_value
      - .offset:         56
        .size:           4
        .value_kind:     by_value
      - .offset:         60
        .size:           4
        .value_kind:     by_value
      - .offset:         64
        .size:           4
        .value_kind:     by_value
      - .offset:         68
        .size:           4
        .value_kind:     by_value
      - .offset:         72
        .size:           4
        .value_kind:     by_value
      - .offset:         76
        .size:           4
        .value_kind:     by_value
      - .offset:         80
        .size:           4
        .value_kind:     by_value
      - .offset:         84
        .size:           1
        .value_kind:     by_value
    .group_segment_fixed_size: 16
    .kernarg_segment_align: 8
    .kernarg_segment_size: 88
    .language:       OpenCL C
    .language_version:
      - 2
      - 0
    .max_flat_workgroup_size: 1024
    .name:           _ZN5aiter24add_rmsnorm_quant_kernelIDF16_DF16_Li128ELi8ELb1ELb0ELb1ELi1EEEvPT0_PT_PfS4_S4_S4_diiiiiiib
    .private_segment_fixed_size: 0
    .sgpr_count:     24
    .sgpr_spill_count: 0
    .symbol:         _ZN5aiter24add_rmsnorm_quant_kernelIDF16_DF16_Li128ELi8ELb1ELb0ELb1ELi1EEEvPT0_PT_PfS4_S4_S4_diiiiiiib.kd
    .uniform_work_group_size: 1
    .uses_dynamic_stack: false
    .vgpr_count:     25
    .vgpr_spill_count: 0
    .wavefront_size: 32
    .workgroup_processor_mode: 1
  - .args:
      - .address_space:  global
        .offset:         0
        .size:           8
        .value_kind:     global_buffer
      - .address_space:  global
        .offset:         8
        .size:           8
        .value_kind:     global_buffer
      - .address_space:  global
        .offset:         16
        .size:           8
        .value_kind:     global_buffer
      - .address_space:  global
        .offset:         24
        .size:           8
        .value_kind:     global_buffer
      - .address_space:  global
        .offset:         32
        .size:           8
        .value_kind:     global_buffer
      - .address_space:  global
        .offset:         40
        .size:           8
        .value_kind:     global_buffer
      - .offset:         48
        .size:           8
        .value_kind:     by_value
      - .offset:         56
        .size:           4
        .value_kind:     by_value
      - .offset:         60
        .size:           4
        .value_kind:     by_value
      - .offset:         64
        .size:           4
        .value_kind:     by_value
      - .offset:         68
        .size:           4
        .value_kind:     by_value
      - .offset:         72
        .size:           4
        .value_kind:     by_value
      - .offset:         76
        .size:           4
        .value_kind:     by_value
      - .offset:         80
        .size:           4
        .value_kind:     by_value
      - .offset:         84
        .size:           1
        .value_kind:     by_value
    .group_segment_fixed_size: 16
    .kernarg_segment_align: 8
    .kernarg_segment_size: 88
    .language:       OpenCL C
    .language_version:
      - 2
      - 0
    .max_flat_workgroup_size: 1024
    .name:           _ZN5aiter24add_rmsnorm_quant_kernelIttLi128ELi8ELb1ELb0ELb1ELi1EEEvPT0_PT_PfS4_S4_S4_diiiiiiib
    .private_segment_fixed_size: 0
    .sgpr_count:     24
    .sgpr_spill_count: 0
    .symbol:         _ZN5aiter24add_rmsnorm_quant_kernelIttLi128ELi8ELb1ELb0ELb1ELi1EEEvPT0_PT_PfS4_S4_S4_diiiiiiib.kd
    .uniform_work_group_size: 1
    .uses_dynamic_stack: false
    .vgpr_count:     21
    .vgpr_spill_count: 0
    .wavefront_size: 32
    .workgroup_processor_mode: 1
  - .args:
      - .address_space:  global
        .offset:         0
        .size:           8
        .value_kind:     global_buffer
      - .address_space:  global
        .offset:         8
        .size:           8
        .value_kind:     global_buffer
      - .address_space:  global
        .offset:         16
        .size:           8
        .value_kind:     global_buffer
      - .address_space:  global
        .offset:         24
        .size:           8
        .value_kind:     global_buffer
      - .address_space:  global
        .offset:         32
        .size:           8
        .value_kind:     global_buffer
      - .address_space:  global
        .offset:         40
        .size:           8
        .value_kind:     global_buffer
      - .offset:         48
        .size:           8
        .value_kind:     by_value
      - .offset:         56
        .size:           4
        .value_kind:     by_value
      - .offset:         60
        .size:           4
        .value_kind:     by_value
      - .offset:         64
        .size:           4
        .value_kind:     by_value
      - .offset:         68
        .size:           4
        .value_kind:     by_value
      - .offset:         72
        .size:           4
        .value_kind:     by_value
      - .offset:         76
        .size:           4
        .value_kind:     by_value
      - .offset:         80
        .size:           4
        .value_kind:     by_value
      - .offset:         84
        .size:           1
        .value_kind:     by_value
    .group_segment_fixed_size: 16
    .kernarg_segment_align: 8
    .kernarg_segment_size: 88
    .language:       OpenCL C
    .language_version:
      - 2
      - 0
    .max_flat_workgroup_size: 1024
    .name:           _ZN5aiter24add_rmsnorm_quant_kernelIDF16_DF16_Li128ELi8ELb1ELb0ELb0ELi1EEEvPT0_PT_PfS4_S4_S4_diiiiiiib
    .private_segment_fixed_size: 0
    .sgpr_count:     24
    .sgpr_spill_count: 0
    .symbol:         _ZN5aiter24add_rmsnorm_quant_kernelIDF16_DF16_Li128ELi8ELb1ELb0ELb0ELi1EEEvPT0_PT_PfS4_S4_S4_diiiiiiib.kd
    .uniform_work_group_size: 1
    .uses_dynamic_stack: false
    .vgpr_count:     25
    .vgpr_spill_count: 0
    .wavefront_size: 32
    .workgroup_processor_mode: 1
  - .args:
      - .address_space:  global
        .offset:         0
        .size:           8
        .value_kind:     global_buffer
      - .address_space:  global
        .offset:         8
        .size:           8
        .value_kind:     global_buffer
      - .address_space:  global
        .offset:         16
        .size:           8
        .value_kind:     global_buffer
      - .address_space:  global
        .offset:         24
        .size:           8
        .value_kind:     global_buffer
      - .address_space:  global
        .offset:         32
        .size:           8
        .value_kind:     global_buffer
      - .address_space:  global
        .offset:         40
        .size:           8
        .value_kind:     global_buffer
      - .offset:         48
        .size:           8
        .value_kind:     by_value
      - .offset:         56
        .size:           4
        .value_kind:     by_value
      - .offset:         60
        .size:           4
        .value_kind:     by_value
      - .offset:         64
        .size:           4
        .value_kind:     by_value
      - .offset:         68
        .size:           4
        .value_kind:     by_value
      - .offset:         72
        .size:           4
        .value_kind:     by_value
      - .offset:         76
        .size:           4
        .value_kind:     by_value
      - .offset:         80
        .size:           4
        .value_kind:     by_value
      - .offset:         84
        .size:           1
        .value_kind:     by_value
    .group_segment_fixed_size: 16
    .kernarg_segment_align: 8
    .kernarg_segment_size: 88
    .language:       OpenCL C
    .language_version:
      - 2
      - 0
    .max_flat_workgroup_size: 1024
    .name:           _ZN5aiter24add_rmsnorm_quant_kernelIttLi128ELi8ELb1ELb0ELb0ELi1EEEvPT0_PT_PfS4_S4_S4_diiiiiiib
    .private_segment_fixed_size: 0
    .sgpr_count:     24
    .sgpr_spill_count: 0
    .symbol:         _ZN5aiter24add_rmsnorm_quant_kernelIttLi128ELi8ELb1ELb0ELb0ELi1EEEvPT0_PT_PfS4_S4_S4_diiiiiiib.kd
    .uniform_work_group_size: 1
    .uses_dynamic_stack: false
    .vgpr_count:     21
    .vgpr_spill_count: 0
    .wavefront_size: 32
    .workgroup_processor_mode: 1
  - .args:
      - .address_space:  global
        .offset:         0
        .size:           8
        .value_kind:     global_buffer
      - .address_space:  global
        .offset:         8
        .size:           8
        .value_kind:     global_buffer
      - .address_space:  global
        .offset:         16
        .size:           8
        .value_kind:     global_buffer
      - .address_space:  global
        .offset:         24
        .size:           8
        .value_kind:     global_buffer
      - .address_space:  global
        .offset:         32
        .size:           8
        .value_kind:     global_buffer
      - .address_space:  global
        .offset:         40
        .size:           8
        .value_kind:     global_buffer
      - .offset:         48
        .size:           8
        .value_kind:     by_value
      - .offset:         56
        .size:           4
        .value_kind:     by_value
      - .offset:         60
        .size:           4
        .value_kind:     by_value
      - .offset:         64
        .size:           4
        .value_kind:     by_value
      - .offset:         68
        .size:           4
        .value_kind:     by_value
      - .offset:         72
        .size:           4
        .value_kind:     by_value
      - .offset:         76
        .size:           4
        .value_kind:     by_value
      - .offset:         80
        .size:           4
        .value_kind:     by_value
      - .offset:         84
        .size:           1
        .value_kind:     by_value
    .group_segment_fixed_size: 32
    .kernarg_segment_align: 8
    .kernarg_segment_size: 88
    .language:       OpenCL C
    .language_version:
      - 2
      - 0
    .max_flat_workgroup_size: 1024
    .name:           _ZN5aiter24add_rmsnorm_quant_kernelIDF16_DF16_Li256ELi8ELb1ELb0ELb1ELi1EEEvPT0_PT_PfS4_S4_S4_diiiiiiib
    .private_segment_fixed_size: 0
    .sgpr_count:     24
    .sgpr_spill_count: 0
    .symbol:         _ZN5aiter24add_rmsnorm_quant_kernelIDF16_DF16_Li256ELi8ELb1ELb0ELb1ELi1EEEvPT0_PT_PfS4_S4_S4_diiiiiiib.kd
    .uniform_work_group_size: 1
    .uses_dynamic_stack: false
    .vgpr_count:     25
    .vgpr_spill_count: 0
    .wavefront_size: 32
    .workgroup_processor_mode: 1
  - .args:
      - .address_space:  global
        .offset:         0
        .size:           8
        .value_kind:     global_buffer
      - .address_space:  global
        .offset:         8
        .size:           8
        .value_kind:     global_buffer
      - .address_space:  global
        .offset:         16
        .size:           8
        .value_kind:     global_buffer
      - .address_space:  global
        .offset:         24
        .size:           8
        .value_kind:     global_buffer
      - .address_space:  global
        .offset:         32
        .size:           8
        .value_kind:     global_buffer
      - .address_space:  global
        .offset:         40
        .size:           8
        .value_kind:     global_buffer
      - .offset:         48
        .size:           8
        .value_kind:     by_value
      - .offset:         56
        .size:           4
        .value_kind:     by_value
      - .offset:         60
        .size:           4
        .value_kind:     by_value
      - .offset:         64
        .size:           4
        .value_kind:     by_value
      - .offset:         68
        .size:           4
        .value_kind:     by_value
      - .offset:         72
        .size:           4
        .value_kind:     by_value
      - .offset:         76
        .size:           4
        .value_kind:     by_value
      - .offset:         80
        .size:           4
        .value_kind:     by_value
      - .offset:         84
        .size:           1
        .value_kind:     by_value
    .group_segment_fixed_size: 32
    .kernarg_segment_align: 8
    .kernarg_segment_size: 88
    .language:       OpenCL C
    .language_version:
      - 2
      - 0
    .max_flat_workgroup_size: 1024
    .name:           _ZN5aiter24add_rmsnorm_quant_kernelIttLi256ELi8ELb1ELb0ELb1ELi1EEEvPT0_PT_PfS4_S4_S4_diiiiiiib
    .private_segment_fixed_size: 0
    .sgpr_count:     24
    .sgpr_spill_count: 0
    .symbol:         _ZN5aiter24add_rmsnorm_quant_kernelIttLi256ELi8ELb1ELb0ELb1ELi1EEEvPT0_PT_PfS4_S4_S4_diiiiiiib.kd
    .uniform_work_group_size: 1
    .uses_dynamic_stack: false
    .vgpr_count:     21
    .vgpr_spill_count: 0
    .wavefront_size: 32
    .workgroup_processor_mode: 1
  - .args:
      - .address_space:  global
        .offset:         0
        .size:           8
        .value_kind:     global_buffer
      - .address_space:  global
        .offset:         8
        .size:           8
        .value_kind:     global_buffer
      - .address_space:  global
        .offset:         16
        .size:           8
        .value_kind:     global_buffer
      - .address_space:  global
        .offset:         24
        .size:           8
        .value_kind:     global_buffer
      - .address_space:  global
        .offset:         32
        .size:           8
        .value_kind:     global_buffer
      - .address_space:  global
        .offset:         40
        .size:           8
        .value_kind:     global_buffer
      - .offset:         48
        .size:           8
        .value_kind:     by_value
      - .offset:         56
        .size:           4
        .value_kind:     by_value
      - .offset:         60
        .size:           4
        .value_kind:     by_value
      - .offset:         64
        .size:           4
        .value_kind:     by_value
      - .offset:         68
        .size:           4
        .value_kind:     by_value
      - .offset:         72
        .size:           4
        .value_kind:     by_value
      - .offset:         76
        .size:           4
        .value_kind:     by_value
      - .offset:         80
        .size:           4
        .value_kind:     by_value
      - .offset:         84
        .size:           1
        .value_kind:     by_value
    .group_segment_fixed_size: 32
    .kernarg_segment_align: 8
    .kernarg_segment_size: 88
    .language:       OpenCL C
    .language_version:
      - 2
      - 0
    .max_flat_workgroup_size: 1024
    .name:           _ZN5aiter24add_rmsnorm_quant_kernelIDF16_DF16_Li256ELi8ELb1ELb0ELb0ELi1EEEvPT0_PT_PfS4_S4_S4_diiiiiiib
    .private_segment_fixed_size: 0
    .sgpr_count:     24
    .sgpr_spill_count: 0
    .symbol:         _ZN5aiter24add_rmsnorm_quant_kernelIDF16_DF16_Li256ELi8ELb1ELb0ELb0ELi1EEEvPT0_PT_PfS4_S4_S4_diiiiiiib.kd
    .uniform_work_group_size: 1
    .uses_dynamic_stack: false
    .vgpr_count:     25
    .vgpr_spill_count: 0
    .wavefront_size: 32
    .workgroup_processor_mode: 1
  - .args:
      - .address_space:  global
        .offset:         0
        .size:           8
        .value_kind:     global_buffer
      - .address_space:  global
        .offset:         8
        .size:           8
        .value_kind:     global_buffer
      - .address_space:  global
        .offset:         16
        .size:           8
        .value_kind:     global_buffer
      - .address_space:  global
        .offset:         24
        .size:           8
        .value_kind:     global_buffer
      - .address_space:  global
        .offset:         32
        .size:           8
        .value_kind:     global_buffer
      - .address_space:  global
        .offset:         40
        .size:           8
        .value_kind:     global_buffer
      - .offset:         48
        .size:           8
        .value_kind:     by_value
      - .offset:         56
        .size:           4
        .value_kind:     by_value
      - .offset:         60
        .size:           4
        .value_kind:     by_value
      - .offset:         64
        .size:           4
        .value_kind:     by_value
      - .offset:         68
        .size:           4
        .value_kind:     by_value
      - .offset:         72
        .size:           4
        .value_kind:     by_value
      - .offset:         76
        .size:           4
        .value_kind:     by_value
      - .offset:         80
        .size:           4
        .value_kind:     by_value
      - .offset:         84
        .size:           1
        .value_kind:     by_value
    .group_segment_fixed_size: 32
    .kernarg_segment_align: 8
    .kernarg_segment_size: 88
    .language:       OpenCL C
    .language_version:
      - 2
      - 0
    .max_flat_workgroup_size: 1024
    .name:           _ZN5aiter24add_rmsnorm_quant_kernelIttLi256ELi8ELb1ELb0ELb0ELi1EEEvPT0_PT_PfS4_S4_S4_diiiiiiib
    .private_segment_fixed_size: 0
    .sgpr_count:     24
    .sgpr_spill_count: 0
    .symbol:         _ZN5aiter24add_rmsnorm_quant_kernelIttLi256ELi8ELb1ELb0ELb0ELi1EEEvPT0_PT_PfS4_S4_S4_diiiiiiib.kd
    .uniform_work_group_size: 1
    .uses_dynamic_stack: false
    .vgpr_count:     21
    .vgpr_spill_count: 0
    .wavefront_size: 32
    .workgroup_processor_mode: 1
  - .args:
      - .address_space:  global
        .offset:         0
        .size:           8
        .value_kind:     global_buffer
      - .address_space:  global
        .offset:         8
        .size:           8
        .value_kind:     global_buffer
      - .address_space:  global
        .offset:         16
        .size:           8
        .value_kind:     global_buffer
      - .address_space:  global
        .offset:         24
        .size:           8
        .value_kind:     global_buffer
      - .address_space:  global
        .offset:         32
        .size:           8
        .value_kind:     global_buffer
      - .address_space:  global
        .offset:         40
        .size:           8
        .value_kind:     global_buffer
      - .offset:         48
        .size:           8
        .value_kind:     by_value
      - .offset:         56
        .size:           4
        .value_kind:     by_value
      - .offset:         60
        .size:           4
        .value_kind:     by_value
      - .offset:         64
        .size:           4
        .value_kind:     by_value
      - .offset:         68
        .size:           4
        .value_kind:     by_value
      - .offset:         72
        .size:           4
        .value_kind:     by_value
      - .offset:         76
        .size:           4
        .value_kind:     by_value
      - .offset:         80
        .size:           4
        .value_kind:     by_value
      - .offset:         84
        .size:           1
        .value_kind:     by_value
    .group_segment_fixed_size: 32
    .kernarg_segment_align: 8
    .kernarg_segment_size: 88
    .language:       OpenCL C
    .language_version:
      - 2
      - 0
    .max_flat_workgroup_size: 1024
    .name:           _ZN5aiter24add_rmsnorm_quant_kernelIDF16_DF16_Li256ELi16ELb1ELb0ELb1ELi1EEEvPT0_PT_PfS4_S4_S4_diiiiiiib
    .private_segment_fixed_size: 0
    .sgpr_count:     24
    .sgpr_spill_count: 0
    .symbol:         _ZN5aiter24add_rmsnorm_quant_kernelIDF16_DF16_Li256ELi16ELb1ELb0ELb1ELi1EEEvPT0_PT_PfS4_S4_S4_diiiiiiib.kd
    .uniform_work_group_size: 1
    .uses_dynamic_stack: false
    .vgpr_count:     46
    .vgpr_spill_count: 0
    .wavefront_size: 32
    .workgroup_processor_mode: 1
  - .args:
      - .address_space:  global
        .offset:         0
        .size:           8
        .value_kind:     global_buffer
      - .address_space:  global
        .offset:         8
        .size:           8
        .value_kind:     global_buffer
      - .address_space:  global
        .offset:         16
        .size:           8
        .value_kind:     global_buffer
      - .address_space:  global
        .offset:         24
        .size:           8
        .value_kind:     global_buffer
      - .address_space:  global
        .offset:         32
        .size:           8
        .value_kind:     global_buffer
      - .address_space:  global
        .offset:         40
        .size:           8
        .value_kind:     global_buffer
      - .offset:         48
        .size:           8
        .value_kind:     by_value
      - .offset:         56
        .size:           4
        .value_kind:     by_value
      - .offset:         60
        .size:           4
        .value_kind:     by_value
      - .offset:         64
        .size:           4
        .value_kind:     by_value
      - .offset:         68
        .size:           4
        .value_kind:     by_value
      - .offset:         72
        .size:           4
        .value_kind:     by_value
      - .offset:         76
        .size:           4
        .value_kind:     by_value
      - .offset:         80
        .size:           4
        .value_kind:     by_value
      - .offset:         84
        .size:           1
        .value_kind:     by_value
    .group_segment_fixed_size: 32
    .kernarg_segment_align: 8
    .kernarg_segment_size: 88
    .language:       OpenCL C
    .language_version:
      - 2
      - 0
    .max_flat_workgroup_size: 1024
    .name:           _ZN5aiter24add_rmsnorm_quant_kernelIttLi256ELi16ELb1ELb0ELb1ELi1EEEvPT0_PT_PfS4_S4_S4_diiiiiiib
    .private_segment_fixed_size: 0
    .sgpr_count:     24
    .sgpr_spill_count: 0
    .symbol:         _ZN5aiter24add_rmsnorm_quant_kernelIttLi256ELi16ELb1ELb0ELb1ELi1EEEvPT0_PT_PfS4_S4_S4_diiiiiiib.kd
    .uniform_work_group_size: 1
    .uses_dynamic_stack: false
    .vgpr_count:     41
    .vgpr_spill_count: 0
    .wavefront_size: 32
    .workgroup_processor_mode: 1
  - .args:
      - .address_space:  global
        .offset:         0
        .size:           8
        .value_kind:     global_buffer
      - .address_space:  global
        .offset:         8
        .size:           8
        .value_kind:     global_buffer
      - .address_space:  global
        .offset:         16
        .size:           8
        .value_kind:     global_buffer
      - .address_space:  global
        .offset:         24
        .size:           8
        .value_kind:     global_buffer
      - .address_space:  global
        .offset:         32
        .size:           8
        .value_kind:     global_buffer
      - .address_space:  global
        .offset:         40
        .size:           8
        .value_kind:     global_buffer
      - .offset:         48
        .size:           8
        .value_kind:     by_value
      - .offset:         56
        .size:           4
        .value_kind:     by_value
      - .offset:         60
        .size:           4
        .value_kind:     by_value
      - .offset:         64
        .size:           4
        .value_kind:     by_value
      - .offset:         68
        .size:           4
        .value_kind:     by_value
      - .offset:         72
        .size:           4
        .value_kind:     by_value
      - .offset:         76
        .size:           4
        .value_kind:     by_value
      - .offset:         80
        .size:           4
        .value_kind:     by_value
      - .offset:         84
        .size:           1
        .value_kind:     by_value
    .group_segment_fixed_size: 32
    .kernarg_segment_align: 8
    .kernarg_segment_size: 88
    .language:       OpenCL C
    .language_version:
      - 2
      - 0
    .max_flat_workgroup_size: 1024
    .name:           _ZN5aiter24add_rmsnorm_quant_kernelIDF16_DF16_Li256ELi16ELb1ELb0ELb0ELi1EEEvPT0_PT_PfS4_S4_S4_diiiiiiib
    .private_segment_fixed_size: 0
    .sgpr_count:     24
    .sgpr_spill_count: 0
    .symbol:         _ZN5aiter24add_rmsnorm_quant_kernelIDF16_DF16_Li256ELi16ELb1ELb0ELb0ELi1EEEvPT0_PT_PfS4_S4_S4_diiiiiiib.kd
    .uniform_work_group_size: 1
    .uses_dynamic_stack: false
    .vgpr_count:     46
    .vgpr_spill_count: 0
    .wavefront_size: 32
    .workgroup_processor_mode: 1
  - .args:
      - .address_space:  global
        .offset:         0
        .size:           8
        .value_kind:     global_buffer
      - .address_space:  global
        .offset:         8
        .size:           8
        .value_kind:     global_buffer
      - .address_space:  global
        .offset:         16
        .size:           8
        .value_kind:     global_buffer
      - .address_space:  global
        .offset:         24
        .size:           8
        .value_kind:     global_buffer
      - .address_space:  global
        .offset:         32
        .size:           8
        .value_kind:     global_buffer
      - .address_space:  global
        .offset:         40
        .size:           8
        .value_kind:     global_buffer
      - .offset:         48
        .size:           8
        .value_kind:     by_value
      - .offset:         56
        .size:           4
        .value_kind:     by_value
      - .offset:         60
        .size:           4
        .value_kind:     by_value
      - .offset:         64
        .size:           4
        .value_kind:     by_value
      - .offset:         68
        .size:           4
        .value_kind:     by_value
      - .offset:         72
        .size:           4
        .value_kind:     by_value
      - .offset:         76
        .size:           4
        .value_kind:     by_value
      - .offset:         80
        .size:           4
        .value_kind:     by_value
      - .offset:         84
        .size:           1
        .value_kind:     by_value
    .group_segment_fixed_size: 32
    .kernarg_segment_align: 8
    .kernarg_segment_size: 88
    .language:       OpenCL C
    .language_version:
      - 2
      - 0
    .max_flat_workgroup_size: 1024
    .name:           _ZN5aiter24add_rmsnorm_quant_kernelIttLi256ELi16ELb1ELb0ELb0ELi1EEEvPT0_PT_PfS4_S4_S4_diiiiiiib
    .private_segment_fixed_size: 0
    .sgpr_count:     24
    .sgpr_spill_count: 0
    .symbol:         _ZN5aiter24add_rmsnorm_quant_kernelIttLi256ELi16ELb1ELb0ELb0ELi1EEEvPT0_PT_PfS4_S4_S4_diiiiiiib.kd
    .uniform_work_group_size: 1
    .uses_dynamic_stack: false
    .vgpr_count:     41
    .vgpr_spill_count: 0
    .wavefront_size: 32
    .workgroup_processor_mode: 1
  - .args:
      - .address_space:  global
        .offset:         0
        .size:           8
        .value_kind:     global_buffer
      - .address_space:  global
        .offset:         8
        .size:           8
        .value_kind:     global_buffer
      - .address_space:  global
        .offset:         16
        .size:           8
        .value_kind:     global_buffer
      - .address_space:  global
        .offset:         24
        .size:           8
        .value_kind:     global_buffer
      - .address_space:  global
        .offset:         32
        .size:           8
        .value_kind:     global_buffer
      - .address_space:  global
        .offset:         40
        .size:           8
        .value_kind:     global_buffer
      - .offset:         48
        .size:           8
        .value_kind:     by_value
      - .offset:         56
        .size:           4
        .value_kind:     by_value
      - .offset:         60
        .size:           4
        .value_kind:     by_value
      - .offset:         64
        .size:           4
        .value_kind:     by_value
      - .offset:         68
        .size:           4
        .value_kind:     by_value
      - .offset:         72
        .size:           4
        .value_kind:     by_value
      - .offset:         76
        .size:           4
        .value_kind:     by_value
      - .offset:         80
        .size:           4
        .value_kind:     by_value
      - .offset:         84
        .size:           1
        .value_kind:     by_value
    .group_segment_fixed_size: 32
    .kernarg_segment_align: 8
    .kernarg_segment_size: 88
    .language:       OpenCL C
    .language_version:
      - 2
      - 0
    .max_flat_workgroup_size: 1024
    .name:           _ZN5aiter24add_rmsnorm_quant_kernelIDF16_DF16_Li256ELi24ELb1ELb0ELb1ELi1EEEvPT0_PT_PfS4_S4_S4_diiiiiiib
    .private_segment_fixed_size: 0
    .sgpr_count:     26
    .sgpr_spill_count: 0
    .symbol:         _ZN5aiter24add_rmsnorm_quant_kernelIDF16_DF16_Li256ELi24ELb1ELb0ELb1ELi1EEEvPT0_PT_PfS4_S4_S4_diiiiiiib.kd
    .uniform_work_group_size: 1
    .uses_dynamic_stack: false
    .vgpr_count:     65
    .vgpr_spill_count: 0
    .wavefront_size: 32
    .workgroup_processor_mode: 1
  - .args:
      - .address_space:  global
        .offset:         0
        .size:           8
        .value_kind:     global_buffer
      - .address_space:  global
        .offset:         8
        .size:           8
        .value_kind:     global_buffer
      - .address_space:  global
        .offset:         16
        .size:           8
        .value_kind:     global_buffer
      - .address_space:  global
        .offset:         24
        .size:           8
        .value_kind:     global_buffer
      - .address_space:  global
        .offset:         32
        .size:           8
        .value_kind:     global_buffer
      - .address_space:  global
        .offset:         40
        .size:           8
        .value_kind:     global_buffer
      - .offset:         48
        .size:           8
        .value_kind:     by_value
      - .offset:         56
        .size:           4
        .value_kind:     by_value
      - .offset:         60
        .size:           4
        .value_kind:     by_value
      - .offset:         64
        .size:           4
        .value_kind:     by_value
      - .offset:         68
        .size:           4
        .value_kind:     by_value
      - .offset:         72
        .size:           4
        .value_kind:     by_value
      - .offset:         76
        .size:           4
        .value_kind:     by_value
      - .offset:         80
        .size:           4
        .value_kind:     by_value
      - .offset:         84
        .size:           1
        .value_kind:     by_value
    .group_segment_fixed_size: 32
    .kernarg_segment_align: 8
    .kernarg_segment_size: 88
    .language:       OpenCL C
    .language_version:
      - 2
      - 0
    .max_flat_workgroup_size: 1024
    .name:           _ZN5aiter24add_rmsnorm_quant_kernelIttLi256ELi24ELb1ELb0ELb1ELi1EEEvPT0_PT_PfS4_S4_S4_diiiiiiib
    .private_segment_fixed_size: 0
    .sgpr_count:     24
    .sgpr_spill_count: 0
    .symbol:         _ZN5aiter24add_rmsnorm_quant_kernelIttLi256ELi24ELb1ELb0ELb1ELi1EEEvPT0_PT_PfS4_S4_S4_diiiiiiib.kd
    .uniform_work_group_size: 1
    .uses_dynamic_stack: false
    .vgpr_count:     61
    .vgpr_spill_count: 0
    .wavefront_size: 32
    .workgroup_processor_mode: 1
  - .args:
      - .address_space:  global
        .offset:         0
        .size:           8
        .value_kind:     global_buffer
      - .address_space:  global
        .offset:         8
        .size:           8
        .value_kind:     global_buffer
      - .address_space:  global
        .offset:         16
        .size:           8
        .value_kind:     global_buffer
      - .address_space:  global
        .offset:         24
        .size:           8
        .value_kind:     global_buffer
      - .address_space:  global
        .offset:         32
        .size:           8
        .value_kind:     global_buffer
      - .address_space:  global
        .offset:         40
        .size:           8
        .value_kind:     global_buffer
      - .offset:         48
        .size:           8
        .value_kind:     by_value
      - .offset:         56
        .size:           4
        .value_kind:     by_value
      - .offset:         60
        .size:           4
        .value_kind:     by_value
      - .offset:         64
        .size:           4
        .value_kind:     by_value
      - .offset:         68
        .size:           4
        .value_kind:     by_value
      - .offset:         72
        .size:           4
        .value_kind:     by_value
      - .offset:         76
        .size:           4
        .value_kind:     by_value
      - .offset:         80
        .size:           4
        .value_kind:     by_value
      - .offset:         84
        .size:           1
        .value_kind:     by_value
    .group_segment_fixed_size: 32
    .kernarg_segment_align: 8
    .kernarg_segment_size: 88
    .language:       OpenCL C
    .language_version:
      - 2
      - 0
    .max_flat_workgroup_size: 1024
    .name:           _ZN5aiter24add_rmsnorm_quant_kernelIDF16_DF16_Li256ELi24ELb1ELb0ELb0ELi1EEEvPT0_PT_PfS4_S4_S4_diiiiiiib
    .private_segment_fixed_size: 0
    .sgpr_count:     24
    .sgpr_spill_count: 0
    .symbol:         _ZN5aiter24add_rmsnorm_quant_kernelIDF16_DF16_Li256ELi24ELb1ELb0ELb0ELi1EEEvPT0_PT_PfS4_S4_S4_diiiiiiib.kd
    .uniform_work_group_size: 1
    .uses_dynamic_stack: false
    .vgpr_count:     65
    .vgpr_spill_count: 0
    .wavefront_size: 32
    .workgroup_processor_mode: 1
  - .args:
      - .address_space:  global
        .offset:         0
        .size:           8
        .value_kind:     global_buffer
      - .address_space:  global
        .offset:         8
        .size:           8
        .value_kind:     global_buffer
      - .address_space:  global
        .offset:         16
        .size:           8
        .value_kind:     global_buffer
      - .address_space:  global
        .offset:         24
        .size:           8
        .value_kind:     global_buffer
      - .address_space:  global
        .offset:         32
        .size:           8
        .value_kind:     global_buffer
      - .address_space:  global
        .offset:         40
        .size:           8
        .value_kind:     global_buffer
      - .offset:         48
        .size:           8
        .value_kind:     by_value
      - .offset:         56
        .size:           4
        .value_kind:     by_value
      - .offset:         60
        .size:           4
        .value_kind:     by_value
      - .offset:         64
        .size:           4
        .value_kind:     by_value
      - .offset:         68
        .size:           4
        .value_kind:     by_value
      - .offset:         72
        .size:           4
        .value_kind:     by_value
      - .offset:         76
        .size:           4
        .value_kind:     by_value
      - .offset:         80
        .size:           4
        .value_kind:     by_value
      - .offset:         84
        .size:           1
        .value_kind:     by_value
    .group_segment_fixed_size: 32
    .kernarg_segment_align: 8
    .kernarg_segment_size: 88
    .language:       OpenCL C
    .language_version:
      - 2
      - 0
    .max_flat_workgroup_size: 1024
    .name:           _ZN5aiter24add_rmsnorm_quant_kernelIttLi256ELi24ELb1ELb0ELb0ELi1EEEvPT0_PT_PfS4_S4_S4_diiiiiiib
    .private_segment_fixed_size: 0
    .sgpr_count:     24
    .sgpr_spill_count: 0
    .symbol:         _ZN5aiter24add_rmsnorm_quant_kernelIttLi256ELi24ELb1ELb0ELb0ELi1EEEvPT0_PT_PfS4_S4_S4_diiiiiiib.kd
    .uniform_work_group_size: 1
    .uses_dynamic_stack: false
    .vgpr_count:     61
    .vgpr_spill_count: 0
    .wavefront_size: 32
    .workgroup_processor_mode: 1
  - .args:
      - .address_space:  global
        .offset:         0
        .size:           8
        .value_kind:     global_buffer
      - .address_space:  global
        .offset:         8
        .size:           8
        .value_kind:     global_buffer
      - .address_space:  global
        .offset:         16
        .size:           8
        .value_kind:     global_buffer
      - .address_space:  global
        .offset:         24
        .size:           8
        .value_kind:     global_buffer
      - .address_space:  global
        .offset:         32
        .size:           8
        .value_kind:     global_buffer
      - .address_space:  global
        .offset:         40
        .size:           8
        .value_kind:     global_buffer
      - .offset:         48
        .size:           8
        .value_kind:     by_value
      - .offset:         56
        .size:           4
        .value_kind:     by_value
      - .offset:         60
        .size:           4
        .value_kind:     by_value
      - .offset:         64
        .size:           4
        .value_kind:     by_value
      - .offset:         68
        .size:           4
        .value_kind:     by_value
      - .offset:         72
        .size:           4
        .value_kind:     by_value
      - .offset:         76
        .size:           4
        .value_kind:     by_value
      - .offset:         80
        .size:           4
        .value_kind:     by_value
      - .offset:         84
        .size:           1
        .value_kind:     by_value
    .group_segment_fixed_size: 32
    .kernarg_segment_align: 8
    .kernarg_segment_size: 88
    .language:       OpenCL C
    .language_version:
      - 2
      - 0
    .max_flat_workgroup_size: 1024
    .name:           _ZN5aiter24add_rmsnorm_quant_kernelIDF16_DF16_Li256ELi32ELb1ELb0ELb1ELi1EEEvPT0_PT_PfS4_S4_S4_diiiiiiib
    .private_segment_fixed_size: 0
    .sgpr_count:     24
    .sgpr_spill_count: 0
    .symbol:         _ZN5aiter24add_rmsnorm_quant_kernelIDF16_DF16_Li256ELi32ELb1ELb0ELb1ELi1EEEvPT0_PT_PfS4_S4_S4_diiiiiiib.kd
    .uniform_work_group_size: 1
    .uses_dynamic_stack: false
    .vgpr_count:     85
    .vgpr_spill_count: 0
    .wavefront_size: 32
    .workgroup_processor_mode: 1
  - .args:
      - .address_space:  global
        .offset:         0
        .size:           8
        .value_kind:     global_buffer
      - .address_space:  global
        .offset:         8
        .size:           8
        .value_kind:     global_buffer
      - .address_space:  global
        .offset:         16
        .size:           8
        .value_kind:     global_buffer
      - .address_space:  global
        .offset:         24
        .size:           8
        .value_kind:     global_buffer
      - .address_space:  global
        .offset:         32
        .size:           8
        .value_kind:     global_buffer
      - .address_space:  global
        .offset:         40
        .size:           8
        .value_kind:     global_buffer
      - .offset:         48
        .size:           8
        .value_kind:     by_value
      - .offset:         56
        .size:           4
        .value_kind:     by_value
      - .offset:         60
        .size:           4
        .value_kind:     by_value
      - .offset:         64
        .size:           4
        .value_kind:     by_value
      - .offset:         68
        .size:           4
        .value_kind:     by_value
      - .offset:         72
        .size:           4
        .value_kind:     by_value
      - .offset:         76
        .size:           4
        .value_kind:     by_value
      - .offset:         80
        .size:           4
        .value_kind:     by_value
      - .offset:         84
        .size:           1
        .value_kind:     by_value
    .group_segment_fixed_size: 32
    .kernarg_segment_align: 8
    .kernarg_segment_size: 88
    .language:       OpenCL C
    .language_version:
      - 2
      - 0
    .max_flat_workgroup_size: 1024
    .name:           _ZN5aiter24add_rmsnorm_quant_kernelIttLi256ELi32ELb1ELb0ELb1ELi1EEEvPT0_PT_PfS4_S4_S4_diiiiiiib
    .private_segment_fixed_size: 0
    .sgpr_count:     24
    .sgpr_spill_count: 0
    .symbol:         _ZN5aiter24add_rmsnorm_quant_kernelIttLi256ELi32ELb1ELb0ELb1ELi1EEEvPT0_PT_PfS4_S4_S4_diiiiiiib.kd
    .uniform_work_group_size: 1
    .uses_dynamic_stack: false
    .vgpr_count:     81
    .vgpr_spill_count: 0
    .wavefront_size: 32
    .workgroup_processor_mode: 1
  - .args:
      - .address_space:  global
        .offset:         0
        .size:           8
        .value_kind:     global_buffer
      - .address_space:  global
        .offset:         8
        .size:           8
        .value_kind:     global_buffer
      - .address_space:  global
        .offset:         16
        .size:           8
        .value_kind:     global_buffer
      - .address_space:  global
        .offset:         24
        .size:           8
        .value_kind:     global_buffer
      - .address_space:  global
        .offset:         32
        .size:           8
        .value_kind:     global_buffer
      - .address_space:  global
        .offset:         40
        .size:           8
        .value_kind:     global_buffer
      - .offset:         48
        .size:           8
        .value_kind:     by_value
      - .offset:         56
        .size:           4
        .value_kind:     by_value
      - .offset:         60
        .size:           4
        .value_kind:     by_value
      - .offset:         64
        .size:           4
        .value_kind:     by_value
      - .offset:         68
        .size:           4
        .value_kind:     by_value
      - .offset:         72
        .size:           4
        .value_kind:     by_value
      - .offset:         76
        .size:           4
        .value_kind:     by_value
      - .offset:         80
        .size:           4
        .value_kind:     by_value
      - .offset:         84
        .size:           1
        .value_kind:     by_value
    .group_segment_fixed_size: 32
    .kernarg_segment_align: 8
    .kernarg_segment_size: 88
    .language:       OpenCL C
    .language_version:
      - 2
      - 0
    .max_flat_workgroup_size: 1024
    .name:           _ZN5aiter24add_rmsnorm_quant_kernelIDF16_DF16_Li256ELi32ELb1ELb0ELb0ELi1EEEvPT0_PT_PfS4_S4_S4_diiiiiiib
    .private_segment_fixed_size: 0
    .sgpr_count:     24
    .sgpr_spill_count: 0
    .symbol:         _ZN5aiter24add_rmsnorm_quant_kernelIDF16_DF16_Li256ELi32ELb1ELb0ELb0ELi1EEEvPT0_PT_PfS4_S4_S4_diiiiiiib.kd
    .uniform_work_group_size: 1
    .uses_dynamic_stack: false
    .vgpr_count:     85
    .vgpr_spill_count: 0
    .wavefront_size: 32
    .workgroup_processor_mode: 1
  - .args:
      - .address_space:  global
        .offset:         0
        .size:           8
        .value_kind:     global_buffer
      - .address_space:  global
        .offset:         8
        .size:           8
        .value_kind:     global_buffer
      - .address_space:  global
        .offset:         16
        .size:           8
        .value_kind:     global_buffer
      - .address_space:  global
        .offset:         24
        .size:           8
        .value_kind:     global_buffer
      - .address_space:  global
        .offset:         32
        .size:           8
        .value_kind:     global_buffer
      - .address_space:  global
        .offset:         40
        .size:           8
        .value_kind:     global_buffer
      - .offset:         48
        .size:           8
        .value_kind:     by_value
      - .offset:         56
        .size:           4
        .value_kind:     by_value
      - .offset:         60
        .size:           4
        .value_kind:     by_value
      - .offset:         64
        .size:           4
        .value_kind:     by_value
      - .offset:         68
        .size:           4
        .value_kind:     by_value
      - .offset:         72
        .size:           4
        .value_kind:     by_value
      - .offset:         76
        .size:           4
        .value_kind:     by_value
      - .offset:         80
        .size:           4
        .value_kind:     by_value
      - .offset:         84
        .size:           1
        .value_kind:     by_value
    .group_segment_fixed_size: 32
    .kernarg_segment_align: 8
    .kernarg_segment_size: 88
    .language:       OpenCL C
    .language_version:
      - 2
      - 0
    .max_flat_workgroup_size: 1024
    .name:           _ZN5aiter24add_rmsnorm_quant_kernelIttLi256ELi32ELb1ELb0ELb0ELi1EEEvPT0_PT_PfS4_S4_S4_diiiiiiib
    .private_segment_fixed_size: 0
    .sgpr_count:     24
    .sgpr_spill_count: 0
    .symbol:         _ZN5aiter24add_rmsnorm_quant_kernelIttLi256ELi32ELb1ELb0ELb0ELi1EEEvPT0_PT_PfS4_S4_S4_diiiiiiib.kd
    .uniform_work_group_size: 1
    .uses_dynamic_stack: false
    .vgpr_count:     81
    .vgpr_spill_count: 0
    .wavefront_size: 32
    .workgroup_processor_mode: 1
  - .args:
      - .address_space:  global
        .offset:         0
        .size:           8
        .value_kind:     global_buffer
      - .address_space:  global
        .offset:         8
        .size:           8
        .value_kind:     global_buffer
      - .address_space:  global
        .offset:         16
        .size:           8
        .value_kind:     global_buffer
      - .address_space:  global
        .offset:         24
        .size:           8
        .value_kind:     global_buffer
      - .address_space:  global
        .offset:         32
        .size:           8
        .value_kind:     global_buffer
      - .address_space:  global
        .offset:         40
        .size:           8
        .value_kind:     global_buffer
      - .offset:         48
        .size:           8
        .value_kind:     by_value
      - .offset:         56
        .size:           4
        .value_kind:     by_value
      - .offset:         60
        .size:           4
        .value_kind:     by_value
      - .offset:         64
        .size:           4
        .value_kind:     by_value
      - .offset:         68
        .size:           4
        .value_kind:     by_value
      - .offset:         72
        .size:           4
        .value_kind:     by_value
      - .offset:         76
        .size:           4
        .value_kind:     by_value
      - .offset:         80
        .size:           4
        .value_kind:     by_value
      - .offset:         84
        .size:           1
        .value_kind:     by_value
    .group_segment_fixed_size: 8
    .kernarg_segment_align: 8
    .kernarg_segment_size: 88
    .language:       OpenCL C
    .language_version:
      - 2
      - 0
    .max_flat_workgroup_size: 1024
    .name:           _ZN5aiter24add_rmsnorm_quant_kernelIDF16_DF16_Li64ELi8ELb0ELb0ELb1ELi1EEEvPT0_PT_PfS4_S4_S4_diiiiiiib
    .private_segment_fixed_size: 0
    .sgpr_count:     22
    .sgpr_spill_count: 0
    .symbol:         _ZN5aiter24add_rmsnorm_quant_kernelIDF16_DF16_Li64ELi8ELb0ELb0ELb1ELi1EEEvPT0_PT_PfS4_S4_S4_diiiiiiib.kd
    .uniform_work_group_size: 1
    .uses_dynamic_stack: false
    .vgpr_count:     20
    .vgpr_spill_count: 0
    .wavefront_size: 32
    .workgroup_processor_mode: 1
  - .args:
      - .address_space:  global
        .offset:         0
        .size:           8
        .value_kind:     global_buffer
      - .address_space:  global
        .offset:         8
        .size:           8
        .value_kind:     global_buffer
      - .address_space:  global
        .offset:         16
        .size:           8
        .value_kind:     global_buffer
      - .address_space:  global
        .offset:         24
        .size:           8
        .value_kind:     global_buffer
      - .address_space:  global
        .offset:         32
        .size:           8
        .value_kind:     global_buffer
      - .address_space:  global
        .offset:         40
        .size:           8
        .value_kind:     global_buffer
      - .offset:         48
        .size:           8
        .value_kind:     by_value
      - .offset:         56
        .size:           4
        .value_kind:     by_value
      - .offset:         60
        .size:           4
        .value_kind:     by_value
      - .offset:         64
        .size:           4
        .value_kind:     by_value
      - .offset:         68
        .size:           4
        .value_kind:     by_value
      - .offset:         72
        .size:           4
        .value_kind:     by_value
      - .offset:         76
        .size:           4
        .value_kind:     by_value
      - .offset:         80
        .size:           4
        .value_kind:     by_value
      - .offset:         84
        .size:           1
        .value_kind:     by_value
    .group_segment_fixed_size: 8
    .kernarg_segment_align: 8
    .kernarg_segment_size: 88
    .language:       OpenCL C
    .language_version:
      - 2
      - 0
    .max_flat_workgroup_size: 1024
    .name:           _ZN5aiter24add_rmsnorm_quant_kernelIttLi64ELi8ELb0ELb0ELb1ELi1EEEvPT0_PT_PfS4_S4_S4_diiiiiiib
    .private_segment_fixed_size: 0
    .sgpr_count:     22
    .sgpr_spill_count: 0
    .symbol:         _ZN5aiter24add_rmsnorm_quant_kernelIttLi64ELi8ELb0ELb0ELb1ELi1EEEvPT0_PT_PfS4_S4_S4_diiiiiiib.kd
    .uniform_work_group_size: 1
    .uses_dynamic_stack: false
    .vgpr_count:     20
    .vgpr_spill_count: 0
    .wavefront_size: 32
    .workgroup_processor_mode: 1
  - .args:
      - .address_space:  global
        .offset:         0
        .size:           8
        .value_kind:     global_buffer
      - .address_space:  global
        .offset:         8
        .size:           8
        .value_kind:     global_buffer
      - .address_space:  global
        .offset:         16
        .size:           8
        .value_kind:     global_buffer
      - .address_space:  global
        .offset:         24
        .size:           8
        .value_kind:     global_buffer
      - .address_space:  global
        .offset:         32
        .size:           8
        .value_kind:     global_buffer
      - .address_space:  global
        .offset:         40
        .size:           8
        .value_kind:     global_buffer
      - .offset:         48
        .size:           8
        .value_kind:     by_value
      - .offset:         56
        .size:           4
        .value_kind:     by_value
      - .offset:         60
        .size:           4
        .value_kind:     by_value
      - .offset:         64
        .size:           4
        .value_kind:     by_value
      - .offset:         68
        .size:           4
        .value_kind:     by_value
      - .offset:         72
        .size:           4
        .value_kind:     by_value
      - .offset:         76
        .size:           4
        .value_kind:     by_value
      - .offset:         80
        .size:           4
        .value_kind:     by_value
      - .offset:         84
        .size:           1
        .value_kind:     by_value
    .group_segment_fixed_size: 8
    .kernarg_segment_align: 8
    .kernarg_segment_size: 88
    .language:       OpenCL C
    .language_version:
      - 2
      - 0
    .max_flat_workgroup_size: 1024
    .name:           _ZN5aiter24add_rmsnorm_quant_kernelIDF16_DF16_Li64ELi8ELb0ELb0ELb0ELi1EEEvPT0_PT_PfS4_S4_S4_diiiiiiib
    .private_segment_fixed_size: 0
    .sgpr_count:     22
    .sgpr_spill_count: 0
    .symbol:         _ZN5aiter24add_rmsnorm_quant_kernelIDF16_DF16_Li64ELi8ELb0ELb0ELb0ELi1EEEvPT0_PT_PfS4_S4_S4_diiiiiiib.kd
    .uniform_work_group_size: 1
    .uses_dynamic_stack: false
    .vgpr_count:     20
    .vgpr_spill_count: 0
    .wavefront_size: 32
    .workgroup_processor_mode: 1
  - .args:
      - .address_space:  global
        .offset:         0
        .size:           8
        .value_kind:     global_buffer
      - .address_space:  global
        .offset:         8
        .size:           8
        .value_kind:     global_buffer
      - .address_space:  global
        .offset:         16
        .size:           8
        .value_kind:     global_buffer
      - .address_space:  global
        .offset:         24
        .size:           8
        .value_kind:     global_buffer
      - .address_space:  global
        .offset:         32
        .size:           8
        .value_kind:     global_buffer
      - .address_space:  global
        .offset:         40
        .size:           8
        .value_kind:     global_buffer
      - .offset:         48
        .size:           8
        .value_kind:     by_value
      - .offset:         56
        .size:           4
        .value_kind:     by_value
      - .offset:         60
        .size:           4
        .value_kind:     by_value
      - .offset:         64
        .size:           4
        .value_kind:     by_value
      - .offset:         68
        .size:           4
        .value_kind:     by_value
      - .offset:         72
        .size:           4
        .value_kind:     by_value
      - .offset:         76
        .size:           4
        .value_kind:     by_value
      - .offset:         80
        .size:           4
        .value_kind:     by_value
      - .offset:         84
        .size:           1
        .value_kind:     by_value
    .group_segment_fixed_size: 8
    .kernarg_segment_align: 8
    .kernarg_segment_size: 88
    .language:       OpenCL C
    .language_version:
      - 2
      - 0
    .max_flat_workgroup_size: 1024
    .name:           _ZN5aiter24add_rmsnorm_quant_kernelIttLi64ELi8ELb0ELb0ELb0ELi1EEEvPT0_PT_PfS4_S4_S4_diiiiiiib
    .private_segment_fixed_size: 0
    .sgpr_count:     22
    .sgpr_spill_count: 0
    .symbol:         _ZN5aiter24add_rmsnorm_quant_kernelIttLi64ELi8ELb0ELb0ELb0ELi1EEEvPT0_PT_PfS4_S4_S4_diiiiiiib.kd
    .uniform_work_group_size: 1
    .uses_dynamic_stack: false
    .vgpr_count:     20
    .vgpr_spill_count: 0
    .wavefront_size: 32
    .workgroup_processor_mode: 1
  - .args:
      - .address_space:  global
        .offset:         0
        .size:           8
        .value_kind:     global_buffer
      - .address_space:  global
        .offset:         8
        .size:           8
        .value_kind:     global_buffer
      - .address_space:  global
        .offset:         16
        .size:           8
        .value_kind:     global_buffer
      - .address_space:  global
        .offset:         24
        .size:           8
        .value_kind:     global_buffer
      - .address_space:  global
        .offset:         32
        .size:           8
        .value_kind:     global_buffer
      - .address_space:  global
        .offset:         40
        .size:           8
        .value_kind:     global_buffer
      - .offset:         48
        .size:           8
        .value_kind:     by_value
      - .offset:         56
        .size:           4
        .value_kind:     by_value
      - .offset:         60
        .size:           4
        .value_kind:     by_value
      - .offset:         64
        .size:           4
        .value_kind:     by_value
      - .offset:         68
        .size:           4
        .value_kind:     by_value
      - .offset:         72
        .size:           4
        .value_kind:     by_value
      - .offset:         76
        .size:           4
        .value_kind:     by_value
      - .offset:         80
        .size:           4
        .value_kind:     by_value
      - .offset:         84
        .size:           1
        .value_kind:     by_value
    .group_segment_fixed_size: 16
    .kernarg_segment_align: 8
    .kernarg_segment_size: 88
    .language:       OpenCL C
    .language_version:
      - 2
      - 0
    .max_flat_workgroup_size: 1024
    .name:           _ZN5aiter24add_rmsnorm_quant_kernelIDF16_DF16_Li128ELi8ELb0ELb0ELb1ELi1EEEvPT0_PT_PfS4_S4_S4_diiiiiiib
    .private_segment_fixed_size: 0
    .sgpr_count:     22
    .sgpr_spill_count: 0
    .symbol:         _ZN5aiter24add_rmsnorm_quant_kernelIDF16_DF16_Li128ELi8ELb0ELb0ELb1ELi1EEEvPT0_PT_PfS4_S4_S4_diiiiiiib.kd
    .uniform_work_group_size: 1
    .uses_dynamic_stack: false
    .vgpr_count:     20
    .vgpr_spill_count: 0
    .wavefront_size: 32
    .workgroup_processor_mode: 1
  - .args:
      - .address_space:  global
        .offset:         0
        .size:           8
        .value_kind:     global_buffer
      - .address_space:  global
        .offset:         8
        .size:           8
        .value_kind:     global_buffer
      - .address_space:  global
        .offset:         16
        .size:           8
        .value_kind:     global_buffer
      - .address_space:  global
        .offset:         24
        .size:           8
        .value_kind:     global_buffer
      - .address_space:  global
        .offset:         32
        .size:           8
        .value_kind:     global_buffer
      - .address_space:  global
        .offset:         40
        .size:           8
        .value_kind:     global_buffer
      - .offset:         48
        .size:           8
        .value_kind:     by_value
      - .offset:         56
        .size:           4
        .value_kind:     by_value
      - .offset:         60
        .size:           4
        .value_kind:     by_value
      - .offset:         64
        .size:           4
        .value_kind:     by_value
      - .offset:         68
        .size:           4
        .value_kind:     by_value
      - .offset:         72
        .size:           4
        .value_kind:     by_value
      - .offset:         76
        .size:           4
        .value_kind:     by_value
      - .offset:         80
        .size:           4
        .value_kind:     by_value
      - .offset:         84
        .size:           1
        .value_kind:     by_value
    .group_segment_fixed_size: 16
    .kernarg_segment_align: 8
    .kernarg_segment_size: 88
    .language:       OpenCL C
    .language_version:
      - 2
      - 0
    .max_flat_workgroup_size: 1024
    .name:           _ZN5aiter24add_rmsnorm_quant_kernelIttLi128ELi8ELb0ELb0ELb1ELi1EEEvPT0_PT_PfS4_S4_S4_diiiiiiib
    .private_segment_fixed_size: 0
    .sgpr_count:     22
    .sgpr_spill_count: 0
    .symbol:         _ZN5aiter24add_rmsnorm_quant_kernelIttLi128ELi8ELb0ELb0ELb1ELi1EEEvPT0_PT_PfS4_S4_S4_diiiiiiib.kd
    .uniform_work_group_size: 1
    .uses_dynamic_stack: false
    .vgpr_count:     20
    .vgpr_spill_count: 0
    .wavefront_size: 32
    .workgroup_processor_mode: 1
  - .args:
      - .address_space:  global
        .offset:         0
        .size:           8
        .value_kind:     global_buffer
      - .address_space:  global
        .offset:         8
        .size:           8
        .value_kind:     global_buffer
      - .address_space:  global
        .offset:         16
        .size:           8
        .value_kind:     global_buffer
      - .address_space:  global
        .offset:         24
        .size:           8
        .value_kind:     global_buffer
      - .address_space:  global
        .offset:         32
        .size:           8
        .value_kind:     global_buffer
      - .address_space:  global
        .offset:         40
        .size:           8
        .value_kind:     global_buffer
      - .offset:         48
        .size:           8
        .value_kind:     by_value
      - .offset:         56
        .size:           4
        .value_kind:     by_value
      - .offset:         60
        .size:           4
        .value_kind:     by_value
      - .offset:         64
        .size:           4
        .value_kind:     by_value
      - .offset:         68
        .size:           4
        .value_kind:     by_value
      - .offset:         72
        .size:           4
        .value_kind:     by_value
      - .offset:         76
        .size:           4
        .value_kind:     by_value
      - .offset:         80
        .size:           4
        .value_kind:     by_value
      - .offset:         84
        .size:           1
        .value_kind:     by_value
    .group_segment_fixed_size: 16
    .kernarg_segment_align: 8
    .kernarg_segment_size: 88
    .language:       OpenCL C
    .language_version:
      - 2
      - 0
    .max_flat_workgroup_size: 1024
    .name:           _ZN5aiter24add_rmsnorm_quant_kernelIDF16_DF16_Li128ELi8ELb0ELb0ELb0ELi1EEEvPT0_PT_PfS4_S4_S4_diiiiiiib
    .private_segment_fixed_size: 0
    .sgpr_count:     22
    .sgpr_spill_count: 0
    .symbol:         _ZN5aiter24add_rmsnorm_quant_kernelIDF16_DF16_Li128ELi8ELb0ELb0ELb0ELi1EEEvPT0_PT_PfS4_S4_S4_diiiiiiib.kd
    .uniform_work_group_size: 1
    .uses_dynamic_stack: false
    .vgpr_count:     20
    .vgpr_spill_count: 0
    .wavefront_size: 32
    .workgroup_processor_mode: 1
  - .args:
      - .address_space:  global
        .offset:         0
        .size:           8
        .value_kind:     global_buffer
      - .address_space:  global
        .offset:         8
        .size:           8
        .value_kind:     global_buffer
      - .address_space:  global
        .offset:         16
        .size:           8
        .value_kind:     global_buffer
      - .address_space:  global
        .offset:         24
        .size:           8
        .value_kind:     global_buffer
      - .address_space:  global
        .offset:         32
        .size:           8
        .value_kind:     global_buffer
      - .address_space:  global
        .offset:         40
        .size:           8
        .value_kind:     global_buffer
      - .offset:         48
        .size:           8
        .value_kind:     by_value
      - .offset:         56
        .size:           4
        .value_kind:     by_value
      - .offset:         60
        .size:           4
        .value_kind:     by_value
      - .offset:         64
        .size:           4
        .value_kind:     by_value
      - .offset:         68
        .size:           4
        .value_kind:     by_value
      - .offset:         72
        .size:           4
        .value_kind:     by_value
      - .offset:         76
        .size:           4
        .value_kind:     by_value
      - .offset:         80
        .size:           4
        .value_kind:     by_value
      - .offset:         84
        .size:           1
        .value_kind:     by_value
    .group_segment_fixed_size: 16
    .kernarg_segment_align: 8
    .kernarg_segment_size: 88
    .language:       OpenCL C
    .language_version:
      - 2
      - 0
    .max_flat_workgroup_size: 1024
    .name:           _ZN5aiter24add_rmsnorm_quant_kernelIttLi128ELi8ELb0ELb0ELb0ELi1EEEvPT0_PT_PfS4_S4_S4_diiiiiiib
    .private_segment_fixed_size: 0
    .sgpr_count:     22
    .sgpr_spill_count: 0
    .symbol:         _ZN5aiter24add_rmsnorm_quant_kernelIttLi128ELi8ELb0ELb0ELb0ELi1EEEvPT0_PT_PfS4_S4_S4_diiiiiiib.kd
    .uniform_work_group_size: 1
    .uses_dynamic_stack: false
    .vgpr_count:     20
    .vgpr_spill_count: 0
    .wavefront_size: 32
    .workgroup_processor_mode: 1
  - .args:
      - .address_space:  global
        .offset:         0
        .size:           8
        .value_kind:     global_buffer
      - .address_space:  global
        .offset:         8
        .size:           8
        .value_kind:     global_buffer
      - .address_space:  global
        .offset:         16
        .size:           8
        .value_kind:     global_buffer
      - .address_space:  global
        .offset:         24
        .size:           8
        .value_kind:     global_buffer
      - .address_space:  global
        .offset:         32
        .size:           8
        .value_kind:     global_buffer
      - .address_space:  global
        .offset:         40
        .size:           8
        .value_kind:     global_buffer
      - .offset:         48
        .size:           8
        .value_kind:     by_value
      - .offset:         56
        .size:           4
        .value_kind:     by_value
      - .offset:         60
        .size:           4
        .value_kind:     by_value
      - .offset:         64
        .size:           4
        .value_kind:     by_value
      - .offset:         68
        .size:           4
        .value_kind:     by_value
      - .offset:         72
        .size:           4
        .value_kind:     by_value
      - .offset:         76
        .size:           4
        .value_kind:     by_value
      - .offset:         80
        .size:           4
        .value_kind:     by_value
      - .offset:         84
        .size:           1
        .value_kind:     by_value
    .group_segment_fixed_size: 32
    .kernarg_segment_align: 8
    .kernarg_segment_size: 88
    .language:       OpenCL C
    .language_version:
      - 2
      - 0
    .max_flat_workgroup_size: 1024
    .name:           _ZN5aiter24add_rmsnorm_quant_kernelIDF16_DF16_Li256ELi8ELb0ELb0ELb1ELi1EEEvPT0_PT_PfS4_S4_S4_diiiiiiib
    .private_segment_fixed_size: 0
    .sgpr_count:     22
    .sgpr_spill_count: 0
    .symbol:         _ZN5aiter24add_rmsnorm_quant_kernelIDF16_DF16_Li256ELi8ELb0ELb0ELb1ELi1EEEvPT0_PT_PfS4_S4_S4_diiiiiiib.kd
    .uniform_work_group_size: 1
    .uses_dynamic_stack: false
    .vgpr_count:     20
    .vgpr_spill_count: 0
    .wavefront_size: 32
    .workgroup_processor_mode: 1
  - .args:
      - .address_space:  global
        .offset:         0
        .size:           8
        .value_kind:     global_buffer
      - .address_space:  global
        .offset:         8
        .size:           8
        .value_kind:     global_buffer
      - .address_space:  global
        .offset:         16
        .size:           8
        .value_kind:     global_buffer
      - .address_space:  global
        .offset:         24
        .size:           8
        .value_kind:     global_buffer
      - .address_space:  global
        .offset:         32
        .size:           8
        .value_kind:     global_buffer
      - .address_space:  global
        .offset:         40
        .size:           8
        .value_kind:     global_buffer
      - .offset:         48
        .size:           8
        .value_kind:     by_value
      - .offset:         56
        .size:           4
        .value_kind:     by_value
      - .offset:         60
        .size:           4
        .value_kind:     by_value
      - .offset:         64
        .size:           4
        .value_kind:     by_value
      - .offset:         68
        .size:           4
        .value_kind:     by_value
      - .offset:         72
        .size:           4
        .value_kind:     by_value
      - .offset:         76
        .size:           4
        .value_kind:     by_value
      - .offset:         80
        .size:           4
        .value_kind:     by_value
      - .offset:         84
        .size:           1
        .value_kind:     by_value
    .group_segment_fixed_size: 32
    .kernarg_segment_align: 8
    .kernarg_segment_size: 88
    .language:       OpenCL C
    .language_version:
      - 2
      - 0
    .max_flat_workgroup_size: 1024
    .name:           _ZN5aiter24add_rmsnorm_quant_kernelIttLi256ELi8ELb0ELb0ELb1ELi1EEEvPT0_PT_PfS4_S4_S4_diiiiiiib
    .private_segment_fixed_size: 0
    .sgpr_count:     22
    .sgpr_spill_count: 0
    .symbol:         _ZN5aiter24add_rmsnorm_quant_kernelIttLi256ELi8ELb0ELb0ELb1ELi1EEEvPT0_PT_PfS4_S4_S4_diiiiiiib.kd
    .uniform_work_group_size: 1
    .uses_dynamic_stack: false
    .vgpr_count:     20
    .vgpr_spill_count: 0
    .wavefront_size: 32
    .workgroup_processor_mode: 1
  - .args:
      - .address_space:  global
        .offset:         0
        .size:           8
        .value_kind:     global_buffer
      - .address_space:  global
        .offset:         8
        .size:           8
        .value_kind:     global_buffer
      - .address_space:  global
        .offset:         16
        .size:           8
        .value_kind:     global_buffer
      - .address_space:  global
        .offset:         24
        .size:           8
        .value_kind:     global_buffer
      - .address_space:  global
        .offset:         32
        .size:           8
        .value_kind:     global_buffer
      - .address_space:  global
        .offset:         40
        .size:           8
        .value_kind:     global_buffer
      - .offset:         48
        .size:           8
        .value_kind:     by_value
      - .offset:         56
        .size:           4
        .value_kind:     by_value
      - .offset:         60
        .size:           4
        .value_kind:     by_value
      - .offset:         64
        .size:           4
        .value_kind:     by_value
      - .offset:         68
        .size:           4
        .value_kind:     by_value
      - .offset:         72
        .size:           4
        .value_kind:     by_value
      - .offset:         76
        .size:           4
        .value_kind:     by_value
      - .offset:         80
        .size:           4
        .value_kind:     by_value
      - .offset:         84
        .size:           1
        .value_kind:     by_value
    .group_segment_fixed_size: 32
    .kernarg_segment_align: 8
    .kernarg_segment_size: 88
    .language:       OpenCL C
    .language_version:
      - 2
      - 0
    .max_flat_workgroup_size: 1024
    .name:           _ZN5aiter24add_rmsnorm_quant_kernelIDF16_DF16_Li256ELi8ELb0ELb0ELb0ELi1EEEvPT0_PT_PfS4_S4_S4_diiiiiiib
    .private_segment_fixed_size: 0
    .sgpr_count:     22
    .sgpr_spill_count: 0
    .symbol:         _ZN5aiter24add_rmsnorm_quant_kernelIDF16_DF16_Li256ELi8ELb0ELb0ELb0ELi1EEEvPT0_PT_PfS4_S4_S4_diiiiiiib.kd
    .uniform_work_group_size: 1
    .uses_dynamic_stack: false
    .vgpr_count:     20
    .vgpr_spill_count: 0
    .wavefront_size: 32
    .workgroup_processor_mode: 1
  - .args:
      - .address_space:  global
        .offset:         0
        .size:           8
        .value_kind:     global_buffer
      - .address_space:  global
        .offset:         8
        .size:           8
        .value_kind:     global_buffer
      - .address_space:  global
        .offset:         16
        .size:           8
        .value_kind:     global_buffer
      - .address_space:  global
        .offset:         24
        .size:           8
        .value_kind:     global_buffer
      - .address_space:  global
        .offset:         32
        .size:           8
        .value_kind:     global_buffer
      - .address_space:  global
        .offset:         40
        .size:           8
        .value_kind:     global_buffer
      - .offset:         48
        .size:           8
        .value_kind:     by_value
      - .offset:         56
        .size:           4
        .value_kind:     by_value
      - .offset:         60
        .size:           4
        .value_kind:     by_value
      - .offset:         64
        .size:           4
        .value_kind:     by_value
      - .offset:         68
        .size:           4
        .value_kind:     by_value
      - .offset:         72
        .size:           4
        .value_kind:     by_value
      - .offset:         76
        .size:           4
        .value_kind:     by_value
      - .offset:         80
        .size:           4
        .value_kind:     by_value
      - .offset:         84
        .size:           1
        .value_kind:     by_value
    .group_segment_fixed_size: 32
    .kernarg_segment_align: 8
    .kernarg_segment_size: 88
    .language:       OpenCL C
    .language_version:
      - 2
      - 0
    .max_flat_workgroup_size: 1024
    .name:           _ZN5aiter24add_rmsnorm_quant_kernelIttLi256ELi8ELb0ELb0ELb0ELi1EEEvPT0_PT_PfS4_S4_S4_diiiiiiib
    .private_segment_fixed_size: 0
    .sgpr_count:     22
    .sgpr_spill_count: 0
    .symbol:         _ZN5aiter24add_rmsnorm_quant_kernelIttLi256ELi8ELb0ELb0ELb0ELi1EEEvPT0_PT_PfS4_S4_S4_diiiiiiib.kd
    .uniform_work_group_size: 1
    .uses_dynamic_stack: false
    .vgpr_count:     20
    .vgpr_spill_count: 0
    .wavefront_size: 32
    .workgroup_processor_mode: 1
  - .args:
      - .address_space:  global
        .offset:         0
        .size:           8
        .value_kind:     global_buffer
      - .address_space:  global
        .offset:         8
        .size:           8
        .value_kind:     global_buffer
      - .address_space:  global
        .offset:         16
        .size:           8
        .value_kind:     global_buffer
      - .address_space:  global
        .offset:         24
        .size:           8
        .value_kind:     global_buffer
      - .address_space:  global
        .offset:         32
        .size:           8
        .value_kind:     global_buffer
      - .address_space:  global
        .offset:         40
        .size:           8
        .value_kind:     global_buffer
      - .offset:         48
        .size:           8
        .value_kind:     by_value
      - .offset:         56
        .size:           4
        .value_kind:     by_value
      - .offset:         60
        .size:           4
        .value_kind:     by_value
      - .offset:         64
        .size:           4
        .value_kind:     by_value
      - .offset:         68
        .size:           4
        .value_kind:     by_value
      - .offset:         72
        .size:           4
        .value_kind:     by_value
      - .offset:         76
        .size:           4
        .value_kind:     by_value
      - .offset:         80
        .size:           4
        .value_kind:     by_value
      - .offset:         84
        .size:           1
        .value_kind:     by_value
    .group_segment_fixed_size: 32
    .kernarg_segment_align: 8
    .kernarg_segment_size: 88
    .language:       OpenCL C
    .language_version:
      - 2
      - 0
    .max_flat_workgroup_size: 1024
    .name:           _ZN5aiter24add_rmsnorm_quant_kernelIDF16_DF16_Li256ELi16ELb0ELb0ELb1ELi1EEEvPT0_PT_PfS4_S4_S4_diiiiiiib
    .private_segment_fixed_size: 0
    .sgpr_count:     22
    .sgpr_spill_count: 0
    .symbol:         _ZN5aiter24add_rmsnorm_quant_kernelIDF16_DF16_Li256ELi16ELb0ELb0ELb1ELi1EEEvPT0_PT_PfS4_S4_S4_diiiiiiib.kd
    .uniform_work_group_size: 1
    .uses_dynamic_stack: false
    .vgpr_count:     33
    .vgpr_spill_count: 0
    .wavefront_size: 32
    .workgroup_processor_mode: 1
  - .args:
      - .address_space:  global
        .offset:         0
        .size:           8
        .value_kind:     global_buffer
      - .address_space:  global
        .offset:         8
        .size:           8
        .value_kind:     global_buffer
      - .address_space:  global
        .offset:         16
        .size:           8
        .value_kind:     global_buffer
      - .address_space:  global
        .offset:         24
        .size:           8
        .value_kind:     global_buffer
      - .address_space:  global
        .offset:         32
        .size:           8
        .value_kind:     global_buffer
      - .address_space:  global
        .offset:         40
        .size:           8
        .value_kind:     global_buffer
      - .offset:         48
        .size:           8
        .value_kind:     by_value
      - .offset:         56
        .size:           4
        .value_kind:     by_value
      - .offset:         60
        .size:           4
        .value_kind:     by_value
      - .offset:         64
        .size:           4
        .value_kind:     by_value
      - .offset:         68
        .size:           4
        .value_kind:     by_value
      - .offset:         72
        .size:           4
        .value_kind:     by_value
      - .offset:         76
        .size:           4
        .value_kind:     by_value
      - .offset:         80
        .size:           4
        .value_kind:     by_value
      - .offset:         84
        .size:           1
        .value_kind:     by_value
    .group_segment_fixed_size: 32
    .kernarg_segment_align: 8
    .kernarg_segment_size: 88
    .language:       OpenCL C
    .language_version:
      - 2
      - 0
    .max_flat_workgroup_size: 1024
    .name:           _ZN5aiter24add_rmsnorm_quant_kernelIttLi256ELi16ELb0ELb0ELb1ELi1EEEvPT0_PT_PfS4_S4_S4_diiiiiiib
    .private_segment_fixed_size: 0
    .sgpr_count:     22
    .sgpr_spill_count: 0
    .symbol:         _ZN5aiter24add_rmsnorm_quant_kernelIttLi256ELi16ELb0ELb0ELb1ELi1EEEvPT0_PT_PfS4_S4_S4_diiiiiiib.kd
    .uniform_work_group_size: 1
    .uses_dynamic_stack: false
    .vgpr_count:     35
    .vgpr_spill_count: 0
    .wavefront_size: 32
    .workgroup_processor_mode: 1
  - .args:
      - .address_space:  global
        .offset:         0
        .size:           8
        .value_kind:     global_buffer
      - .address_space:  global
        .offset:         8
        .size:           8
        .value_kind:     global_buffer
      - .address_space:  global
        .offset:         16
        .size:           8
        .value_kind:     global_buffer
      - .address_space:  global
        .offset:         24
        .size:           8
        .value_kind:     global_buffer
      - .address_space:  global
        .offset:         32
        .size:           8
        .value_kind:     global_buffer
      - .address_space:  global
        .offset:         40
        .size:           8
        .value_kind:     global_buffer
      - .offset:         48
        .size:           8
        .value_kind:     by_value
      - .offset:         56
        .size:           4
        .value_kind:     by_value
      - .offset:         60
        .size:           4
        .value_kind:     by_value
      - .offset:         64
        .size:           4
        .value_kind:     by_value
      - .offset:         68
        .size:           4
        .value_kind:     by_value
      - .offset:         72
        .size:           4
        .value_kind:     by_value
      - .offset:         76
        .size:           4
        .value_kind:     by_value
      - .offset:         80
        .size:           4
        .value_kind:     by_value
      - .offset:         84
        .size:           1
        .value_kind:     by_value
    .group_segment_fixed_size: 32
    .kernarg_segment_align: 8
    .kernarg_segment_size: 88
    .language:       OpenCL C
    .language_version:
      - 2
      - 0
    .max_flat_workgroup_size: 1024
    .name:           _ZN5aiter24add_rmsnorm_quant_kernelIDF16_DF16_Li256ELi16ELb0ELb0ELb0ELi1EEEvPT0_PT_PfS4_S4_S4_diiiiiiib
    .private_segment_fixed_size: 0
    .sgpr_count:     22
    .sgpr_spill_count: 0
    .symbol:         _ZN5aiter24add_rmsnorm_quant_kernelIDF16_DF16_Li256ELi16ELb0ELb0ELb0ELi1EEEvPT0_PT_PfS4_S4_S4_diiiiiiib.kd
    .uniform_work_group_size: 1
    .uses_dynamic_stack: false
    .vgpr_count:     33
    .vgpr_spill_count: 0
    .wavefront_size: 32
    .workgroup_processor_mode: 1
  - .args:
      - .address_space:  global
        .offset:         0
        .size:           8
        .value_kind:     global_buffer
      - .address_space:  global
        .offset:         8
        .size:           8
        .value_kind:     global_buffer
      - .address_space:  global
        .offset:         16
        .size:           8
        .value_kind:     global_buffer
      - .address_space:  global
        .offset:         24
        .size:           8
        .value_kind:     global_buffer
      - .address_space:  global
        .offset:         32
        .size:           8
        .value_kind:     global_buffer
      - .address_space:  global
        .offset:         40
        .size:           8
        .value_kind:     global_buffer
      - .offset:         48
        .size:           8
        .value_kind:     by_value
      - .offset:         56
        .size:           4
        .value_kind:     by_value
      - .offset:         60
        .size:           4
        .value_kind:     by_value
      - .offset:         64
        .size:           4
        .value_kind:     by_value
      - .offset:         68
        .size:           4
        .value_kind:     by_value
      - .offset:         72
        .size:           4
        .value_kind:     by_value
      - .offset:         76
        .size:           4
        .value_kind:     by_value
      - .offset:         80
        .size:           4
        .value_kind:     by_value
      - .offset:         84
        .size:           1
        .value_kind:     by_value
    .group_segment_fixed_size: 32
    .kernarg_segment_align: 8
    .kernarg_segment_size: 88
    .language:       OpenCL C
    .language_version:
      - 2
      - 0
    .max_flat_workgroup_size: 1024
    .name:           _ZN5aiter24add_rmsnorm_quant_kernelIttLi256ELi16ELb0ELb0ELb0ELi1EEEvPT0_PT_PfS4_S4_S4_diiiiiiib
    .private_segment_fixed_size: 0
    .sgpr_count:     22
    .sgpr_spill_count: 0
    .symbol:         _ZN5aiter24add_rmsnorm_quant_kernelIttLi256ELi16ELb0ELb0ELb0ELi1EEEvPT0_PT_PfS4_S4_S4_diiiiiiib.kd
    .uniform_work_group_size: 1
    .uses_dynamic_stack: false
    .vgpr_count:     35
    .vgpr_spill_count: 0
    .wavefront_size: 32
    .workgroup_processor_mode: 1
  - .args:
      - .address_space:  global
        .offset:         0
        .size:           8
        .value_kind:     global_buffer
      - .address_space:  global
        .offset:         8
        .size:           8
        .value_kind:     global_buffer
      - .address_space:  global
        .offset:         16
        .size:           8
        .value_kind:     global_buffer
      - .address_space:  global
        .offset:         24
        .size:           8
        .value_kind:     global_buffer
      - .address_space:  global
        .offset:         32
        .size:           8
        .value_kind:     global_buffer
      - .address_space:  global
        .offset:         40
        .size:           8
        .value_kind:     global_buffer
      - .offset:         48
        .size:           8
        .value_kind:     by_value
      - .offset:         56
        .size:           4
        .value_kind:     by_value
      - .offset:         60
        .size:           4
        .value_kind:     by_value
      - .offset:         64
        .size:           4
        .value_kind:     by_value
      - .offset:         68
        .size:           4
        .value_kind:     by_value
      - .offset:         72
        .size:           4
        .value_kind:     by_value
      - .offset:         76
        .size:           4
        .value_kind:     by_value
      - .offset:         80
        .size:           4
        .value_kind:     by_value
      - .offset:         84
        .size:           1
        .value_kind:     by_value
    .group_segment_fixed_size: 32
    .kernarg_segment_align: 8
    .kernarg_segment_size: 88
    .language:       OpenCL C
    .language_version:
      - 2
      - 0
    .max_flat_workgroup_size: 1024
    .name:           _ZN5aiter24add_rmsnorm_quant_kernelIDF16_DF16_Li256ELi24ELb0ELb0ELb1ELi1EEEvPT0_PT_PfS4_S4_S4_diiiiiiib
    .private_segment_fixed_size: 0
    .sgpr_count:     22
    .sgpr_spill_count: 0
    .symbol:         _ZN5aiter24add_rmsnorm_quant_kernelIDF16_DF16_Li256ELi24ELb0ELb0ELb1ELi1EEEvPT0_PT_PfS4_S4_S4_diiiiiiib.kd
    .uniform_work_group_size: 1
    .uses_dynamic_stack: false
    .vgpr_count:     46
    .vgpr_spill_count: 0
    .wavefront_size: 32
    .workgroup_processor_mode: 1
  - .args:
      - .address_space:  global
        .offset:         0
        .size:           8
        .value_kind:     global_buffer
      - .address_space:  global
        .offset:         8
        .size:           8
        .value_kind:     global_buffer
      - .address_space:  global
        .offset:         16
        .size:           8
        .value_kind:     global_buffer
      - .address_space:  global
        .offset:         24
        .size:           8
        .value_kind:     global_buffer
      - .address_space:  global
        .offset:         32
        .size:           8
        .value_kind:     global_buffer
      - .address_space:  global
        .offset:         40
        .size:           8
        .value_kind:     global_buffer
      - .offset:         48
        .size:           8
        .value_kind:     by_value
      - .offset:         56
        .size:           4
        .value_kind:     by_value
      - .offset:         60
        .size:           4
        .value_kind:     by_value
      - .offset:         64
        .size:           4
        .value_kind:     by_value
      - .offset:         68
        .size:           4
        .value_kind:     by_value
      - .offset:         72
        .size:           4
        .value_kind:     by_value
      - .offset:         76
        .size:           4
        .value_kind:     by_value
      - .offset:         80
        .size:           4
        .value_kind:     by_value
      - .offset:         84
        .size:           1
        .value_kind:     by_value
    .group_segment_fixed_size: 32
    .kernarg_segment_align: 8
    .kernarg_segment_size: 88
    .language:       OpenCL C
    .language_version:
      - 2
      - 0
    .max_flat_workgroup_size: 1024
    .name:           _ZN5aiter24add_rmsnorm_quant_kernelIttLi256ELi24ELb0ELb0ELb1ELi1EEEvPT0_PT_PfS4_S4_S4_diiiiiiib
    .private_segment_fixed_size: 0
    .sgpr_count:     22
    .sgpr_spill_count: 0
    .symbol:         _ZN5aiter24add_rmsnorm_quant_kernelIttLi256ELi24ELb0ELb0ELb1ELi1EEEvPT0_PT_PfS4_S4_S4_diiiiiiib.kd
    .uniform_work_group_size: 1
    .uses_dynamic_stack: false
    .vgpr_count:     51
    .vgpr_spill_count: 0
    .wavefront_size: 32
    .workgroup_processor_mode: 1
  - .args:
      - .address_space:  global
        .offset:         0
        .size:           8
        .value_kind:     global_buffer
      - .address_space:  global
        .offset:         8
        .size:           8
        .value_kind:     global_buffer
      - .address_space:  global
        .offset:         16
        .size:           8
        .value_kind:     global_buffer
      - .address_space:  global
        .offset:         24
        .size:           8
        .value_kind:     global_buffer
      - .address_space:  global
        .offset:         32
        .size:           8
        .value_kind:     global_buffer
      - .address_space:  global
        .offset:         40
        .size:           8
        .value_kind:     global_buffer
      - .offset:         48
        .size:           8
        .value_kind:     by_value
      - .offset:         56
        .size:           4
        .value_kind:     by_value
      - .offset:         60
        .size:           4
        .value_kind:     by_value
      - .offset:         64
        .size:           4
        .value_kind:     by_value
      - .offset:         68
        .size:           4
        .value_kind:     by_value
      - .offset:         72
        .size:           4
        .value_kind:     by_value
      - .offset:         76
        .size:           4
        .value_kind:     by_value
      - .offset:         80
        .size:           4
        .value_kind:     by_value
      - .offset:         84
        .size:           1
        .value_kind:     by_value
    .group_segment_fixed_size: 32
    .kernarg_segment_align: 8
    .kernarg_segment_size: 88
    .language:       OpenCL C
    .language_version:
      - 2
      - 0
    .max_flat_workgroup_size: 1024
    .name:           _ZN5aiter24add_rmsnorm_quant_kernelIDF16_DF16_Li256ELi24ELb0ELb0ELb0ELi1EEEvPT0_PT_PfS4_S4_S4_diiiiiiib
    .private_segment_fixed_size: 0
    .sgpr_count:     22
    .sgpr_spill_count: 0
    .symbol:         _ZN5aiter24add_rmsnorm_quant_kernelIDF16_DF16_Li256ELi24ELb0ELb0ELb0ELi1EEEvPT0_PT_PfS4_S4_S4_diiiiiiib.kd
    .uniform_work_group_size: 1
    .uses_dynamic_stack: false
    .vgpr_count:     46
    .vgpr_spill_count: 0
    .wavefront_size: 32
    .workgroup_processor_mode: 1
  - .args:
      - .address_space:  global
        .offset:         0
        .size:           8
        .value_kind:     global_buffer
      - .address_space:  global
        .offset:         8
        .size:           8
        .value_kind:     global_buffer
      - .address_space:  global
        .offset:         16
        .size:           8
        .value_kind:     global_buffer
      - .address_space:  global
        .offset:         24
        .size:           8
        .value_kind:     global_buffer
      - .address_space:  global
        .offset:         32
        .size:           8
        .value_kind:     global_buffer
      - .address_space:  global
        .offset:         40
        .size:           8
        .value_kind:     global_buffer
      - .offset:         48
        .size:           8
        .value_kind:     by_value
      - .offset:         56
        .size:           4
        .value_kind:     by_value
      - .offset:         60
        .size:           4
        .value_kind:     by_value
      - .offset:         64
        .size:           4
        .value_kind:     by_value
      - .offset:         68
        .size:           4
        .value_kind:     by_value
      - .offset:         72
        .size:           4
        .value_kind:     by_value
      - .offset:         76
        .size:           4
        .value_kind:     by_value
      - .offset:         80
        .size:           4
        .value_kind:     by_value
      - .offset:         84
        .size:           1
        .value_kind:     by_value
    .group_segment_fixed_size: 32
    .kernarg_segment_align: 8
    .kernarg_segment_size: 88
    .language:       OpenCL C
    .language_version:
      - 2
      - 0
    .max_flat_workgroup_size: 1024
    .name:           _ZN5aiter24add_rmsnorm_quant_kernelIttLi256ELi24ELb0ELb0ELb0ELi1EEEvPT0_PT_PfS4_S4_S4_diiiiiiib
    .private_segment_fixed_size: 0
    .sgpr_count:     22
    .sgpr_spill_count: 0
    .symbol:         _ZN5aiter24add_rmsnorm_quant_kernelIttLi256ELi24ELb0ELb0ELb0ELi1EEEvPT0_PT_PfS4_S4_S4_diiiiiiib.kd
    .uniform_work_group_size: 1
    .uses_dynamic_stack: false
    .vgpr_count:     51
    .vgpr_spill_count: 0
    .wavefront_size: 32
    .workgroup_processor_mode: 1
  - .args:
      - .address_space:  global
        .offset:         0
        .size:           8
        .value_kind:     global_buffer
      - .address_space:  global
        .offset:         8
        .size:           8
        .value_kind:     global_buffer
      - .address_space:  global
        .offset:         16
        .size:           8
        .value_kind:     global_buffer
      - .address_space:  global
        .offset:         24
        .size:           8
        .value_kind:     global_buffer
      - .address_space:  global
        .offset:         32
        .size:           8
        .value_kind:     global_buffer
      - .address_space:  global
        .offset:         40
        .size:           8
        .value_kind:     global_buffer
      - .offset:         48
        .size:           8
        .value_kind:     by_value
      - .offset:         56
        .size:           4
        .value_kind:     by_value
      - .offset:         60
        .size:           4
        .value_kind:     by_value
      - .offset:         64
        .size:           4
        .value_kind:     by_value
      - .offset:         68
        .size:           4
        .value_kind:     by_value
      - .offset:         72
        .size:           4
        .value_kind:     by_value
      - .offset:         76
        .size:           4
        .value_kind:     by_value
      - .offset:         80
        .size:           4
        .value_kind:     by_value
      - .offset:         84
        .size:           1
        .value_kind:     by_value
    .group_segment_fixed_size: 32
    .kernarg_segment_align: 8
    .kernarg_segment_size: 88
    .language:       OpenCL C
    .language_version:
      - 2
      - 0
    .max_flat_workgroup_size: 1024
    .name:           _ZN5aiter24add_rmsnorm_quant_kernelIDF16_DF16_Li256ELi32ELb0ELb0ELb1ELi1EEEvPT0_PT_PfS4_S4_S4_diiiiiiib
    .private_segment_fixed_size: 0
    .sgpr_count:     22
    .sgpr_spill_count: 0
    .symbol:         _ZN5aiter24add_rmsnorm_quant_kernelIDF16_DF16_Li256ELi32ELb0ELb0ELb1ELi1EEEvPT0_PT_PfS4_S4_S4_diiiiiiib.kd
    .uniform_work_group_size: 1
    .uses_dynamic_stack: false
    .vgpr_count:     59
    .vgpr_spill_count: 0
    .wavefront_size: 32
    .workgroup_processor_mode: 1
  - .args:
      - .address_space:  global
        .offset:         0
        .size:           8
        .value_kind:     global_buffer
      - .address_space:  global
        .offset:         8
        .size:           8
        .value_kind:     global_buffer
      - .address_space:  global
        .offset:         16
        .size:           8
        .value_kind:     global_buffer
      - .address_space:  global
        .offset:         24
        .size:           8
        .value_kind:     global_buffer
      - .address_space:  global
        .offset:         32
        .size:           8
        .value_kind:     global_buffer
      - .address_space:  global
        .offset:         40
        .size:           8
        .value_kind:     global_buffer
      - .offset:         48
        .size:           8
        .value_kind:     by_value
      - .offset:         56
        .size:           4
        .value_kind:     by_value
      - .offset:         60
        .size:           4
        .value_kind:     by_value
      - .offset:         64
        .size:           4
        .value_kind:     by_value
      - .offset:         68
        .size:           4
        .value_kind:     by_value
      - .offset:         72
        .size:           4
        .value_kind:     by_value
      - .offset:         76
        .size:           4
        .value_kind:     by_value
      - .offset:         80
        .size:           4
        .value_kind:     by_value
      - .offset:         84
        .size:           1
        .value_kind:     by_value
    .group_segment_fixed_size: 32
    .kernarg_segment_align: 8
    .kernarg_segment_size: 88
    .language:       OpenCL C
    .language_version:
      - 2
      - 0
    .max_flat_workgroup_size: 1024
    .name:           _ZN5aiter24add_rmsnorm_quant_kernelIttLi256ELi32ELb0ELb0ELb1ELi1EEEvPT0_PT_PfS4_S4_S4_diiiiiiib
    .private_segment_fixed_size: 0
    .sgpr_count:     22
    .sgpr_spill_count: 0
    .symbol:         _ZN5aiter24add_rmsnorm_quant_kernelIttLi256ELi32ELb0ELb0ELb1ELi1EEEvPT0_PT_PfS4_S4_S4_diiiiiiib.kd
    .uniform_work_group_size: 1
    .uses_dynamic_stack: false
    .vgpr_count:     67
    .vgpr_spill_count: 0
    .wavefront_size: 32
    .workgroup_processor_mode: 1
  - .args:
      - .address_space:  global
        .offset:         0
        .size:           8
        .value_kind:     global_buffer
      - .address_space:  global
        .offset:         8
        .size:           8
        .value_kind:     global_buffer
      - .address_space:  global
        .offset:         16
        .size:           8
        .value_kind:     global_buffer
      - .address_space:  global
        .offset:         24
        .size:           8
        .value_kind:     global_buffer
      - .address_space:  global
        .offset:         32
        .size:           8
        .value_kind:     global_buffer
      - .address_space:  global
        .offset:         40
        .size:           8
        .value_kind:     global_buffer
      - .offset:         48
        .size:           8
        .value_kind:     by_value
      - .offset:         56
        .size:           4
        .value_kind:     by_value
      - .offset:         60
        .size:           4
        .value_kind:     by_value
      - .offset:         64
        .size:           4
        .value_kind:     by_value
      - .offset:         68
        .size:           4
        .value_kind:     by_value
      - .offset:         72
        .size:           4
        .value_kind:     by_value
      - .offset:         76
        .size:           4
        .value_kind:     by_value
      - .offset:         80
        .size:           4
        .value_kind:     by_value
      - .offset:         84
        .size:           1
        .value_kind:     by_value
    .group_segment_fixed_size: 32
    .kernarg_segment_align: 8
    .kernarg_segment_size: 88
    .language:       OpenCL C
    .language_version:
      - 2
      - 0
    .max_flat_workgroup_size: 1024
    .name:           _ZN5aiter24add_rmsnorm_quant_kernelIDF16_DF16_Li256ELi32ELb0ELb0ELb0ELi1EEEvPT0_PT_PfS4_S4_S4_diiiiiiib
    .private_segment_fixed_size: 0
    .sgpr_count:     22
    .sgpr_spill_count: 0
    .symbol:         _ZN5aiter24add_rmsnorm_quant_kernelIDF16_DF16_Li256ELi32ELb0ELb0ELb0ELi1EEEvPT0_PT_PfS4_S4_S4_diiiiiiib.kd
    .uniform_work_group_size: 1
    .uses_dynamic_stack: false
    .vgpr_count:     59
    .vgpr_spill_count: 0
    .wavefront_size: 32
    .workgroup_processor_mode: 1
  - .args:
      - .address_space:  global
        .offset:         0
        .size:           8
        .value_kind:     global_buffer
      - .address_space:  global
        .offset:         8
        .size:           8
        .value_kind:     global_buffer
      - .address_space:  global
        .offset:         16
        .size:           8
        .value_kind:     global_buffer
      - .address_space:  global
        .offset:         24
        .size:           8
        .value_kind:     global_buffer
      - .address_space:  global
        .offset:         32
        .size:           8
        .value_kind:     global_buffer
      - .address_space:  global
        .offset:         40
        .size:           8
        .value_kind:     global_buffer
      - .offset:         48
        .size:           8
        .value_kind:     by_value
      - .offset:         56
        .size:           4
        .value_kind:     by_value
      - .offset:         60
        .size:           4
        .value_kind:     by_value
      - .offset:         64
        .size:           4
        .value_kind:     by_value
      - .offset:         68
        .size:           4
        .value_kind:     by_value
      - .offset:         72
        .size:           4
        .value_kind:     by_value
      - .offset:         76
        .size:           4
        .value_kind:     by_value
      - .offset:         80
        .size:           4
        .value_kind:     by_value
      - .offset:         84
        .size:           1
        .value_kind:     by_value
    .group_segment_fixed_size: 32
    .kernarg_segment_align: 8
    .kernarg_segment_size: 88
    .language:       OpenCL C
    .language_version:
      - 2
      - 0
    .max_flat_workgroup_size: 1024
    .name:           _ZN5aiter24add_rmsnorm_quant_kernelIttLi256ELi32ELb0ELb0ELb0ELi1EEEvPT0_PT_PfS4_S4_S4_diiiiiiib
    .private_segment_fixed_size: 0
    .sgpr_count:     22
    .sgpr_spill_count: 0
    .symbol:         _ZN5aiter24add_rmsnorm_quant_kernelIttLi256ELi32ELb0ELb0ELb0ELi1EEEvPT0_PT_PfS4_S4_S4_diiiiiiib.kd
    .uniform_work_group_size: 1
    .uses_dynamic_stack: false
    .vgpr_count:     67
    .vgpr_spill_count: 0
    .wavefront_size: 32
    .workgroup_processor_mode: 1
amdhsa.target:   amdgcn-amd-amdhsa--gfx1100
amdhsa.version:
  - 1
  - 2
...

	.end_amdgpu_metadata
